;; amdgpu-corpus repo=pytorch/pytorch kind=compiled arch=gfx906 opt=O3
	.amdgcn_target "amdgcn-amd-amdhsa--gfx906"
	.amdhsa_code_object_version 6
	.section	.text.unlikely._ZN2at6native12_GLOBAL__N_128vectorized_layer_norm_kernelIddLb0EEEviT0_PKT_S6_S6_PS3_S7_PS4_,"axG",@progbits,_ZN2at6native12_GLOBAL__N_128vectorized_layer_norm_kernelIddLb0EEEviT0_PKT_S6_S6_PS3_S7_PS4_,comdat
	.globl	_ZN2at6native12_GLOBAL__N_128vectorized_layer_norm_kernelIddLb0EEEviT0_PKT_S6_S6_PS3_S7_PS4_ ; -- Begin function _ZN2at6native12_GLOBAL__N_128vectorized_layer_norm_kernelIddLb0EEEviT0_PKT_S6_S6_PS3_S7_PS4_
	.p2align	8
	.type	_ZN2at6native12_GLOBAL__N_128vectorized_layer_norm_kernelIddLb0EEEviT0_PKT_S6_S6_PS3_S7_PS4_,@function
_ZN2at6native12_GLOBAL__N_128vectorized_layer_norm_kernelIddLb0EEEviT0_PKT_S6_S6_PS3_S7_PS4_: ; @_ZN2at6native12_GLOBAL__N_128vectorized_layer_norm_kernelIddLb0EEEviT0_PKT_S6_S6_PS3_S7_PS4_
; %bb.0:
	s_trap 2
	.section	.rodata,"a",@progbits
	.p2align	6, 0x0
	.amdhsa_kernel _ZN2at6native12_GLOBAL__N_128vectorized_layer_norm_kernelIddLb0EEEviT0_PKT_S6_S6_PS3_S7_PS4_
		.amdhsa_group_segment_fixed_size 0
		.amdhsa_private_segment_fixed_size 0
		.amdhsa_kernarg_size 64
		.amdhsa_user_sgpr_count 6
		.amdhsa_user_sgpr_private_segment_buffer 1
		.amdhsa_user_sgpr_dispatch_ptr 0
		.amdhsa_user_sgpr_queue_ptr 0
		.amdhsa_user_sgpr_kernarg_segment_ptr 1
		.amdhsa_user_sgpr_dispatch_id 0
		.amdhsa_user_sgpr_flat_scratch_init 0
		.amdhsa_user_sgpr_private_segment_size 0
		.amdhsa_uses_dynamic_stack 0
		.amdhsa_system_sgpr_private_segment_wavefront_offset 0
		.amdhsa_system_sgpr_workgroup_id_x 1
		.amdhsa_system_sgpr_workgroup_id_y 0
		.amdhsa_system_sgpr_workgroup_id_z 0
		.amdhsa_system_sgpr_workgroup_info 0
		.amdhsa_system_vgpr_workitem_id 0
		.amdhsa_next_free_vgpr 1
		.amdhsa_next_free_sgpr 0
		.amdhsa_reserve_vcc 0
		.amdhsa_reserve_flat_scratch 0
		.amdhsa_float_round_mode_32 0
		.amdhsa_float_round_mode_16_64 0
		.amdhsa_float_denorm_mode_32 3
		.amdhsa_float_denorm_mode_16_64 3
		.amdhsa_dx10_clamp 1
		.amdhsa_ieee_mode 1
		.amdhsa_fp16_overflow 0
		.amdhsa_exception_fp_ieee_invalid_op 0
		.amdhsa_exception_fp_denorm_src 0
		.amdhsa_exception_fp_ieee_div_zero 0
		.amdhsa_exception_fp_ieee_overflow 0
		.amdhsa_exception_fp_ieee_underflow 0
		.amdhsa_exception_fp_ieee_inexact 0
		.amdhsa_exception_int_div_zero 0
	.end_amdhsa_kernel
	.section	.text.unlikely._ZN2at6native12_GLOBAL__N_128vectorized_layer_norm_kernelIddLb0EEEviT0_PKT_S6_S6_PS3_S7_PS4_,"axG",@progbits,_ZN2at6native12_GLOBAL__N_128vectorized_layer_norm_kernelIddLb0EEEviT0_PKT_S6_S6_PS3_S7_PS4_,comdat
.Lfunc_end0:
	.size	_ZN2at6native12_GLOBAL__N_128vectorized_layer_norm_kernelIddLb0EEEviT0_PKT_S6_S6_PS3_S7_PS4_, .Lfunc_end0-_ZN2at6native12_GLOBAL__N_128vectorized_layer_norm_kernelIddLb0EEEviT0_PKT_S6_S6_PS3_S7_PS4_
                                        ; -- End function
	.set _ZN2at6native12_GLOBAL__N_128vectorized_layer_norm_kernelIddLb0EEEviT0_PKT_S6_S6_PS3_S7_PS4_.num_vgpr, 0
	.set _ZN2at6native12_GLOBAL__N_128vectorized_layer_norm_kernelIddLb0EEEviT0_PKT_S6_S6_PS3_S7_PS4_.num_agpr, 0
	.set _ZN2at6native12_GLOBAL__N_128vectorized_layer_norm_kernelIddLb0EEEviT0_PKT_S6_S6_PS3_S7_PS4_.numbered_sgpr, 0
	.set _ZN2at6native12_GLOBAL__N_128vectorized_layer_norm_kernelIddLb0EEEviT0_PKT_S6_S6_PS3_S7_PS4_.num_named_barrier, 0
	.set _ZN2at6native12_GLOBAL__N_128vectorized_layer_norm_kernelIddLb0EEEviT0_PKT_S6_S6_PS3_S7_PS4_.private_seg_size, 0
	.set _ZN2at6native12_GLOBAL__N_128vectorized_layer_norm_kernelIddLb0EEEviT0_PKT_S6_S6_PS3_S7_PS4_.uses_vcc, 0
	.set _ZN2at6native12_GLOBAL__N_128vectorized_layer_norm_kernelIddLb0EEEviT0_PKT_S6_S6_PS3_S7_PS4_.uses_flat_scratch, 0
	.set _ZN2at6native12_GLOBAL__N_128vectorized_layer_norm_kernelIddLb0EEEviT0_PKT_S6_S6_PS3_S7_PS4_.has_dyn_sized_stack, 0
	.set _ZN2at6native12_GLOBAL__N_128vectorized_layer_norm_kernelIddLb0EEEviT0_PKT_S6_S6_PS3_S7_PS4_.has_recursion, 0
	.set _ZN2at6native12_GLOBAL__N_128vectorized_layer_norm_kernelIddLb0EEEviT0_PKT_S6_S6_PS3_S7_PS4_.has_indirect_call, 0
	.section	.AMDGPU.csdata,"",@progbits
; Kernel info:
; codeLenInByte = 4
; TotalNumSgprs: 4
; NumVgprs: 0
; ScratchSize: 0
; MemoryBound: 0
; FloatMode: 240
; IeeeMode: 1
; LDSByteSize: 0 bytes/workgroup (compile time only)
; SGPRBlocks: 0
; VGPRBlocks: 0
; NumSGPRsForWavesPerEU: 4
; NumVGPRsForWavesPerEU: 1
; Occupancy: 10
; WaveLimiterHint : 0
; COMPUTE_PGM_RSRC2:SCRATCH_EN: 0
; COMPUTE_PGM_RSRC2:USER_SGPR: 6
; COMPUTE_PGM_RSRC2:TRAP_HANDLER: 0
; COMPUTE_PGM_RSRC2:TGID_X_EN: 1
; COMPUTE_PGM_RSRC2:TGID_Y_EN: 0
; COMPUTE_PGM_RSRC2:TGID_Z_EN: 0
; COMPUTE_PGM_RSRC2:TIDIG_COMP_CNT: 0
	.section	.text._ZN2at6native12_GLOBAL__N_124RowwiseMomentsCUDAKernelIddLb0EEEvlT0_PKT_PS3_S7_,"axG",@progbits,_ZN2at6native12_GLOBAL__N_124RowwiseMomentsCUDAKernelIddLb0EEEvlT0_PKT_PS3_S7_,comdat
	.globl	_ZN2at6native12_GLOBAL__N_124RowwiseMomentsCUDAKernelIddLb0EEEvlT0_PKT_PS3_S7_ ; -- Begin function _ZN2at6native12_GLOBAL__N_124RowwiseMomentsCUDAKernelIddLb0EEEvlT0_PKT_PS3_S7_
	.p2align	8
	.type	_ZN2at6native12_GLOBAL__N_124RowwiseMomentsCUDAKernelIddLb0EEEvlT0_PKT_PS3_S7_,@function
_ZN2at6native12_GLOBAL__N_124RowwiseMomentsCUDAKernelIddLb0EEEvlT0_PKT_PS3_S7_: ; @_ZN2at6native12_GLOBAL__N_124RowwiseMomentsCUDAKernelIddLb0EEEvlT0_PKT_PS3_S7_
; %bb.0:
	s_load_dwordx8 s[8:15], s[4:5], 0x0
	s_load_dwordx2 s[2:3], s[4:5], 0x20
	v_mov_b32_e32 v1, 0
	v_mov_b32_e32 v14, 0
	;; [unrolled: 1-line block ×3, first 2 shown]
	s_waitcnt lgkmcnt(0)
	v_cmp_gt_i64_e32 vcc, s[8:9], v[0:1]
	v_mov_b32_e32 v2, 0
	v_mov_b32_e32 v4, 0
	;; [unrolled: 1-line block ×6, first 2 shown]
	s_mov_b32 s7, 0
	s_and_saveexec_b64 s[16:17], vcc
	s_cbranch_execz .LBB1_4
; %bb.1:
	s_load_dword s18, s[4:5], 0x34
	s_mul_i32 s1, s9, s6
	s_mul_hi_u32 s19, s8, s6
	s_mul_i32 s0, s8, s6
	s_add_i32 s1, s19, s1
	s_waitcnt lgkmcnt(0)
	s_and_b32 s20, s18, 0xffff
	s_lshl_b64 s[0:1], s[0:1], 3
	s_add_u32 s0, s12, s0
	v_lshlrev_b32_e32 v2, 3, v0
	s_addc_u32 s1, s13, s1
	v_mov_b32_e32 v3, s1
	v_add_co_u32_e32 v6, vcc, s0, v2
	v_addc_co_u32_e32 v7, vcc, 0, v3, vcc
	v_mov_b32_e32 v2, 0
	v_mov_b32_e32 v9, v1
	;; [unrolled: 1-line block ×3, first 2 shown]
	s_lshl_b32 s21, s20, 3
	v_mov_b32_e32 v3, 0
	s_mov_b64 s[12:13], 0
	v_mov_b32_e32 v8, v0
	v_mov_b32_e32 v5, 0
	s_mov_b64 s[18:19], 0
.LBB1_2:                                ; =>This Inner Loop Header: Depth=1
	global_load_dwordx2 v[12:13], v[6:7], off
	s_add_u32 s18, s18, 1
	s_addc_u32 s19, s19, 0
	v_cvt_f64_u32_e32 v[10:11], s19
	v_cvt_f64_u32_e32 v[14:15], s18
	v_ldexp_f64 v[10:11], v[10:11], 32
	v_add_f64 v[10:11], v[10:11], v[14:15]
	s_waitcnt vmcnt(0)
	v_add_f64 v[14:15], v[12:13], -v[4:5]
	v_div_scale_f64 v[16:17], s[0:1], v[10:11], v[10:11], v[14:15]
	v_rcp_f64_e32 v[18:19], v[16:17]
	v_fma_f64 v[20:21], -v[16:17], v[18:19], 1.0
	v_fma_f64 v[18:19], v[18:19], v[20:21], v[18:19]
	v_div_scale_f64 v[20:21], vcc, v[14:15], v[10:11], v[14:15]
	v_fma_f64 v[22:23], -v[16:17], v[18:19], 1.0
	v_fma_f64 v[18:19], v[18:19], v[22:23], v[18:19]
	v_mul_f64 v[22:23], v[20:21], v[18:19]
	v_fma_f64 v[16:17], -v[16:17], v[22:23], v[20:21]
	v_div_fmas_f64 v[16:17], v[16:17], v[18:19], v[22:23]
	v_add_co_u32_e32 v8, vcc, s20, v8
	v_addc_co_u32_e32 v9, vcc, 0, v9, vcc
	v_cmp_le_i64_e64 s[0:1], s[8:9], v[8:9]
	v_add_co_u32_e32 v6, vcc, s21, v6
	v_addc_co_u32_e32 v7, vcc, 0, v7, vcc
	s_or_b64 s[12:13], s[0:1], s[12:13]
	v_div_fixup_f64 v[16:17], v[16:17], v[10:11], v[14:15]
	v_add_f64 v[4:5], v[4:5], v[16:17]
	v_add_f64 v[12:13], v[12:13], -v[4:5]
	v_fma_f64 v[2:3], v[14:15], v[12:13], v[2:3]
	v_mov_b32_e32 v14, s18
	v_mov_b32_e32 v15, s19
	s_andn2_b64 exec, exec, s[12:13]
	s_cbranch_execnz .LBB1_2
; %bb.3:
	s_or_b64 exec, exec, s[12:13]
.LBB1_4:
	s_or_b64 exec, exec, s[16:17]
	v_mbcnt_lo_u32_b32 v1, -1, 0
	v_cmp_neq_f64_e32 vcc, 0, v[10:11]
	v_mbcnt_hi_u32_b32 v23, -1, v1
	v_mov_b32_e32 v1, 0x80
	v_lshl_or_b32 v20, v23, 2, v1
	ds_bpermute_b32 v6, v20, v4
	ds_bpermute_b32 v7, v20, v5
	;; [unrolled: 1-line block ×8, first 2 shown]
	s_and_saveexec_b64 s[0:1], vcc
	s_cbranch_execz .LBB1_8
; %bb.5:
	s_waitcnt lgkmcnt(0)
	v_cmp_neq_f64_e32 vcc, 0, v[12:13]
	s_and_saveexec_b64 s[8:9], vcc
	s_cbranch_execz .LBB1_7
; %bb.6:
	v_add_f64 v[16:17], v[10:11], v[12:13]
	v_add_f64 v[6:7], v[6:7], -v[4:5]
	v_add_f64 v[1:2], v[2:3], v[8:9]
	v_div_scale_f64 v[14:15], s[12:13], v[16:17], v[16:17], v[12:13]
	v_rcp_f64_e32 v[18:19], v[14:15]
	v_fma_f64 v[21:22], -v[14:15], v[18:19], 1.0
	v_fma_f64 v[18:19], v[18:19], v[21:22], v[18:19]
	v_div_scale_f64 v[21:22], vcc, v[12:13], v[16:17], v[12:13]
	v_fma_f64 v[24:25], -v[14:15], v[18:19], 1.0
	v_fma_f64 v[18:19], v[18:19], v[24:25], v[18:19]
	v_mul_f64 v[24:25], v[21:22], v[18:19]
	v_fma_f64 v[14:15], -v[14:15], v[24:25], v[21:22]
	v_div_fmas_f64 v[14:15], v[14:15], v[18:19], v[24:25]
	v_mul_f64 v[18:19], v[6:7], v[6:7]
	v_mul_f64 v[10:11], v[10:11], v[18:19]
	v_div_fixup_f64 v[8:9], v[14:15], v[16:17], v[12:13]
	v_mov_b32_e32 v14, -1
	v_mov_b32_e32 v15, -1
	v_fma_f64 v[4:5], v[6:7], v[8:9], v[4:5]
	v_fma_f64 v[2:3], v[10:11], v[8:9], v[1:2]
	v_mov_b32_e32 v10, v16
	v_mov_b32_e32 v11, v17
.LBB1_7:
	s_or_b64 exec, exec, s[8:9]
	v_mov_b32_e32 v13, v11
	v_mov_b32_e32 v17, v15
	;; [unrolled: 1-line block ×8, first 2 shown]
.LBB1_8:
	s_or_b64 exec, exec, s[0:1]
	v_and_b32_e32 v24, 63, v23
	v_cmp_gt_u32_e32 vcc, 48, v24
	v_cndmask_b32_e64 v1, 0, 16, vcc
	s_waitcnt lgkmcnt(0)
	v_cmp_neq_f64_e32 vcc, 0, v[12:13]
	v_add_lshl_u32 v21, v1, v23, 2
	ds_bpermute_b32 v1, v21, v6
	ds_bpermute_b32 v2, v21, v7
	;; [unrolled: 1-line block ×8, first 2 shown]
	s_and_saveexec_b64 s[0:1], vcc
	s_cbranch_execz .LBB1_12
; %bb.9:
	s_waitcnt lgkmcnt(0)
	v_cmp_neq_f64_e32 vcc, 0, v[14:15]
	s_and_saveexec_b64 s[8:9], vcc
	s_cbranch_execz .LBB1_11
; %bb.10:
	v_add_f64 v[3:4], v[12:13], v[14:15]
	v_add_f64 v[1:2], v[1:2], -v[6:7]
	v_add_f64 v[8:9], v[8:9], v[10:11]
	v_div_scale_f64 v[16:17], s[12:13], v[3:4], v[3:4], v[14:15]
	v_rcp_f64_e32 v[18:19], v[16:17]
	v_fma_f64 v[25:26], -v[16:17], v[18:19], 1.0
	v_fma_f64 v[18:19], v[18:19], v[25:26], v[18:19]
	v_div_scale_f64 v[25:26], vcc, v[14:15], v[3:4], v[14:15]
	v_fma_f64 v[27:28], -v[16:17], v[18:19], 1.0
	v_fma_f64 v[18:19], v[18:19], v[27:28], v[18:19]
	v_mul_f64 v[27:28], v[25:26], v[18:19]
	v_fma_f64 v[16:17], -v[16:17], v[27:28], v[25:26]
	v_div_fmas_f64 v[16:17], v[16:17], v[18:19], v[27:28]
	v_mul_f64 v[18:19], v[1:2], v[1:2]
	v_mul_f64 v[12:13], v[12:13], v[18:19]
	v_div_fixup_f64 v[10:11], v[16:17], v[3:4], v[14:15]
	v_mov_b32_e32 v16, -1
	v_mov_b32_e32 v17, -1
	v_fma_f64 v[6:7], v[1:2], v[10:11], v[6:7]
	v_fma_f64 v[8:9], v[12:13], v[10:11], v[8:9]
	v_mov_b32_e32 v13, v4
	v_mov_b32_e32 v12, v3
.LBB1_11:
	s_or_b64 exec, exec, s[8:9]
	v_mov_b32_e32 v15, v13
	v_mov_b32_e32 v19, v17
	;; [unrolled: 1-line block ×8, first 2 shown]
.LBB1_12:
	s_or_b64 exec, exec, s[0:1]
	v_cmp_gt_u32_e32 vcc, 56, v24
	v_cndmask_b32_e64 v3, 0, 8, vcc
	s_waitcnt lgkmcnt(0)
	v_cmp_neq_f64_e32 vcc, 0, v[14:15]
	v_add_lshl_u32 v22, v3, v23, 2
	ds_bpermute_b32 v3, v22, v1
	ds_bpermute_b32 v4, v22, v2
	;; [unrolled: 1-line block ×8, first 2 shown]
	s_and_saveexec_b64 s[0:1], vcc
	s_cbranch_execz .LBB1_16
; %bb.13:
	s_waitcnt lgkmcnt(0)
	v_cmp_neq_f64_e32 vcc, 0, v[12:13]
	s_and_saveexec_b64 s[8:9], vcc
	s_cbranch_execz .LBB1_15
; %bb.14:
	v_add_f64 v[7:8], v[14:15], v[12:13]
	v_add_f64 v[3:4], v[3:4], -v[1:2]
	v_add_f64 v[5:6], v[10:11], v[5:6]
	v_div_scale_f64 v[16:17], s[12:13], v[7:8], v[7:8], v[12:13]
	v_rcp_f64_e32 v[18:19], v[16:17]
	v_fma_f64 v[25:26], -v[16:17], v[18:19], 1.0
	v_fma_f64 v[18:19], v[18:19], v[25:26], v[18:19]
	v_div_scale_f64 v[25:26], vcc, v[12:13], v[7:8], v[12:13]
	v_fma_f64 v[27:28], -v[16:17], v[18:19], 1.0
	v_fma_f64 v[18:19], v[18:19], v[27:28], v[18:19]
	v_mul_f64 v[27:28], v[25:26], v[18:19]
	v_fma_f64 v[16:17], -v[16:17], v[27:28], v[25:26]
	v_div_fmas_f64 v[16:17], v[16:17], v[18:19], v[27:28]
	v_mul_f64 v[18:19], v[3:4], v[3:4]
	v_div_fixup_f64 v[9:10], v[16:17], v[7:8], v[12:13]
	v_mul_f64 v[11:12], v[14:15], v[18:19]
	v_mov_b32_e32 v18, -1
	v_mov_b32_e32 v15, v8
	v_mov_b32_e32 v19, -1
	v_mov_b32_e32 v14, v7
	v_fma_f64 v[1:2], v[3:4], v[9:10], v[1:2]
	v_fma_f64 v[10:11], v[11:12], v[9:10], v[5:6]
.LBB1_15:
	s_or_b64 exec, exec, s[8:9]
	v_mov_b32_e32 v12, v14
	v_mov_b32_e32 v16, v18
	;; [unrolled: 1-line block ×8, first 2 shown]
.LBB1_16:
	s_or_b64 exec, exec, s[0:1]
	v_cmp_gt_u32_e32 vcc, 60, v24
	v_cndmask_b32_e64 v1, 0, 4, vcc
	s_waitcnt lgkmcnt(0)
	v_cmp_neq_f64_e32 vcc, 0, v[12:13]
	v_add_lshl_u32 v18, v1, v23, 2
	ds_bpermute_b32 v1, v18, v3
	ds_bpermute_b32 v2, v18, v4
	;; [unrolled: 1-line block ×8, first 2 shown]
	s_and_saveexec_b64 s[0:1], vcc
	s_cbranch_execz .LBB1_20
; %bb.17:
	s_waitcnt lgkmcnt(0)
	v_cmp_neq_f64_e32 vcc, 0, v[9:10]
	s_and_saveexec_b64 s[8:9], vcc
	s_cbranch_execz .LBB1_19
; %bb.18:
	v_add_f64 v[14:15], v[12:13], v[9:10]
	v_add_f64 v[1:2], v[1:2], -v[3:4]
	v_add_f64 v[5:6], v[5:6], v[7:8]
	v_div_scale_f64 v[16:17], s[12:13], v[14:15], v[14:15], v[9:10]
	v_rcp_f64_e32 v[25:26], v[16:17]
	v_fma_f64 v[27:28], -v[16:17], v[25:26], 1.0
	v_fma_f64 v[25:26], v[25:26], v[27:28], v[25:26]
	v_div_scale_f64 v[27:28], vcc, v[9:10], v[14:15], v[9:10]
	v_fma_f64 v[29:30], -v[16:17], v[25:26], 1.0
	v_fma_f64 v[25:26], v[25:26], v[29:30], v[25:26]
	v_mul_f64 v[29:30], v[27:28], v[25:26]
	v_fma_f64 v[16:17], -v[16:17], v[29:30], v[27:28]
	v_div_fmas_f64 v[16:17], v[16:17], v[25:26], v[29:30]
	v_mul_f64 v[25:26], v[1:2], v[1:2]
	v_div_fixup_f64 v[7:8], v[16:17], v[14:15], v[9:10]
	v_mul_f64 v[9:10], v[12:13], v[25:26]
	v_mov_b32_e32 v16, -1
	v_mov_b32_e32 v12, v14
	v_mov_b32_e32 v17, -1
	v_mov_b32_e32 v13, v15
	v_fma_f64 v[3:4], v[1:2], v[7:8], v[3:4]
	v_fma_f64 v[5:6], v[9:10], v[7:8], v[5:6]
.LBB1_19:
	s_or_b64 exec, exec, s[8:9]
	v_mov_b32_e32 v9, v12
	v_mov_b32_e32 v14, v16
	;; [unrolled: 1-line block ×8, first 2 shown]
.LBB1_20:
	s_or_b64 exec, exec, s[0:1]
	v_cmp_gt_u32_e32 vcc, 62, v24
	v_cndmask_b32_e64 v3, 0, 2, vcc
	s_waitcnt lgkmcnt(0)
	v_cmp_neq_f64_e32 vcc, 0, v[9:10]
	v_add_lshl_u32 v19, v3, v23, 2
	ds_bpermute_b32 v3, v19, v1
	ds_bpermute_b32 v4, v19, v2
	;; [unrolled: 1-line block ×8, first 2 shown]
	s_and_saveexec_b64 s[0:1], vcc
	s_cbranch_execz .LBB1_24
; %bb.21:
	s_waitcnt lgkmcnt(0)
	v_cmp_neq_f64_e32 vcc, 0, v[11:12]
	s_and_saveexec_b64 s[8:9], vcc
	s_cbranch_execz .LBB1_23
; %bb.22:
	v_add_f64 v[16:17], v[9:10], v[11:12]
	v_add_f64 v[3:4], v[3:4], -v[1:2]
	v_add_f64 v[5:6], v[7:8], v[5:6]
	v_div_scale_f64 v[13:14], s[12:13], v[16:17], v[16:17], v[11:12]
	v_rcp_f64_e32 v[25:26], v[13:14]
	v_fma_f64 v[27:28], -v[13:14], v[25:26], 1.0
	v_fma_f64 v[25:26], v[25:26], v[27:28], v[25:26]
	v_div_scale_f64 v[27:28], vcc, v[11:12], v[16:17], v[11:12]
	v_fma_f64 v[29:30], -v[13:14], v[25:26], 1.0
	v_fma_f64 v[25:26], v[25:26], v[29:30], v[25:26]
	v_mul_f64 v[29:30], v[27:28], v[25:26]
	v_fma_f64 v[13:14], -v[13:14], v[29:30], v[27:28]
	v_div_fmas_f64 v[13:14], v[13:14], v[25:26], v[29:30]
	v_mul_f64 v[25:26], v[3:4], v[3:4]
	v_mul_f64 v[9:10], v[9:10], v[25:26]
	v_div_fixup_f64 v[7:8], v[13:14], v[16:17], v[11:12]
	v_mov_b32_e32 v14, -1
	v_mov_b32_e32 v15, -1
	v_fma_f64 v[1:2], v[3:4], v[7:8], v[1:2]
	v_fma_f64 v[7:8], v[9:10], v[7:8], v[5:6]
	v_mov_b32_e32 v9, v16
	v_mov_b32_e32 v10, v17
.LBB1_23:
	s_or_b64 exec, exec, s[8:9]
	v_mov_b32_e32 v12, v10
	v_mov_b32_e32 v17, v15
	;; [unrolled: 1-line block ×8, first 2 shown]
.LBB1_24:
	s_or_b64 exec, exec, s[0:1]
	v_cmp_ne_u32_e32 vcc, 63, v24
	v_addc_co_u32_e32 v1, vcc, 0, v23, vcc
	s_waitcnt lgkmcnt(0)
	v_cmp_neq_f64_e32 vcc, 0, v[11:12]
	v_lshlrev_b32_e32 v15, 2, v1
	ds_bpermute_b32 v7, v15, v3
	ds_bpermute_b32 v8, v15, v4
	;; [unrolled: 1-line block ×8, first 2 shown]
	s_and_saveexec_b64 s[0:1], vcc
	s_cbranch_execz .LBB1_28
; %bb.25:
	s_waitcnt lgkmcnt(0)
	v_cmp_neq_f64_e32 vcc, 0, v[9:10]
	s_and_saveexec_b64 s[8:9], vcc
	s_cbranch_execz .LBB1_27
; %bb.26:
	v_add_f64 v[13:14], v[11:12], v[9:10]
	v_add_f64 v[7:8], v[7:8], -v[3:4]
	v_add_f64 v[1:2], v[5:6], v[1:2]
	v_div_scale_f64 v[16:17], s[12:13], v[13:14], v[13:14], v[9:10]
	v_rcp_f64_e32 v[23:24], v[16:17]
	v_fma_f64 v[25:26], -v[16:17], v[23:24], 1.0
	v_fma_f64 v[23:24], v[23:24], v[25:26], v[23:24]
	v_div_scale_f64 v[25:26], vcc, v[9:10], v[13:14], v[9:10]
	v_fma_f64 v[27:28], -v[16:17], v[23:24], 1.0
	v_fma_f64 v[23:24], v[23:24], v[27:28], v[23:24]
	v_mul_f64 v[27:28], v[25:26], v[23:24]
	v_fma_f64 v[16:17], -v[16:17], v[27:28], v[25:26]
	v_div_fmas_f64 v[16:17], v[16:17], v[23:24], v[27:28]
	v_mul_f64 v[23:24], v[7:8], v[7:8]
	v_div_fixup_f64 v[5:6], v[16:17], v[13:14], v[9:10]
	v_mul_f64 v[9:10], v[11:12], v[23:24]
	v_mov_b32_e32 v16, -1
	v_mov_b32_e32 v11, v13
	v_mov_b32_e32 v17, -1
	v_mov_b32_e32 v12, v14
	v_fma_f64 v[3:4], v[7:8], v[5:6], v[3:4]
	v_fma_f64 v[5:6], v[9:10], v[5:6], v[1:2]
.LBB1_27:
	s_or_b64 exec, exec, s[8:9]
	v_mov_b32_e32 v9, v11
	v_mov_b32_e32 v13, v16
	;; [unrolled: 1-line block ×8, first 2 shown]
.LBB1_28:
	s_or_b64 exec, exec, s[0:1]
	v_and_b32_e32 v5, 63, v0
	v_cmp_eq_u32_e32 vcc, 0, v5
	s_waitcnt lgkmcnt(0)
	s_barrier
	s_and_saveexec_b64 s[0:1], vcc
	s_cbranch_execz .LBB1_30
; %bb.29:
	v_lshrrev_b32_e32 v3, 1, v0
	ds_write2_b64 v3, v[7:8], v[1:2] offset1:1
	ds_write2_b64 v3, v[13:14], v[9:10] offset0:2 offset1:3
.LBB1_30:
	s_or_b64 exec, exec, s[0:1]
	s_waitcnt lgkmcnt(0)
	s_barrier
	s_load_dword s0, s[4:5], 0x34
	v_mov_b32_e32 v3, 0
	v_mov_b32_e32 v1, 0
	;; [unrolled: 1-line block ×4, first 2 shown]
	s_waitcnt lgkmcnt(0)
	s_bfe_u32 s0, s0, 0xa0006
	v_cmp_gt_u32_e32 vcc, s0, v0
	v_lshlrev_b32_e32 v7, 5, v5
	s_and_saveexec_b64 s[0:1], vcc
; %bb.31:
	ds_read_b64 v[1:2], v7
; %bb.32:
	s_or_b64 exec, exec, s[0:1]
	s_and_saveexec_b64 s[0:1], vcc
; %bb.33:
	ds_read_b64 v[3:4], v7 offset:8
; %bb.34:
	s_or_b64 exec, exec, s[0:1]
	v_mov_b32_e32 v5, 0
	v_mov_b32_e32 v6, 0
	s_and_saveexec_b64 s[0:1], vcc
	s_cbranch_execnz .LBB1_38
; %bb.35:
	s_or_b64 exec, exec, s[0:1]
	v_cmp_gt_u32_e32 vcc, 64, v0
	s_and_saveexec_b64 s[0:1], vcc
	s_cbranch_execnz .LBB1_39
.LBB1_36:
	s_or_b64 exec, exec, s[0:1]
	v_cmp_eq_u32_e32 vcc, 0, v0
	s_and_saveexec_b64 s[0:1], vcc
	s_cbranch_execnz .LBB1_64
.LBB1_37:
	s_endpgm
.LBB1_38:
	ds_read_b64 v[5:6], v7 offset:24
	s_or_b64 exec, exec, s[0:1]
	v_cmp_gt_u32_e32 vcc, 64, v0
	s_and_saveexec_b64 s[0:1], vcc
	s_cbranch_execz .LBB1_36
.LBB1_39:
	s_waitcnt lgkmcnt(0)
	v_cmp_neq_f64_e32 vcc, 0, v[5:6]
	ds_bpermute_b32 v7, v20, v1
	ds_bpermute_b32 v8, v20, v2
	;; [unrolled: 1-line block ×6, first 2 shown]
	s_and_saveexec_b64 s[4:5], vcc
	s_cbranch_execz .LBB1_43
; %bb.40:
	s_waitcnt lgkmcnt(0)
	v_cmp_neq_f64_e32 vcc, 0, v[11:12]
	s_and_saveexec_b64 s[8:9], vcc
	s_cbranch_execz .LBB1_42
; %bb.41:
	v_add_f64 v[13:14], v[5:6], v[11:12]
	v_add_f64 v[7:8], v[7:8], -v[1:2]
	v_add_f64 v[3:4], v[3:4], v[9:10]
	v_div_scale_f64 v[16:17], s[12:13], v[13:14], v[13:14], v[11:12]
	v_rcp_f64_e32 v[23:24], v[16:17]
	v_fma_f64 v[25:26], -v[16:17], v[23:24], 1.0
	v_fma_f64 v[23:24], v[23:24], v[25:26], v[23:24]
	v_div_scale_f64 v[25:26], vcc, v[11:12], v[13:14], v[11:12]
	v_fma_f64 v[27:28], -v[16:17], v[23:24], 1.0
	v_fma_f64 v[23:24], v[23:24], v[27:28], v[23:24]
	v_mul_f64 v[27:28], v[25:26], v[23:24]
	v_fma_f64 v[16:17], -v[16:17], v[27:28], v[25:26]
	v_div_fmas_f64 v[16:17], v[16:17], v[23:24], v[27:28]
	v_mul_f64 v[23:24], v[7:8], v[7:8]
	v_mul_f64 v[5:6], v[5:6], v[23:24]
	v_div_fixup_f64 v[9:10], v[16:17], v[13:14], v[11:12]
	v_fma_f64 v[1:2], v[7:8], v[9:10], v[1:2]
	v_fma_f64 v[3:4], v[5:6], v[9:10], v[3:4]
	v_mov_b32_e32 v5, v13
	v_mov_b32_e32 v6, v14
.LBB1_42:
	s_or_b64 exec, exec, s[8:9]
	v_mov_b32_e32 v12, v6
	v_mov_b32_e32 v10, v4
	;; [unrolled: 1-line block ×6, first 2 shown]
.LBB1_43:
	s_or_b64 exec, exec, s[4:5]
	s_waitcnt lgkmcnt(0)
	v_cmp_neq_f64_e32 vcc, 0, v[11:12]
	ds_bpermute_b32 v1, v21, v7
	ds_bpermute_b32 v2, v21, v8
	;; [unrolled: 1-line block ×6, first 2 shown]
	s_and_saveexec_b64 s[4:5], vcc
	s_cbranch_execz .LBB1_47
; %bb.44:
	s_waitcnt lgkmcnt(0)
	v_cmp_neq_f64_e32 vcc, 0, v[13:14]
	s_and_saveexec_b64 s[8:9], vcc
	s_cbranch_execz .LBB1_46
; %bb.45:
	v_add_f64 v[3:4], v[11:12], v[13:14]
	v_add_f64 v[1:2], v[1:2], -v[7:8]
	v_add_f64 v[5:6], v[9:10], v[5:6]
	v_div_scale_f64 v[16:17], s[12:13], v[3:4], v[3:4], v[13:14]
	v_rcp_f64_e32 v[20:21], v[16:17]
	v_fma_f64 v[23:24], -v[16:17], v[20:21], 1.0
	v_fma_f64 v[20:21], v[20:21], v[23:24], v[20:21]
	v_div_scale_f64 v[23:24], vcc, v[13:14], v[3:4], v[13:14]
	v_fma_f64 v[25:26], -v[16:17], v[20:21], 1.0
	v_fma_f64 v[20:21], v[20:21], v[25:26], v[20:21]
	v_mul_f64 v[25:26], v[23:24], v[20:21]
	v_fma_f64 v[16:17], -v[16:17], v[25:26], v[23:24]
	v_div_fmas_f64 v[16:17], v[16:17], v[20:21], v[25:26]
	v_mul_f64 v[20:21], v[1:2], v[1:2]
	v_mul_f64 v[11:12], v[11:12], v[20:21]
	v_div_fixup_f64 v[9:10], v[16:17], v[3:4], v[13:14]
	v_fma_f64 v[7:8], v[1:2], v[9:10], v[7:8]
	v_fma_f64 v[9:10], v[11:12], v[9:10], v[5:6]
	v_mov_b32_e32 v12, v4
	v_mov_b32_e32 v11, v3
.LBB1_46:
	s_or_b64 exec, exec, s[8:9]
	v_mov_b32_e32 v14, v12
	v_mov_b32_e32 v5, v9
	;; [unrolled: 1-line block ×6, first 2 shown]
.LBB1_47:
	s_or_b64 exec, exec, s[4:5]
	s_waitcnt lgkmcnt(0)
	v_cmp_neq_f64_e32 vcc, 0, v[13:14]
	ds_bpermute_b32 v3, v22, v1
	ds_bpermute_b32 v4, v22, v2
	;; [unrolled: 1-line block ×6, first 2 shown]
	s_and_saveexec_b64 s[4:5], vcc
	s_cbranch_execz .LBB1_51
; %bb.48:
	s_waitcnt lgkmcnt(0)
	v_cmp_neq_f64_e32 vcc, 0, v[9:10]
	s_and_saveexec_b64 s[8:9], vcc
	s_cbranch_execz .LBB1_50
; %bb.49:
	v_add_f64 v[11:12], v[13:14], v[9:10]
	v_add_f64 v[3:4], v[3:4], -v[1:2]
	v_add_f64 v[5:6], v[5:6], v[7:8]
	v_div_scale_f64 v[16:17], s[12:13], v[11:12], v[11:12], v[9:10]
	v_rcp_f64_e32 v[20:21], v[16:17]
	v_fma_f64 v[22:23], -v[16:17], v[20:21], 1.0
	v_fma_f64 v[20:21], v[20:21], v[22:23], v[20:21]
	v_div_scale_f64 v[22:23], vcc, v[9:10], v[11:12], v[9:10]
	v_fma_f64 v[24:25], -v[16:17], v[20:21], 1.0
	v_fma_f64 v[20:21], v[20:21], v[24:25], v[20:21]
	v_mul_f64 v[24:25], v[22:23], v[20:21]
	v_fma_f64 v[16:17], -v[16:17], v[24:25], v[22:23]
	v_div_fmas_f64 v[16:17], v[16:17], v[20:21], v[24:25]
	v_mul_f64 v[20:21], v[3:4], v[3:4]
	v_div_fixup_f64 v[7:8], v[16:17], v[11:12], v[9:10]
	v_mul_f64 v[9:10], v[13:14], v[20:21]
	v_mov_b32_e32 v14, v12
	v_mov_b32_e32 v13, v11
	v_fma_f64 v[1:2], v[3:4], v[7:8], v[1:2]
	v_fma_f64 v[5:6], v[9:10], v[7:8], v[5:6]
.LBB1_50:
	s_or_b64 exec, exec, s[8:9]
	v_mov_b32_e32 v9, v13
	v_mov_b32_e32 v8, v6
	;; [unrolled: 1-line block ×6, first 2 shown]
.LBB1_51:
	s_or_b64 exec, exec, s[4:5]
	s_waitcnt lgkmcnt(0)
	v_cmp_neq_f64_e32 vcc, 0, v[9:10]
	ds_bpermute_b32 v1, v18, v3
	ds_bpermute_b32 v2, v18, v4
	;; [unrolled: 1-line block ×6, first 2 shown]
	s_and_saveexec_b64 s[4:5], vcc
	s_cbranch_execz .LBB1_55
; %bb.52:
	s_waitcnt lgkmcnt(0)
	v_cmp_neq_f64_e32 vcc, 0, v[13:14]
	s_and_saveexec_b64 s[8:9], vcc
	s_cbranch_execz .LBB1_54
; %bb.53:
	v_add_f64 v[11:12], v[9:10], v[13:14]
	v_add_f64 v[1:2], v[1:2], -v[3:4]
	v_add_f64 v[5:6], v[7:8], v[5:6]
	v_div_scale_f64 v[16:17], s[12:13], v[11:12], v[11:12], v[13:14]
	v_rcp_f64_e32 v[20:21], v[16:17]
	v_fma_f64 v[22:23], -v[16:17], v[20:21], 1.0
	v_fma_f64 v[20:21], v[20:21], v[22:23], v[20:21]
	v_div_scale_f64 v[22:23], vcc, v[13:14], v[11:12], v[13:14]
	v_fma_f64 v[24:25], -v[16:17], v[20:21], 1.0
	v_fma_f64 v[20:21], v[20:21], v[24:25], v[20:21]
	v_mul_f64 v[24:25], v[22:23], v[20:21]
	v_fma_f64 v[16:17], -v[16:17], v[24:25], v[22:23]
	v_div_fmas_f64 v[16:17], v[16:17], v[20:21], v[24:25]
	v_mul_f64 v[20:21], v[1:2], v[1:2]
	v_mul_f64 v[9:10], v[9:10], v[20:21]
	v_div_fixup_f64 v[7:8], v[16:17], v[11:12], v[13:14]
	v_fma_f64 v[3:4], v[1:2], v[7:8], v[3:4]
	v_fma_f64 v[7:8], v[9:10], v[7:8], v[5:6]
	v_mov_b32_e32 v9, v11
	v_mov_b32_e32 v10, v12
.LBB1_54:
	s_or_b64 exec, exec, s[8:9]
	v_mov_b32_e32 v14, v10
	v_mov_b32_e32 v5, v7
	v_mov_b32_e32 v1, v3
	v_mov_b32_e32 v13, v9
	v_mov_b32_e32 v6, v8
	v_mov_b32_e32 v2, v4
.LBB1_55:
	s_or_b64 exec, exec, s[4:5]
	s_waitcnt lgkmcnt(0)
	v_cmp_neq_f64_e32 vcc, 0, v[13:14]
	ds_bpermute_b32 v7, v19, v1
	ds_bpermute_b32 v8, v19, v2
	;; [unrolled: 1-line block ×6, first 2 shown]
	s_and_saveexec_b64 s[4:5], vcc
	s_cbranch_execz .LBB1_59
; %bb.56:
	s_waitcnt lgkmcnt(0)
	v_cmp_neq_f64_e32 vcc, 0, v[11:12]
	s_and_saveexec_b64 s[8:9], vcc
	s_cbranch_execz .LBB1_58
; %bb.57:
	v_add_f64 v[3:4], v[13:14], v[11:12]
	v_add_f64 v[7:8], v[7:8], -v[1:2]
	v_add_f64 v[5:6], v[5:6], v[9:10]
	v_div_scale_f64 v[16:17], s[12:13], v[3:4], v[3:4], v[11:12]
	v_rcp_f64_e32 v[18:19], v[16:17]
	v_fma_f64 v[20:21], -v[16:17], v[18:19], 1.0
	v_fma_f64 v[18:19], v[18:19], v[20:21], v[18:19]
	v_div_scale_f64 v[20:21], vcc, v[11:12], v[3:4], v[11:12]
	v_fma_f64 v[22:23], -v[16:17], v[18:19], 1.0
	v_fma_f64 v[18:19], v[18:19], v[22:23], v[18:19]
	v_mul_f64 v[22:23], v[20:21], v[18:19]
	v_fma_f64 v[16:17], -v[16:17], v[22:23], v[20:21]
	v_div_fmas_f64 v[16:17], v[16:17], v[18:19], v[22:23]
	v_mul_f64 v[18:19], v[7:8], v[7:8]
	v_div_fixup_f64 v[9:10], v[16:17], v[3:4], v[11:12]
	v_mul_f64 v[11:12], v[13:14], v[18:19]
	v_mov_b32_e32 v14, v4
	v_mov_b32_e32 v13, v3
	v_fma_f64 v[1:2], v[7:8], v[9:10], v[1:2]
	v_fma_f64 v[5:6], v[11:12], v[9:10], v[5:6]
.LBB1_58:
	s_or_b64 exec, exec, s[8:9]
	v_mov_b32_e32 v11, v13
	v_mov_b32_e32 v10, v6
	;; [unrolled: 1-line block ×6, first 2 shown]
.LBB1_59:
	s_or_b64 exec, exec, s[4:5]
	s_waitcnt lgkmcnt(0)
	v_cmp_neq_f64_e32 vcc, 0, v[11:12]
	ds_bpermute_b32 v1, v15, v7
	ds_bpermute_b32 v2, v15, v8
	;; [unrolled: 1-line block ×6, first 2 shown]
	s_and_saveexec_b64 s[4:5], vcc
	s_cbranch_execz .LBB1_63
; %bb.60:
	s_waitcnt lgkmcnt(0)
	v_cmp_neq_f64_e32 vcc, 0, v[5:6]
	s_and_saveexec_b64 s[8:9], vcc
	s_cbranch_execz .LBB1_62
; %bb.61:
	v_add_f64 v[13:14], v[11:12], v[5:6]
	v_add_f64 v[1:2], v[1:2], -v[7:8]
	v_add_f64 v[3:4], v[9:10], v[3:4]
	v_div_scale_f64 v[15:16], s[12:13], v[13:14], v[13:14], v[5:6]
	v_rcp_f64_e32 v[17:18], v[15:16]
	v_fma_f64 v[19:20], -v[15:16], v[17:18], 1.0
	v_fma_f64 v[17:18], v[17:18], v[19:20], v[17:18]
	v_div_scale_f64 v[19:20], vcc, v[5:6], v[13:14], v[5:6]
	v_fma_f64 v[21:22], -v[15:16], v[17:18], 1.0
	v_fma_f64 v[17:18], v[17:18], v[21:22], v[17:18]
	v_mul_f64 v[21:22], v[19:20], v[17:18]
	v_fma_f64 v[15:16], -v[15:16], v[21:22], v[19:20]
	v_div_fmas_f64 v[15:16], v[15:16], v[17:18], v[21:22]
	v_mul_f64 v[17:18], v[1:2], v[1:2]
	v_mul_f64 v[9:10], v[11:12], v[17:18]
	v_mov_b32_e32 v11, v13
	v_mov_b32_e32 v12, v14
	v_div_fixup_f64 v[5:6], v[15:16], v[13:14], v[5:6]
	v_fma_f64 v[7:8], v[1:2], v[5:6], v[7:8]
	v_fma_f64 v[9:10], v[9:10], v[5:6], v[3:4]
.LBB1_62:
	s_or_b64 exec, exec, s[8:9]
	v_mov_b32_e32 v5, v11
	v_mov_b32_e32 v3, v9
	;; [unrolled: 1-line block ×6, first 2 shown]
.LBB1_63:
	s_or_b64 exec, exec, s[4:5]
	s_or_b64 exec, exec, s[0:1]
	v_cmp_eq_u32_e32 vcc, 0, v0
	s_and_saveexec_b64 s[0:1], vcc
	s_cbranch_execz .LBB1_37
.LBB1_64:
	s_waitcnt lgkmcnt(0)
	v_max_f64 v[5:6], v[5:6], v[5:6]
	v_mov_b32_e32 v0, 0x180
	v_max_f64 v[5:6], v[5:6], 0
	v_div_scale_f64 v[7:8], s[0:1], v[5:6], v[5:6], v[3:4]
	s_mov_b32 s0, 0
	s_mov_b32 s1, 0x3fd80000
	v_rcp_f64_e32 v[9:10], v[7:8]
	v_fma_f64 v[11:12], -v[7:8], v[9:10], 1.0
	v_fma_f64 v[9:10], v[9:10], v[11:12], v[9:10]
	v_div_scale_f64 v[11:12], vcc, v[3:4], v[5:6], v[3:4]
	v_fma_f64 v[13:14], -v[7:8], v[9:10], 1.0
	v_fma_f64 v[9:10], v[9:10], v[13:14], v[9:10]
	v_mul_f64 v[13:14], v[11:12], v[9:10]
	v_fma_f64 v[7:8], -v[7:8], v[13:14], v[11:12]
	v_div_fmas_f64 v[7:8], v[7:8], v[9:10], v[13:14]
	v_div_fixup_f64 v[3:4], v[7:8], v[5:6], v[3:4]
	v_add_f64 v[3:4], s[10:11], v[3:4]
	v_rsq_f64_e32 v[5:6], v[3:4]
	v_mul_f64 v[3:4], v[5:6], -v[3:4]
	v_cmp_class_f64_e32 vcc, v[5:6], v0
	v_fma_f64 v[3:4], v[3:4], v[5:6], 1.0
	v_mul_f64 v[7:8], v[5:6], v[3:4]
	v_fma_f64 v[3:4], v[3:4], s[0:1], 0.5
	s_lshl_b64 s[0:1], s[6:7], 3
	s_add_u32 s4, s14, s0
	s_addc_u32 s5, s15, s1
	s_add_u32 s0, s2, s0
	s_addc_u32 s1, s3, s1
	v_fma_f64 v[3:4], v[7:8], v[3:4], v[5:6]
	v_mov_b32_e32 v7, 0
	global_store_dwordx2 v7, v[1:2], s[4:5]
	v_cndmask_b32_e32 v1, v6, v4, vcc
	v_cndmask_b32_e32 v0, v5, v3, vcc
	global_store_dwordx2 v7, v[0:1], s[0:1]
	s_endpgm
	.section	.rodata,"a",@progbits
	.p2align	6, 0x0
	.amdhsa_kernel _ZN2at6native12_GLOBAL__N_124RowwiseMomentsCUDAKernelIddLb0EEEvlT0_PKT_PS3_S7_
		.amdhsa_group_segment_fixed_size 2048
		.amdhsa_private_segment_fixed_size 0
		.amdhsa_kernarg_size 296
		.amdhsa_user_sgpr_count 6
		.amdhsa_user_sgpr_private_segment_buffer 1
		.amdhsa_user_sgpr_dispatch_ptr 0
		.amdhsa_user_sgpr_queue_ptr 0
		.amdhsa_user_sgpr_kernarg_segment_ptr 1
		.amdhsa_user_sgpr_dispatch_id 0
		.amdhsa_user_sgpr_flat_scratch_init 0
		.amdhsa_user_sgpr_private_segment_size 0
		.amdhsa_uses_dynamic_stack 0
		.amdhsa_system_sgpr_private_segment_wavefront_offset 0
		.amdhsa_system_sgpr_workgroup_id_x 1
		.amdhsa_system_sgpr_workgroup_id_y 0
		.amdhsa_system_sgpr_workgroup_id_z 0
		.amdhsa_system_sgpr_workgroup_info 0
		.amdhsa_system_vgpr_workitem_id 0
		.amdhsa_next_free_vgpr 31
		.amdhsa_next_free_sgpr 61
		.amdhsa_reserve_vcc 1
		.amdhsa_reserve_flat_scratch 0
		.amdhsa_float_round_mode_32 0
		.amdhsa_float_round_mode_16_64 0
		.amdhsa_float_denorm_mode_32 3
		.amdhsa_float_denorm_mode_16_64 3
		.amdhsa_dx10_clamp 1
		.amdhsa_ieee_mode 1
		.amdhsa_fp16_overflow 0
		.amdhsa_exception_fp_ieee_invalid_op 0
		.amdhsa_exception_fp_denorm_src 0
		.amdhsa_exception_fp_ieee_div_zero 0
		.amdhsa_exception_fp_ieee_overflow 0
		.amdhsa_exception_fp_ieee_underflow 0
		.amdhsa_exception_fp_ieee_inexact 0
		.amdhsa_exception_int_div_zero 0
	.end_amdhsa_kernel
	.section	.text._ZN2at6native12_GLOBAL__N_124RowwiseMomentsCUDAKernelIddLb0EEEvlT0_PKT_PS3_S7_,"axG",@progbits,_ZN2at6native12_GLOBAL__N_124RowwiseMomentsCUDAKernelIddLb0EEEvlT0_PKT_PS3_S7_,comdat
.Lfunc_end1:
	.size	_ZN2at6native12_GLOBAL__N_124RowwiseMomentsCUDAKernelIddLb0EEEvlT0_PKT_PS3_S7_, .Lfunc_end1-_ZN2at6native12_GLOBAL__N_124RowwiseMomentsCUDAKernelIddLb0EEEvlT0_PKT_PS3_S7_
                                        ; -- End function
	.set _ZN2at6native12_GLOBAL__N_124RowwiseMomentsCUDAKernelIddLb0EEEvlT0_PKT_PS3_S7_.num_vgpr, 31
	.set _ZN2at6native12_GLOBAL__N_124RowwiseMomentsCUDAKernelIddLb0EEEvlT0_PKT_PS3_S7_.num_agpr, 0
	.set _ZN2at6native12_GLOBAL__N_124RowwiseMomentsCUDAKernelIddLb0EEEvlT0_PKT_PS3_S7_.numbered_sgpr, 22
	.set _ZN2at6native12_GLOBAL__N_124RowwiseMomentsCUDAKernelIddLb0EEEvlT0_PKT_PS3_S7_.num_named_barrier, 0
	.set _ZN2at6native12_GLOBAL__N_124RowwiseMomentsCUDAKernelIddLb0EEEvlT0_PKT_PS3_S7_.private_seg_size, 0
	.set _ZN2at6native12_GLOBAL__N_124RowwiseMomentsCUDAKernelIddLb0EEEvlT0_PKT_PS3_S7_.uses_vcc, 1
	.set _ZN2at6native12_GLOBAL__N_124RowwiseMomentsCUDAKernelIddLb0EEEvlT0_PKT_PS3_S7_.uses_flat_scratch, 0
	.set _ZN2at6native12_GLOBAL__N_124RowwiseMomentsCUDAKernelIddLb0EEEvlT0_PKT_PS3_S7_.has_dyn_sized_stack, 0
	.set _ZN2at6native12_GLOBAL__N_124RowwiseMomentsCUDAKernelIddLb0EEEvlT0_PKT_PS3_S7_.has_recursion, 0
	.set _ZN2at6native12_GLOBAL__N_124RowwiseMomentsCUDAKernelIddLb0EEEvlT0_PKT_PS3_S7_.has_indirect_call, 0
	.section	.AMDGPU.csdata,"",@progbits
; Kernel info:
; codeLenInByte = 4276
; TotalNumSgprs: 26
; NumVgprs: 31
; ScratchSize: 0
; MemoryBound: 0
; FloatMode: 240
; IeeeMode: 1
; LDSByteSize: 2048 bytes/workgroup (compile time only)
; SGPRBlocks: 8
; VGPRBlocks: 7
; NumSGPRsForWavesPerEU: 65
; NumVGPRsForWavesPerEU: 31
; Occupancy: 8
; WaveLimiterHint : 0
; COMPUTE_PGM_RSRC2:SCRATCH_EN: 0
; COMPUTE_PGM_RSRC2:USER_SGPR: 6
; COMPUTE_PGM_RSRC2:TRAP_HANDLER: 0
; COMPUTE_PGM_RSRC2:TGID_X_EN: 1
; COMPUTE_PGM_RSRC2:TGID_Y_EN: 0
; COMPUTE_PGM_RSRC2:TGID_Z_EN: 0
; COMPUTE_PGM_RSRC2:TIDIG_COMP_CNT: 0
	.section	.text._ZN2at6native12_GLOBAL__N_126LayerNormForwardCUDAKernelIddLb0EEEvlPKT_PKT0_S8_S5_S5_PS3_,"axG",@progbits,_ZN2at6native12_GLOBAL__N_126LayerNormForwardCUDAKernelIddLb0EEEvlPKT_PKT0_S8_S5_S5_PS3_,comdat
	.globl	_ZN2at6native12_GLOBAL__N_126LayerNormForwardCUDAKernelIddLb0EEEvlPKT_PKT0_S8_S5_S5_PS3_ ; -- Begin function _ZN2at6native12_GLOBAL__N_126LayerNormForwardCUDAKernelIddLb0EEEvlPKT_PKT0_S8_S5_S5_PS3_
	.p2align	8
	.type	_ZN2at6native12_GLOBAL__N_126LayerNormForwardCUDAKernelIddLb0EEEvlPKT_PKT0_S8_S5_S5_PS3_,@function
_ZN2at6native12_GLOBAL__N_126LayerNormForwardCUDAKernelIddLb0EEEvlPKT_PKT0_S8_S5_S5_PS3_: ; @_ZN2at6native12_GLOBAL__N_126LayerNormForwardCUDAKernelIddLb0EEEvlPKT_PKT0_S8_S5_S5_PS3_
; %bb.0:
	s_load_dwordx8 s[8:15], s[4:5], 0x0
	v_mov_b32_e32 v1, 0
	s_waitcnt lgkmcnt(0)
	v_cmp_gt_i64_e32 vcc, s[8:9], v[0:1]
	s_and_saveexec_b64 s[0:1], vcc
	s_cbranch_execz .LBB2_8
; %bb.1:
	s_load_dwordx8 s[16:23], s[4:5], 0x20
	s_mov_b32 s7, 0
	s_load_dword s4, s[4:5], 0x44
	s_mul_hi_u32 s5, s8, s6
	s_waitcnt lgkmcnt(0)
	s_mov_b64 s[22:23], 0
	s_cmp_lg_u64 s[16:17], 0
	s_cselect_b64 s[0:1], -1, 0
	s_cmp_lg_u64 s[18:19], 0
	s_cselect_b64 s[2:3], -1, 0
	s_lshl_b64 s[24:25], s[6:7], 3
	s_add_u32 s12, s12, s24
	s_addc_u32 s13, s13, s25
	s_add_u32 s14, s14, s24
	s_addc_u32 s15, s15, s25
	s_and_b32 s7, s4, 0xffff
	s_mul_i32 s4, s9, s6
	s_add_i32 s5, s5, s4
	s_mul_i32 s4, s8, s6
	s_lshl_b64 s[4:5], s[4:5], 3
	s_add_u32 s6, s10, s4
	s_addc_u32 s24, s11, s5
	s_lshl_b32 s10, s7, 3
	s_add_u32 s11, s20, s4
	v_cndmask_b32_e64 v2, 0, 1, s[0:1]
	v_cndmask_b32_e64 v3, 0, 1, s[2:3]
	s_addc_u32 s4, s21, s5
	v_cmp_ne_u32_e64 s[0:1], 1, v2
	v_cmp_ne_u32_e64 s[2:3], 1, v3
	v_mov_b32_e32 v3, v1
	v_lshlrev_b32_e32 v8, 3, v0
	v_mov_b32_e32 v9, v1
	v_mov_b32_e32 v10, s24
	;; [unrolled: 1-line block ×4, first 2 shown]
	s_branch .LBB2_4
.LBB2_2:                                ;   in Loop: Header=BB2_4 Depth=1
	v_mov_b32_e32 v0, s19
	v_add_co_u32_e32 v6, vcc, s18, v8
	v_addc_co_u32_e32 v7, vcc, v0, v9, vcc
	global_load_dwordx2 v[6:7], v[6:7], off
.LBB2_3:                                ;   in Loop: Header=BB2_4 Depth=1
	v_add_co_u32_e32 v12, vcc, s6, v8
	v_addc_co_u32_e32 v13, vcc, v10, v9, vcc
	global_load_dwordx2 v[14:15], v[12:13], off
	global_load_dwordx2 v[16:17], v1, s[12:13]
	global_load_dwordx2 v[18:19], v1, s[14:15]
	v_add_co_u32_e32 v2, vcc, s7, v2
	v_addc_co_u32_e32 v3, vcc, 0, v3, vcc
	v_cmp_le_i64_e32 vcc, s[8:9], v[2:3]
	s_or_b64 s[22:23], vcc, s[22:23]
	s_waitcnt vmcnt(1)
	v_add_f64 v[12:13], v[14:15], -v[16:17]
	s_waitcnt vmcnt(0)
	v_mul_f64 v[12:13], v[12:13], v[18:19]
	v_fma_f64 v[4:5], v[4:5], v[12:13], v[6:7]
	v_add_co_u32_e64 v6, s[4:5], s11, v8
	v_add_co_u32_e32 v8, vcc, s10, v8
	v_addc_co_u32_e64 v7, s[4:5], v11, v9, s[4:5]
	v_addc_co_u32_e32 v9, vcc, 0, v9, vcc
	global_store_dwordx2 v[6:7], v[4:5], off
	s_andn2_b64 exec, exec, s[22:23]
	s_cbranch_execz .LBB2_8
.LBB2_4:                                ; =>This Inner Loop Header: Depth=1
	s_and_b64 vcc, exec, s[0:1]
	s_cbranch_vccnz .LBB2_6
; %bb.5:                                ;   in Loop: Header=BB2_4 Depth=1
	v_mov_b32_e32 v0, s17
	v_add_co_u32_e32 v4, vcc, s16, v8
	v_addc_co_u32_e32 v5, vcc, v0, v9, vcc
	global_load_dwordx2 v[4:5], v[4:5], off
	s_and_b64 vcc, exec, s[2:3]
	s_cbranch_vccz .LBB2_2
	s_branch .LBB2_7
.LBB2_6:                                ;   in Loop: Header=BB2_4 Depth=1
	v_mov_b32_e32 v4, 0
	v_mov_b32_e32 v5, 0x3ff00000
	s_and_b64 vcc, exec, s[2:3]
	s_cbranch_vccz .LBB2_2
.LBB2_7:                                ;   in Loop: Header=BB2_4 Depth=1
	v_mov_b32_e32 v6, 0
	v_mov_b32_e32 v7, 0
	s_branch .LBB2_3
.LBB2_8:
	s_endpgm
	.section	.rodata,"a",@progbits
	.p2align	6, 0x0
	.amdhsa_kernel _ZN2at6native12_GLOBAL__N_126LayerNormForwardCUDAKernelIddLb0EEEvlPKT_PKT0_S8_S5_S5_PS3_
		.amdhsa_group_segment_fixed_size 0
		.amdhsa_private_segment_fixed_size 0
		.amdhsa_kernarg_size 312
		.amdhsa_user_sgpr_count 6
		.amdhsa_user_sgpr_private_segment_buffer 1
		.amdhsa_user_sgpr_dispatch_ptr 0
		.amdhsa_user_sgpr_queue_ptr 0
		.amdhsa_user_sgpr_kernarg_segment_ptr 1
		.amdhsa_user_sgpr_dispatch_id 0
		.amdhsa_user_sgpr_flat_scratch_init 0
		.amdhsa_user_sgpr_private_segment_size 0
		.amdhsa_uses_dynamic_stack 0
		.amdhsa_system_sgpr_private_segment_wavefront_offset 0
		.amdhsa_system_sgpr_workgroup_id_x 1
		.amdhsa_system_sgpr_workgroup_id_y 0
		.amdhsa_system_sgpr_workgroup_id_z 0
		.amdhsa_system_sgpr_workgroup_info 0
		.amdhsa_system_vgpr_workitem_id 0
		.amdhsa_next_free_vgpr 20
		.amdhsa_next_free_sgpr 26
		.amdhsa_reserve_vcc 1
		.amdhsa_reserve_flat_scratch 0
		.amdhsa_float_round_mode_32 0
		.amdhsa_float_round_mode_16_64 0
		.amdhsa_float_denorm_mode_32 3
		.amdhsa_float_denorm_mode_16_64 3
		.amdhsa_dx10_clamp 1
		.amdhsa_ieee_mode 1
		.amdhsa_fp16_overflow 0
		.amdhsa_exception_fp_ieee_invalid_op 0
		.amdhsa_exception_fp_denorm_src 0
		.amdhsa_exception_fp_ieee_div_zero 0
		.amdhsa_exception_fp_ieee_overflow 0
		.amdhsa_exception_fp_ieee_underflow 0
		.amdhsa_exception_fp_ieee_inexact 0
		.amdhsa_exception_int_div_zero 0
	.end_amdhsa_kernel
	.section	.text._ZN2at6native12_GLOBAL__N_126LayerNormForwardCUDAKernelIddLb0EEEvlPKT_PKT0_S8_S5_S5_PS3_,"axG",@progbits,_ZN2at6native12_GLOBAL__N_126LayerNormForwardCUDAKernelIddLb0EEEvlPKT_PKT0_S8_S5_S5_PS3_,comdat
.Lfunc_end2:
	.size	_ZN2at6native12_GLOBAL__N_126LayerNormForwardCUDAKernelIddLb0EEEvlPKT_PKT0_S8_S5_S5_PS3_, .Lfunc_end2-_ZN2at6native12_GLOBAL__N_126LayerNormForwardCUDAKernelIddLb0EEEvlPKT_PKT0_S8_S5_S5_PS3_
                                        ; -- End function
	.set _ZN2at6native12_GLOBAL__N_126LayerNormForwardCUDAKernelIddLb0EEEvlPKT_PKT0_S8_S5_S5_PS3_.num_vgpr, 20
	.set _ZN2at6native12_GLOBAL__N_126LayerNormForwardCUDAKernelIddLb0EEEvlPKT_PKT0_S8_S5_S5_PS3_.num_agpr, 0
	.set _ZN2at6native12_GLOBAL__N_126LayerNormForwardCUDAKernelIddLb0EEEvlPKT_PKT0_S8_S5_S5_PS3_.numbered_sgpr, 26
	.set _ZN2at6native12_GLOBAL__N_126LayerNormForwardCUDAKernelIddLb0EEEvlPKT_PKT0_S8_S5_S5_PS3_.num_named_barrier, 0
	.set _ZN2at6native12_GLOBAL__N_126LayerNormForwardCUDAKernelIddLb0EEEvlPKT_PKT0_S8_S5_S5_PS3_.private_seg_size, 0
	.set _ZN2at6native12_GLOBAL__N_126LayerNormForwardCUDAKernelIddLb0EEEvlPKT_PKT0_S8_S5_S5_PS3_.uses_vcc, 1
	.set _ZN2at6native12_GLOBAL__N_126LayerNormForwardCUDAKernelIddLb0EEEvlPKT_PKT0_S8_S5_S5_PS3_.uses_flat_scratch, 0
	.set _ZN2at6native12_GLOBAL__N_126LayerNormForwardCUDAKernelIddLb0EEEvlPKT_PKT0_S8_S5_S5_PS3_.has_dyn_sized_stack, 0
	.set _ZN2at6native12_GLOBAL__N_126LayerNormForwardCUDAKernelIddLb0EEEvlPKT_PKT0_S8_S5_S5_PS3_.has_recursion, 0
	.set _ZN2at6native12_GLOBAL__N_126LayerNormForwardCUDAKernelIddLb0EEEvlPKT_PKT0_S8_S5_S5_PS3_.has_indirect_call, 0
	.section	.AMDGPU.csdata,"",@progbits
; Kernel info:
; codeLenInByte = 416
; TotalNumSgprs: 30
; NumVgprs: 20
; ScratchSize: 0
; MemoryBound: 0
; FloatMode: 240
; IeeeMode: 1
; LDSByteSize: 0 bytes/workgroup (compile time only)
; SGPRBlocks: 3
; VGPRBlocks: 4
; NumSGPRsForWavesPerEU: 30
; NumVGPRsForWavesPerEU: 20
; Occupancy: 10
; WaveLimiterHint : 0
; COMPUTE_PGM_RSRC2:SCRATCH_EN: 0
; COMPUTE_PGM_RSRC2:USER_SGPR: 6
; COMPUTE_PGM_RSRC2:TRAP_HANDLER: 0
; COMPUTE_PGM_RSRC2:TGID_X_EN: 1
; COMPUTE_PGM_RSRC2:TGID_Y_EN: 0
; COMPUTE_PGM_RSRC2:TGID_Z_EN: 0
; COMPUTE_PGM_RSRC2:TIDIG_COMP_CNT: 0
	.section	.text._ZN2at6native12_GLOBAL__N_128vectorized_layer_norm_kernelIffLb0EEEviT0_PKT_S6_S6_PS3_S7_PS4_,"axG",@progbits,_ZN2at6native12_GLOBAL__N_128vectorized_layer_norm_kernelIffLb0EEEviT0_PKT_S6_S6_PS3_S7_PS4_,comdat
	.globl	_ZN2at6native12_GLOBAL__N_128vectorized_layer_norm_kernelIffLb0EEEviT0_PKT_S6_S6_PS3_S7_PS4_ ; -- Begin function _ZN2at6native12_GLOBAL__N_128vectorized_layer_norm_kernelIffLb0EEEviT0_PKT_S6_S6_PS3_S7_PS4_
	.p2align	8
	.type	_ZN2at6native12_GLOBAL__N_128vectorized_layer_norm_kernelIffLb0EEEviT0_PKT_S6_S6_PS3_S7_PS4_,@function
_ZN2at6native12_GLOBAL__N_128vectorized_layer_norm_kernelIffLb0EEEviT0_PKT_S6_S6_PS3_S7_PS4_: ; @_ZN2at6native12_GLOBAL__N_128vectorized_layer_norm_kernelIffLb0EEEviT0_PKT_S6_S6_PS3_S7_PS4_
; %bb.0:
	s_load_dwordx4 s[16:19], s[4:5], 0x0
	s_load_dword s0, s[4:5], 0x44
	s_mov_b32 s7, 0
	v_mov_b32_e32 v14, 0
	v_mov_b32_e32 v9, 0
	s_waitcnt lgkmcnt(0)
	s_ashr_i32 s1, s16, 31
	s_lshr_b32 s12, s0, 16
	s_and_b32 s0, s0, 0xffff
	s_mul_i32 s20, s12, s0
	v_mul_u32_u24_e32 v2, s0, v1
	v_mad_u32_u24 v10, v1, s0, v0
	s_lshr_b32 s0, s1, 30
	s_add_i32 s0, s16, s0
	s_mul_hi_u32 s2, s16, s6
	s_mul_i32 s3, s1, s6
	s_ashr_i32 s26, s0, 2
	s_add_i32 s23, s2, s3
	s_mul_i32 s22, s16, s6
	v_cmp_gt_i32_e64 s[0:1], s26, v10
	v_add_lshl_u32 v11, v2, v0, 4
	v_mov_b32_e32 v8, 0
	s_and_saveexec_b64 s[2:3], s[0:1]
	s_cbranch_execz .LBB3_4
; %bb.1:
	s_lshl_b64 s[8:9], s[22:23], 2
	s_add_u32 s8, s18, s8
	s_addc_u32 s9, s19, s9
	v_mov_b32_e32 v2, s9
	v_add_co_u32_e32 v3, vcc, s8, v11
	v_addc_co_u32_e32 v2, vcc, 0, v2, vcc
	s_ashr_i32 s21, s20, 31
	v_add_co_u32_e32 v6, vcc, 8, v3
	s_lshl_b64 s[10:11], s[20:21], 4
	v_mov_b32_e32 v14, 0
	v_addc_co_u32_e32 v7, vcc, 0, v2, vcc
	s_mov_b64 s[8:9], 0
	v_mov_b32_e32 v12, s11
	v_mov_b32_e32 v13, v10
	;; [unrolled: 1-line block ×4, first 2 shown]
.LBB3_2:                                ; =>This Inner Loop Header: Depth=1
	global_load_dwordx4 v[2:5], v[6:7], off offset:-8
	v_add_f32_e32 v14, 1.0, v14
	v_div_scale_f32 v16, s[14:15], v14, v14, 1.0
	v_add_u32_e32 v13, s20, v13
	v_rcp_f32_e32 v17, v16
	v_fma_f32 v18, -v16, v17, 1.0
	v_fmac_f32_e32 v17, v18, v17
	v_div_scale_f32 v18, vcc, 1.0, v14, 1.0
	v_mul_f32_e32 v19, v18, v17
	v_fma_f32 v20, -v16, v19, v18
	v_fmac_f32_e32 v19, v20, v17
	v_fma_f32 v16, -v16, v19, v18
	v_div_fmas_f32 v16, v16, v17, v19
	v_div_fixup_f32 v16, v16, v14, 1.0
	v_add_f32_e32 v14, 1.0, v14
	s_waitcnt vmcnt(0)
	v_sub_f32_e32 v15, v2, v8
	v_fmac_f32_e32 v8, v16, v15
	v_sub_f32_e32 v2, v2, v8
	v_fmac_f32_e32 v9, v15, v2
	v_div_scale_f32 v15, s[14:15], v14, v14, 1.0
	v_sub_f32_e32 v2, v3, v8
	v_rcp_f32_e32 v16, v15
	v_fma_f32 v17, -v15, v16, 1.0
	v_fmac_f32_e32 v16, v17, v16
	v_div_scale_f32 v17, vcc, 1.0, v14, 1.0
	v_mul_f32_e32 v18, v17, v16
	v_fma_f32 v19, -v15, v18, v17
	v_fmac_f32_e32 v18, v19, v16
	v_fma_f32 v15, -v15, v18, v17
	v_div_fmas_f32 v15, v15, v16, v18
	v_div_fixup_f32 v15, v15, v14, 1.0
	v_fmac_f32_e32 v8, v15, v2
	v_sub_f32_e32 v3, v3, v8
	v_fmac_f32_e32 v9, v2, v3
	v_add_f32_e32 v3, 1.0, v14
	v_div_scale_f32 v14, s[14:15], v3, v3, 1.0
	v_sub_f32_e32 v2, v4, v8
	v_rcp_f32_e32 v15, v14
	v_fma_f32 v16, -v14, v15, 1.0
	v_fmac_f32_e32 v15, v16, v15
	v_div_scale_f32 v16, vcc, 1.0, v3, 1.0
	v_mul_f32_e32 v17, v16, v15
	v_fma_f32 v18, -v14, v17, v16
	v_fmac_f32_e32 v17, v18, v15
	v_fma_f32 v14, -v14, v17, v16
	v_div_fmas_f32 v14, v14, v15, v17
	v_div_fixup_f32 v14, v14, v3, 1.0
	v_fmac_f32_e32 v8, v14, v2
	v_add_f32_e32 v14, 1.0, v3
	v_div_scale_f32 v3, s[14:15], v14, v14, 1.0
	v_sub_f32_e32 v4, v4, v8
	v_fmac_f32_e32 v9, v2, v4
	v_sub_f32_e32 v2, v5, v8
	v_rcp_f32_e32 v4, v3
	v_fma_f32 v15, -v3, v4, 1.0
	v_fmac_f32_e32 v4, v15, v4
	v_div_scale_f32 v15, vcc, 1.0, v14, 1.0
	v_mul_f32_e32 v16, v15, v4
	v_fma_f32 v17, -v3, v16, v15
	v_fmac_f32_e32 v16, v17, v4
	v_fma_f32 v3, -v3, v16, v15
	v_div_fmas_f32 v3, v3, v4, v16
	v_add_co_u32_e32 v6, vcc, s10, v6
	v_addc_co_u32_e32 v7, vcc, v7, v12, vcc
	v_cmp_le_i32_e32 vcc, s26, v13
	s_or_b64 s[8:9], vcc, s[8:9]
	v_div_fixup_f32 v3, v3, v14, 1.0
	v_fmac_f32_e32 v8, v3, v2
	v_sub_f32_e32 v3, v5, v8
	v_fmac_f32_e32 v9, v2, v3
	s_andn2_b64 exec, exec, s[8:9]
	s_cbranch_execnz .LBB3_2
; %bb.3:
	s_or_b64 exec, exec, s[8:9]
.LBB3_4:
	s_or_b64 exec, exec, s[2:3]
	v_mbcnt_lo_u32_b32 v2, -1, 0
	v_mbcnt_hi_u32_b32 v3, -1, v2
	v_lshlrev_b32_e32 v2, 2, v3
	v_or_b32_e32 v6, 0x80, v2
	ds_bpermute_b32 v7, v6, v14
	ds_bpermute_b32 v5, v6, v8
	;; [unrolled: 1-line block ×3, first 2 shown]
	v_mov_b32_e32 v4, 0
	v_mov_b32_e32 v12, 0
	s_waitcnt lgkmcnt(2)
	v_add_f32_e32 v6, v14, v7
	v_cmp_lt_f32_e32 vcc, 0, v6
	v_mov_b32_e32 v13, 0
	s_and_saveexec_b64 s[2:3], vcc
	s_cbranch_execz .LBB3_6
; %bb.5:
	v_div_scale_f32 v12, s[8:9], v6, v6, 1.0
	v_div_scale_f32 v13, vcc, 1.0, v6, 1.0
	v_rcp_f32_e32 v16, v12
	v_fma_f32 v17, -v12, v16, 1.0
	v_fmac_f32_e32 v16, v17, v16
	v_mul_f32_e32 v17, v13, v16
	v_fma_f32 v18, -v12, v17, v13
	v_fmac_f32_e32 v17, v18, v16
	v_fma_f32 v12, -v12, v17, v13
	v_div_fmas_f32 v13, v12, v16, v17
	s_waitcnt lgkmcnt(1)
	v_sub_f32_e32 v16, v8, v5
	s_waitcnt lgkmcnt(0)
	v_add_f32_e32 v12, v9, v15
	v_mul_f32_e32 v9, v16, v16
	v_mul_f32_e32 v9, v9, v7
	v_div_fixup_f32 v13, v13, v6, 1.0
	v_mul_f32_e32 v14, v14, v13
	v_mul_f32_e32 v7, v13, v7
	;; [unrolled: 1-line block ×3, first 2 shown]
	v_fmac_f32_e32 v13, v7, v5
	v_fmac_f32_e32 v12, v9, v14
.LBB3_6:
	s_or_b64 exec, exec, s[2:3]
	s_waitcnt lgkmcnt(1)
	v_and_b32_e32 v5, 63, v3
	v_cmp_gt_u32_e32 vcc, 48, v5
	v_cndmask_b32_e64 v7, 0, 16, vcc
	v_add_lshl_u32 v7, v7, v3, 2
	ds_bpermute_b32 v14, v7, v6
	ds_bpermute_b32 v8, v7, v13
	s_waitcnt lgkmcnt(2)
	ds_bpermute_b32 v15, v7, v12
	v_mov_b32_e32 v9, 0
	s_waitcnt lgkmcnt(2)
	v_add_f32_e32 v7, v6, v14
	v_cmp_lt_f32_e32 vcc, 0, v7
	s_and_saveexec_b64 s[2:3], vcc
	s_cbranch_execz .LBB3_8
; %bb.7:
	v_div_scale_f32 v4, s[8:9], v7, v7, 1.0
	v_div_scale_f32 v9, vcc, 1.0, v7, 1.0
	v_rcp_f32_e32 v16, v4
	v_fma_f32 v17, -v4, v16, 1.0
	v_fmac_f32_e32 v16, v17, v16
	v_mul_f32_e32 v17, v9, v16
	v_fma_f32 v18, -v4, v17, v9
	v_fmac_f32_e32 v17, v18, v16
	v_fma_f32 v4, -v4, v17, v9
	v_div_fmas_f32 v9, v4, v16, v17
	s_waitcnt lgkmcnt(1)
	v_sub_f32_e32 v16, v13, v8
	s_waitcnt lgkmcnt(0)
	v_add_f32_e32 v4, v12, v15
	v_mul_f32_e32 v12, v16, v16
	v_mul_f32_e32 v12, v12, v14
	v_div_fixup_f32 v9, v9, v7, 1.0
	v_mul_f32_e32 v6, v6, v9
	v_mul_f32_e32 v14, v9, v14
	;; [unrolled: 1-line block ×3, first 2 shown]
	v_fmac_f32_e32 v9, v14, v8
	v_fmac_f32_e32 v4, v12, v6
.LBB3_8:
	s_or_b64 exec, exec, s[2:3]
	v_cmp_gt_u32_e32 vcc, 56, v5
	v_cndmask_b32_e64 v6, 0, 8, vcc
	s_waitcnt lgkmcnt(1)
	v_add_lshl_u32 v8, v6, v3, 2
	s_waitcnt lgkmcnt(0)
	ds_bpermute_b32 v15, v8, v7
	ds_bpermute_b32 v14, v8, v9
	;; [unrolled: 1-line block ×3, first 2 shown]
	v_mov_b32_e32 v6, 0
	v_mov_b32_e32 v12, 0
	s_waitcnt lgkmcnt(2)
	v_add_f32_e32 v8, v7, v15
	v_cmp_lt_f32_e32 vcc, 0, v8
	v_mov_b32_e32 v13, 0
	s_and_saveexec_b64 s[2:3], vcc
	s_cbranch_execz .LBB3_10
; %bb.9:
	v_div_scale_f32 v12, s[8:9], v8, v8, 1.0
	v_div_scale_f32 v13, vcc, 1.0, v8, 1.0
	v_rcp_f32_e32 v17, v12
	v_fma_f32 v18, -v12, v17, 1.0
	v_fmac_f32_e32 v17, v18, v17
	v_mul_f32_e32 v18, v13, v17
	v_fma_f32 v19, -v12, v18, v13
	v_fmac_f32_e32 v18, v19, v17
	v_fma_f32 v12, -v12, v18, v13
	v_div_fmas_f32 v13, v12, v17, v18
	s_waitcnt lgkmcnt(1)
	v_sub_f32_e32 v17, v9, v14
	s_waitcnt lgkmcnt(0)
	v_add_f32_e32 v12, v4, v16
	v_mul_f32_e32 v4, v17, v17
	v_mul_f32_e32 v4, v4, v15
	v_div_fixup_f32 v13, v13, v8, 1.0
	v_mul_f32_e32 v7, v7, v13
	v_mul_f32_e32 v15, v13, v15
	;; [unrolled: 1-line block ×3, first 2 shown]
	v_fmac_f32_e32 v13, v15, v14
	v_fmac_f32_e32 v12, v4, v7
.LBB3_10:
	s_or_b64 exec, exec, s[2:3]
	v_cmp_gt_u32_e32 vcc, 60, v5
	v_cndmask_b32_e64 v4, 0, 4, vcc
	v_add_lshl_u32 v7, v4, v3, 2
	s_waitcnt lgkmcnt(1)
	ds_bpermute_b32 v14, v7, v8
	ds_bpermute_b32 v4, v7, v13
	;; [unrolled: 1-line block ×3, first 2 shown]
	v_mov_b32_e32 v9, 0
	s_waitcnt lgkmcnt(2)
	v_add_f32_e32 v7, v8, v14
	v_cmp_lt_f32_e32 vcc, 0, v7
	s_and_saveexec_b64 s[2:3], vcc
	s_cbranch_execz .LBB3_12
; %bb.11:
	v_div_scale_f32 v6, s[8:9], v7, v7, 1.0
	v_div_scale_f32 v9, vcc, 1.0, v7, 1.0
	v_rcp_f32_e32 v16, v6
	v_fma_f32 v17, -v6, v16, 1.0
	v_fmac_f32_e32 v16, v17, v16
	v_mul_f32_e32 v17, v9, v16
	v_fma_f32 v18, -v6, v17, v9
	v_fmac_f32_e32 v17, v18, v16
	v_fma_f32 v6, -v6, v17, v9
	v_div_fmas_f32 v9, v6, v16, v17
	s_waitcnt lgkmcnt(1)
	v_sub_f32_e32 v16, v13, v4
	s_waitcnt lgkmcnt(0)
	v_add_f32_e32 v6, v12, v15
	v_mul_f32_e32 v12, v16, v16
	v_mul_f32_e32 v12, v12, v14
	v_div_fixup_f32 v9, v9, v7, 1.0
	v_mul_f32_e32 v8, v8, v9
	v_mul_f32_e32 v14, v9, v14
	v_mul_f32_e32 v9, v13, v8
	v_fmac_f32_e32 v9, v14, v4
	v_fmac_f32_e32 v6, v12, v8
.LBB3_12:
	s_or_b64 exec, exec, s[2:3]
	v_cmp_gt_u32_e32 vcc, 62, v5
	s_waitcnt lgkmcnt(1)
	v_cndmask_b32_e64 v4, 0, 2, vcc
	v_add_lshl_u32 v8, v4, v3, 2
	s_waitcnt lgkmcnt(0)
	ds_bpermute_b32 v15, v8, v7
	ds_bpermute_b32 v14, v8, v9
	;; [unrolled: 1-line block ×3, first 2 shown]
	v_mov_b32_e32 v4, 0
	v_mov_b32_e32 v12, 0
	s_waitcnt lgkmcnt(2)
	v_add_f32_e32 v8, v7, v15
	v_cmp_lt_f32_e32 vcc, 0, v8
	v_mov_b32_e32 v13, 0
	s_and_saveexec_b64 s[2:3], vcc
	s_cbranch_execz .LBB3_14
; %bb.13:
	v_div_scale_f32 v12, s[8:9], v8, v8, 1.0
	v_div_scale_f32 v13, vcc, 1.0, v8, 1.0
	v_rcp_f32_e32 v17, v12
	v_fma_f32 v18, -v12, v17, 1.0
	v_fmac_f32_e32 v17, v18, v17
	v_mul_f32_e32 v18, v13, v17
	v_fma_f32 v19, -v12, v18, v13
	v_fmac_f32_e32 v18, v19, v17
	v_fma_f32 v12, -v12, v18, v13
	v_div_fmas_f32 v13, v12, v17, v18
	s_waitcnt lgkmcnt(1)
	v_sub_f32_e32 v17, v9, v14
	s_waitcnt lgkmcnt(0)
	v_add_f32_e32 v12, v6, v16
	v_mul_f32_e32 v6, v17, v17
	v_mul_f32_e32 v6, v6, v15
	v_div_fixup_f32 v13, v13, v8, 1.0
	v_mul_f32_e32 v7, v7, v13
	v_mul_f32_e32 v15, v13, v15
	;; [unrolled: 1-line block ×3, first 2 shown]
	v_fmac_f32_e32 v13, v15, v14
	v_fmac_f32_e32 v12, v6, v7
.LBB3_14:
	s_or_b64 exec, exec, s[2:3]
	v_cmp_ne_u32_e32 vcc, 63, v5
	v_addc_co_u32_e32 v3, vcc, 0, v3, vcc
	v_lshlrev_b32_e32 v3, 2, v3
	ds_bpermute_b32 v7, v3, v8
	ds_bpermute_b32 v6, v3, v13
	;; [unrolled: 1-line block ×3, first 2 shown]
	v_mov_b32_e32 v5, 0
	s_waitcnt lgkmcnt(2)
	v_add_f32_e32 v3, v8, v7
	v_cmp_lt_f32_e32 vcc, 0, v3
	s_and_saveexec_b64 s[2:3], vcc
	s_cbranch_execz .LBB3_16
; %bb.15:
	v_div_scale_f32 v4, s[8:9], v3, v3, 1.0
	v_div_scale_f32 v5, vcc, 1.0, v3, 1.0
	v_rcp_f32_e32 v14, v4
	v_fma_f32 v15, -v4, v14, 1.0
	v_fmac_f32_e32 v14, v15, v14
	v_mul_f32_e32 v15, v5, v14
	v_fma_f32 v16, -v4, v15, v5
	v_fmac_f32_e32 v15, v16, v14
	v_fma_f32 v4, -v4, v15, v5
	v_div_fmas_f32 v5, v4, v14, v15
	s_waitcnt lgkmcnt(1)
	v_sub_f32_e32 v14, v13, v6
	s_waitcnt lgkmcnt(0)
	v_add_f32_e32 v4, v12, v9
	v_mul_f32_e32 v9, v14, v14
	v_mul_f32_e32 v9, v9, v7
	v_div_fixup_f32 v5, v5, v3, 1.0
	v_mul_f32_e32 v8, v8, v5
	v_mul_f32_e32 v7, v5, v7
	;; [unrolled: 1-line block ×3, first 2 shown]
	v_fmac_f32_e32 v5, v7, v6
	v_fmac_f32_e32 v4, v9, v8
.LBB3_16:
	s_or_b64 exec, exec, s[2:3]
	s_cmp_lt_u32 s12, 2
	s_cbranch_scc0 .LBB3_18
; %bb.17:
	v_and_b32_e32 v2, 0x100, v2
	s_waitcnt lgkmcnt(1)
	ds_bpermute_b32 v6, v2, v4
	v_cvt_f32_i32_e32 v7, s16
	s_waitcnt lgkmcnt(0)
	v_div_scale_f32 v8, s[2:3], v7, v7, v6
	v_div_scale_f32 v9, vcc, v6, v7, v6
	v_rcp_f32_e32 v12, v8
	v_fma_f32 v13, -v8, v12, 1.0
	v_fmac_f32_e32 v12, v13, v12
	v_mul_f32_e32 v13, v9, v12
	v_fma_f32 v14, -v8, v13, v9
	v_fmac_f32_e32 v13, v14, v12
	v_fma_f32 v8, -v8, v13, v9
	v_div_fmas_f32 v9, v8, v12, v13
	ds_bpermute_b32 v8, v2, v5
	v_div_fixup_f32 v9, v9, v7, v6
	s_cbranch_execz .LBB3_19
	s_branch .LBB3_31
.LBB3_18:
                                        ; implicit-def: $vgpr9
.LBB3_19:
	s_lshl_b32 s2, s12, 2
	s_add_i32 s13, s2, 0
	s_waitcnt lgkmcnt(1)
	v_lshlrev_b32_e32 v6, 3, v1
	v_cmp_eq_u32_e64 s[2:3], 0, v0
	v_lshl_add_u32 v2, v1, 2, s13
	v_add_u32_e32 v6, 0, v6
.LBB3_20:                               ; =>This Inner Loop Header: Depth=1
	s_lshr_b32 s14, s12, 1
	v_cmp_le_u32_e32 vcc, s14, v1
	s_and_b32 s10, s12, 0xfffe
	s_and_b64 s[8:9], s[2:3], vcc
	v_cmp_gt_u32_e32 vcc, s10, v1
	s_and_b64 s[10:11], s[8:9], vcc
	s_and_saveexec_b64 s[8:9], s[10:11]
	s_cbranch_execz .LBB3_22
; %bb.21:                               ;   in Loop: Header=BB3_20 Depth=1
	v_subrev_u32_e32 v7, s14, v1
	s_waitcnt lgkmcnt(0)
	v_lshl_add_u32 v8, v7, 2, s13
	v_lshl_add_u32 v7, v7, 3, 0
	ds_write2_b32 v7, v5, v4 offset1:1
	ds_write_b32 v8, v3
.LBB3_22:                               ;   in Loop: Header=BB3_20 Depth=1
	s_or_b64 exec, exec, s[8:9]
	v_cmp_gt_u32_e32 vcc, s14, v1
	s_and_b64 s[10:11], s[2:3], vcc
	s_waitcnt lgkmcnt(0)
	s_barrier
	s_and_saveexec_b64 s[8:9], s[10:11]
	s_cbranch_execz .LBB3_26
; %bb.23:                               ;   in Loop: Header=BB3_20 Depth=1
	ds_read_b32 v8, v2
	v_mov_b32_e32 v9, 0
	v_mov_b32_e32 v12, 0
	s_waitcnt lgkmcnt(0)
	v_add_f32_e32 v7, v3, v8
	v_cmp_lt_f32_e32 vcc, 0, v7
	s_and_saveexec_b64 s[10:11], vcc
	s_cbranch_execz .LBB3_25
; %bb.24:                               ;   in Loop: Header=BB3_20 Depth=1
	v_div_scale_f32 v9, s[24:25], v7, v7, 1.0
	v_div_scale_f32 v12, vcc, 1.0, v7, 1.0
	v_rcp_f32_e32 v13, v9
	v_fma_f32 v14, -v9, v13, 1.0
	v_fmac_f32_e32 v13, v14, v13
	v_mul_f32_e32 v14, v12, v13
	v_fma_f32 v15, -v9, v14, v12
	v_fmac_f32_e32 v14, v15, v13
	v_fma_f32 v9, -v9, v14, v12
	v_div_fmas_f32 v14, v9, v13, v14
	ds_read2_b32 v[12:13], v6 offset1:1
	s_waitcnt lgkmcnt(0)
	v_sub_f32_e32 v15, v5, v12
	v_add_f32_e32 v9, v4, v13
	v_mul_f32_e32 v4, v15, v15
	v_mul_f32_e32 v4, v8, v4
	v_div_fixup_f32 v13, v14, v7, 1.0
	v_mul_f32_e32 v8, v8, v13
	v_mul_f32_e32 v3, v3, v13
	;; [unrolled: 1-line block ×3, first 2 shown]
	v_fmac_f32_e32 v12, v5, v3
	v_fmac_f32_e32 v9, v3, v4
.LBB3_25:                               ;   in Loop: Header=BB3_20 Depth=1
	s_or_b64 exec, exec, s[10:11]
	v_mov_b32_e32 v5, v12
	v_mov_b32_e32 v4, v9
	;; [unrolled: 1-line block ×3, first 2 shown]
.LBB3_26:                               ;   in Loop: Header=BB3_20 Depth=1
	s_or_b64 exec, exec, s[8:9]
	s_cmp_lt_u32 s12, 4
	s_barrier
	s_cbranch_scc1 .LBB3_28
; %bb.27:                               ;   in Loop: Header=BB3_20 Depth=1
	s_mov_b32 s12, s14
	s_branch .LBB3_20
.LBB3_28:
	v_or_b32_e32 v0, v0, v1
	v_cmp_eq_u32_e32 vcc, 0, v0
	s_and_saveexec_b64 s[2:3], vcc
	s_cbranch_execz .LBB3_30
; %bb.29:
	v_cvt_f32_i32_e32 v0, s16
	v_div_scale_f32 v1, s[8:9], v0, v0, v4
	v_div_scale_f32 v2, vcc, v4, v0, v4
	v_rcp_f32_e32 v3, v1
	v_fma_f32 v6, -v1, v3, 1.0
	v_fmac_f32_e32 v3, v6, v3
	v_mul_f32_e32 v6, v2, v3
	v_fma_f32 v7, -v1, v6, v2
	v_fmac_f32_e32 v6, v7, v3
	v_fma_f32 v1, -v1, v6, v2
	v_div_fmas_f32 v1, v1, v3, v6
	v_div_fixup_f32 v0, v1, v0, v4
	v_mov_b32_e32 v1, 0
	ds_write2_b32 v1, v5, v0 offset1:1
.LBB3_30:
	s_or_b64 exec, exec, s[2:3]
	v_mov_b32_e32 v0, 0
	s_waitcnt lgkmcnt(0)
	s_barrier
	ds_read2_b32 v[8:9], v0 offset1:1
.LBB3_31:
	s_waitcnt lgkmcnt(0)
	v_add_f32_e32 v0, s17, v9
	s_mov_b32 s2, 0x800000
	v_mul_f32_e32 v1, 0x4b800000, v0
	v_cmp_gt_f32_e32 vcc, s2, v0
	v_cndmask_b32_e32 v0, v0, v1, vcc
	v_rsq_f32_e32 v0, v0
	s_load_dwordx8 s[8:15], s[4:5], 0x10
	s_load_dwordx2 s[24:25], s[4:5], 0x30
	v_mul_f32_e32 v1, 0x45800000, v0
	v_cndmask_b32_e32 v9, v0, v1, vcc
	s_and_saveexec_b64 s[2:3], s[0:1]
	s_cbranch_execz .LBB3_46
; %bb.32:
	s_waitcnt lgkmcnt(0)
	s_cmp_eq_u64 s[8:9], 0
	s_cselect_b64 s[16:17], -1, 0
	s_cmp_eq_u64 s[10:11], 0
	s_cselect_b64 s[0:1], -1, 0
	s_lshl_b64 s[22:23], s[22:23], 2
	s_add_u32 s27, s24, s22
	s_addc_u32 s28, s25, s23
	s_add_u32 s29, s18, s22
	s_addc_u32 s30, s19, s23
	v_cndmask_b32_e64 v0, 0, 1, s[0:1]
	s_ashr_i32 s21, s20, 31
	s_mov_b64 s[4:5], 0
	s_or_b64 s[18:19], s[16:17], s[0:1]
	s_lshl_b64 s[22:23], s[20:21], 4
	v_cmp_ne_u32_e64 s[0:1], 1, v0
	v_mov_b32_e32 v12, v10
	s_branch .LBB3_34
.LBB3_33:                               ;   in Loop: Header=BB3_34 Depth=1
	s_waitcnt vmcnt(0)
	v_add_co_u32_e32 v0, vcc, s27, v11
	s_add_u32 s27, s27, s22
	v_mov_b32_e32 v1, s28
	s_addc_u32 s28, s28, s23
	s_add_u32 s29, s29, s22
	s_addc_u32 s30, s30, s23
	s_add_u32 s10, s10, s22
	s_addc_u32 s11, s11, s23
	v_addc_co_u32_e32 v1, vcc, 0, v1, vcc
	v_add_u32_e32 v12, s20, v12
	s_add_u32 s8, s8, s22
	s_addc_u32 s9, s9, s23
	v_cmp_le_i32_e32 vcc, s26, v12
	s_or_b64 s[4:5], vcc, s[4:5]
	global_store_dwordx4 v[0:1], v[4:7], off
	s_andn2_b64 exec, exec, s[4:5]
	s_cbranch_execz .LBB3_46
.LBB3_34:                               ; =>This Inner Loop Header: Depth=1
	v_mov_b32_e32 v1, s30
	v_add_co_u32_e32 v0, vcc, s29, v11
	v_addc_co_u32_e32 v1, vcc, 0, v1, vcc
	global_load_dwordx4 v[0:3], v[0:1], off
	s_mov_b64 s[24:25], -1
	s_and_b64 vcc, exec, s[18:19]
                                        ; implicit-def: $vgpr4
	s_cbranch_vccz .LBB3_44
; %bb.35:                               ;   in Loop: Header=BB3_34 Depth=1
	s_and_b64 vcc, exec, s[16:17]
                                        ; implicit-def: $vgpr4
	s_cbranch_vccz .LBB3_41
; %bb.36:                               ;   in Loop: Header=BB3_34 Depth=1
	s_and_b64 vcc, exec, s[0:1]
                                        ; implicit-def: $vgpr4
	s_cbranch_vccnz .LBB3_38
; %bb.37:                               ;   in Loop: Header=BB3_34 Depth=1
	s_waitcnt vmcnt(0)
	v_sub_f32_e32 v4, v0, v8
	v_sub_f32_e32 v5, v1, v8
	;; [unrolled: 1-line block ×4, first 2 shown]
	v_mul_f32_e32 v4, v9, v4
	v_mul_f32_e32 v5, v9, v5
	;; [unrolled: 1-line block ×4, first 2 shown]
	s_mov_b64 s[24:25], 0
.LBB3_38:                               ;   in Loop: Header=BB3_34 Depth=1
	s_andn2_b64 vcc, exec, s[24:25]
	s_cbranch_vccnz .LBB3_40
; %bb.39:                               ;   in Loop: Header=BB3_34 Depth=1
	v_mov_b32_e32 v5, s11
	v_add_co_u32_e32 v4, vcc, s10, v11
	v_addc_co_u32_e32 v5, vcc, 0, v5, vcc
	global_load_dwordx4 v[4:7], v[4:5], off
	s_waitcnt vmcnt(1)
	v_sub_f32_e32 v13, v0, v8
	v_sub_f32_e32 v14, v1, v8
	;; [unrolled: 1-line block ×4, first 2 shown]
	s_waitcnt vmcnt(0)
	v_fma_f32 v4, v9, v13, v4
	v_fma_f32 v5, v9, v14, v5
	;; [unrolled: 1-line block ×3, first 2 shown]
	v_fmac_f32_e32 v7, v9, v16
.LBB3_40:                               ;   in Loop: Header=BB3_34 Depth=1
	s_mov_b64 s[24:25], 0
.LBB3_41:                               ;   in Loop: Header=BB3_34 Depth=1
	s_andn2_b64 vcc, exec, s[24:25]
	s_cbranch_vccnz .LBB3_43
; %bb.42:                               ;   in Loop: Header=BB3_34 Depth=1
	v_mov_b32_e32 v5, s9
	v_add_co_u32_e32 v4, vcc, s8, v11
	v_addc_co_u32_e32 v5, vcc, 0, v5, vcc
	global_load_dwordx4 v[4:7], v[4:5], off
	s_waitcnt vmcnt(1)
	v_sub_f32_e32 v13, v0, v8
	v_sub_f32_e32 v14, v1, v8
	;; [unrolled: 1-line block ×4, first 2 shown]
	v_mul_f32_e32 v13, v9, v13
	v_mul_f32_e32 v14, v9, v14
	;; [unrolled: 1-line block ×4, first 2 shown]
	s_waitcnt vmcnt(0)
	v_mul_f32_e32 v4, v13, v4
	v_mul_f32_e32 v5, v14, v5
	v_mul_f32_e32 v6, v15, v6
	v_mul_f32_e32 v7, v16, v7
.LBB3_43:                               ;   in Loop: Header=BB3_34 Depth=1
	s_mov_b64 s[24:25], 0
.LBB3_44:                               ;   in Loop: Header=BB3_34 Depth=1
	s_andn2_b64 vcc, exec, s[24:25]
	s_cbranch_vccnz .LBB3_33
; %bb.45:                               ;   in Loop: Header=BB3_34 Depth=1
	v_mov_b32_e32 v4, s9
	v_add_co_u32_e32 v17, vcc, s8, v11
	v_addc_co_u32_e32 v18, vcc, 0, v4, vcc
	v_mov_b32_e32 v4, s11
	v_add_co_u32_e32 v19, vcc, s10, v11
	v_addc_co_u32_e32 v20, vcc, 0, v4, vcc
	global_load_dwordx4 v[13:16], v[17:18], off
	global_load_dwordx4 v[4:7], v[19:20], off
	s_waitcnt vmcnt(2)
	v_sub_f32_e32 v0, v0, v8
	v_sub_f32_e32 v1, v1, v8
	;; [unrolled: 1-line block ×4, first 2 shown]
	v_mul_f32_e32 v0, v9, v0
	v_mul_f32_e32 v1, v9, v1
	;; [unrolled: 1-line block ×4, first 2 shown]
	s_waitcnt vmcnt(0)
	v_fma_f32 v4, v0, v13, v4
	v_fma_f32 v5, v1, v14, v5
	;; [unrolled: 1-line block ×3, first 2 shown]
	v_fmac_f32_e32 v7, v3, v16
	s_branch .LBB3_33
.LBB3_46:
	s_or_b64 exec, exec, s[2:3]
	v_cmp_eq_u32_e32 vcc, 0, v10
	s_and_saveexec_b64 s[0:1], vcc
	s_cbranch_execz .LBB3_48
; %bb.47:
	s_lshl_b64 s[0:1], s[6:7], 2
	s_waitcnt lgkmcnt(0)
	s_add_u32 s2, s12, s0
	s_addc_u32 s3, s13, s1
	v_mov_b32_e32 v0, 0
	s_add_u32 s0, s14, s0
	s_addc_u32 s1, s15, s1
	global_store_dword v0, v8, s[2:3]
	global_store_dword v0, v9, s[0:1]
.LBB3_48:
	s_endpgm
	.section	.rodata,"a",@progbits
	.p2align	6, 0x0
	.amdhsa_kernel _ZN2at6native12_GLOBAL__N_128vectorized_layer_norm_kernelIffLb0EEEviT0_PKT_S6_S6_PS3_S7_PS4_
		.amdhsa_group_segment_fixed_size 0
		.amdhsa_private_segment_fixed_size 0
		.amdhsa_kernarg_size 312
		.amdhsa_user_sgpr_count 6
		.amdhsa_user_sgpr_private_segment_buffer 1
		.amdhsa_user_sgpr_dispatch_ptr 0
		.amdhsa_user_sgpr_queue_ptr 0
		.amdhsa_user_sgpr_kernarg_segment_ptr 1
		.amdhsa_user_sgpr_dispatch_id 0
		.amdhsa_user_sgpr_flat_scratch_init 0
		.amdhsa_user_sgpr_private_segment_size 0
		.amdhsa_uses_dynamic_stack 0
		.amdhsa_system_sgpr_private_segment_wavefront_offset 0
		.amdhsa_system_sgpr_workgroup_id_x 1
		.amdhsa_system_sgpr_workgroup_id_y 0
		.amdhsa_system_sgpr_workgroup_id_z 0
		.amdhsa_system_sgpr_workgroup_info 0
		.amdhsa_system_vgpr_workitem_id 1
		.amdhsa_next_free_vgpr 21
		.amdhsa_next_free_sgpr 31
		.amdhsa_reserve_vcc 1
		.amdhsa_reserve_flat_scratch 0
		.amdhsa_float_round_mode_32 0
		.amdhsa_float_round_mode_16_64 0
		.amdhsa_float_denorm_mode_32 3
		.amdhsa_float_denorm_mode_16_64 3
		.amdhsa_dx10_clamp 1
		.amdhsa_ieee_mode 1
		.amdhsa_fp16_overflow 0
		.amdhsa_exception_fp_ieee_invalid_op 0
		.amdhsa_exception_fp_denorm_src 0
		.amdhsa_exception_fp_ieee_div_zero 0
		.amdhsa_exception_fp_ieee_overflow 0
		.amdhsa_exception_fp_ieee_underflow 0
		.amdhsa_exception_fp_ieee_inexact 0
		.amdhsa_exception_int_div_zero 0
	.end_amdhsa_kernel
	.section	.text._ZN2at6native12_GLOBAL__N_128vectorized_layer_norm_kernelIffLb0EEEviT0_PKT_S6_S6_PS3_S7_PS4_,"axG",@progbits,_ZN2at6native12_GLOBAL__N_128vectorized_layer_norm_kernelIffLb0EEEviT0_PKT_S6_S6_PS3_S7_PS4_,comdat
.Lfunc_end3:
	.size	_ZN2at6native12_GLOBAL__N_128vectorized_layer_norm_kernelIffLb0EEEviT0_PKT_S6_S6_PS3_S7_PS4_, .Lfunc_end3-_ZN2at6native12_GLOBAL__N_128vectorized_layer_norm_kernelIffLb0EEEviT0_PKT_S6_S6_PS3_S7_PS4_
                                        ; -- End function
	.set _ZN2at6native12_GLOBAL__N_128vectorized_layer_norm_kernelIffLb0EEEviT0_PKT_S6_S6_PS3_S7_PS4_.num_vgpr, 21
	.set _ZN2at6native12_GLOBAL__N_128vectorized_layer_norm_kernelIffLb0EEEviT0_PKT_S6_S6_PS3_S7_PS4_.num_agpr, 0
	.set _ZN2at6native12_GLOBAL__N_128vectorized_layer_norm_kernelIffLb0EEEviT0_PKT_S6_S6_PS3_S7_PS4_.numbered_sgpr, 31
	.set _ZN2at6native12_GLOBAL__N_128vectorized_layer_norm_kernelIffLb0EEEviT0_PKT_S6_S6_PS3_S7_PS4_.num_named_barrier, 0
	.set _ZN2at6native12_GLOBAL__N_128vectorized_layer_norm_kernelIffLb0EEEviT0_PKT_S6_S6_PS3_S7_PS4_.private_seg_size, 0
	.set _ZN2at6native12_GLOBAL__N_128vectorized_layer_norm_kernelIffLb0EEEviT0_PKT_S6_S6_PS3_S7_PS4_.uses_vcc, 1
	.set _ZN2at6native12_GLOBAL__N_128vectorized_layer_norm_kernelIffLb0EEEviT0_PKT_S6_S6_PS3_S7_PS4_.uses_flat_scratch, 0
	.set _ZN2at6native12_GLOBAL__N_128vectorized_layer_norm_kernelIffLb0EEEviT0_PKT_S6_S6_PS3_S7_PS4_.has_dyn_sized_stack, 0
	.set _ZN2at6native12_GLOBAL__N_128vectorized_layer_norm_kernelIffLb0EEEviT0_PKT_S6_S6_PS3_S7_PS4_.has_recursion, 0
	.set _ZN2at6native12_GLOBAL__N_128vectorized_layer_norm_kernelIffLb0EEEviT0_PKT_S6_S6_PS3_S7_PS4_.has_indirect_call, 0
	.section	.AMDGPU.csdata,"",@progbits
; Kernel info:
; codeLenInByte = 3044
; TotalNumSgprs: 35
; NumVgprs: 21
; ScratchSize: 0
; MemoryBound: 0
; FloatMode: 240
; IeeeMode: 1
; LDSByteSize: 0 bytes/workgroup (compile time only)
; SGPRBlocks: 4
; VGPRBlocks: 5
; NumSGPRsForWavesPerEU: 35
; NumVGPRsForWavesPerEU: 21
; Occupancy: 10
; WaveLimiterHint : 0
; COMPUTE_PGM_RSRC2:SCRATCH_EN: 0
; COMPUTE_PGM_RSRC2:USER_SGPR: 6
; COMPUTE_PGM_RSRC2:TRAP_HANDLER: 0
; COMPUTE_PGM_RSRC2:TGID_X_EN: 1
; COMPUTE_PGM_RSRC2:TGID_Y_EN: 0
; COMPUTE_PGM_RSRC2:TGID_Z_EN: 0
; COMPUTE_PGM_RSRC2:TIDIG_COMP_CNT: 1
	.section	.text._ZN2at6native12_GLOBAL__N_124RowwiseMomentsCUDAKernelIffLb0EEEvlT0_PKT_PS3_S7_,"axG",@progbits,_ZN2at6native12_GLOBAL__N_124RowwiseMomentsCUDAKernelIffLb0EEEvlT0_PKT_PS3_S7_,comdat
	.globl	_ZN2at6native12_GLOBAL__N_124RowwiseMomentsCUDAKernelIffLb0EEEvlT0_PKT_PS3_S7_ ; -- Begin function _ZN2at6native12_GLOBAL__N_124RowwiseMomentsCUDAKernelIffLb0EEEvlT0_PKT_PS3_S7_
	.p2align	8
	.type	_ZN2at6native12_GLOBAL__N_124RowwiseMomentsCUDAKernelIffLb0EEEvlT0_PKT_PS3_S7_,@function
_ZN2at6native12_GLOBAL__N_124RowwiseMomentsCUDAKernelIffLb0EEEvlT0_PKT_PS3_S7_: ; @_ZN2at6native12_GLOBAL__N_124RowwiseMomentsCUDAKernelIffLb0EEEvlT0_PKT_PS3_S7_
; %bb.0:
	s_load_dwordx2 s[10:11], s[4:5], 0x0
	s_load_dwordx4 s[0:3], s[4:5], 0x10
	s_load_dwordx2 s[8:9], s[4:5], 0x20
	v_mov_b32_e32 v1, 0
	v_mov_b32_e32 v2, 0
	s_waitcnt lgkmcnt(0)
	v_cmp_gt_i64_e32 vcc, s[10:11], v[0:1]
	s_mov_b32 s7, 0
	v_mov_b32_e32 v3, 0
	v_mov_b32_e32 v8, v1
	;; [unrolled: 1-line block ×3, first 2 shown]
	s_and_saveexec_b64 s[12:13], vcc
	s_cbranch_execz .LBB4_4
; %bb.1:
	s_load_dword s16, s[4:5], 0x34
	s_mul_i32 s15, s11, s6
	s_mul_hi_u32 s17, s10, s6
	s_mul_i32 s14, s10, s6
	s_add_i32 s15, s17, s15
	s_waitcnt lgkmcnt(0)
	s_and_b32 s16, s16, 0xffff
	s_lshl_b64 s[14:15], s[14:15], 2
	s_add_u32 s0, s0, s14
	v_lshlrev_b32_e32 v2, 2, v0
	s_addc_u32 s1, s1, s15
	v_mov_b32_e32 v3, s1
	v_add_co_u32_e32 v4, vcc, s0, v2
	v_mov_b32_e32 v7, v1
	v_mov_b32_e32 v8, 0
	v_addc_co_u32_e32 v5, vcc, 0, v3, vcc
	s_lshl_b32 s17, s16, 2
	s_mov_b64 s[0:1], 0
	v_mov_b32_e32 v6, v0
	s_mov_b64 s[14:15], 0
	v_mov_b32_e32 v9, 0
.LBB4_2:                                ; =>This Inner Loop Header: Depth=1
	global_load_dword v10, v[4:5], off
	s_add_u32 s14, s14, 1
	s_addc_u32 s15, s15, 0
	s_flbit_i32_b32 s18, s15
	s_min_u32 s20, s18, 32
	s_lshl_b64 s[18:19], s[14:15], s20
	s_min_u32 s18, s18, 1
	s_or_b32 s18, s19, s18
	v_cvt_f32_u32_e32 v1, s18
	s_sub_i32 s20, 32, s20
	v_ldexp_f32 v1, v1, s20
	s_waitcnt vmcnt(0)
	v_sub_f32_e32 v11, v10, v9
	v_div_scale_f32 v2, s[18:19], v1, v1, v11
	v_div_scale_f32 v3, vcc, v11, v1, v11
	v_rcp_f32_e32 v12, v2
	v_fma_f32 v13, -v2, v12, 1.0
	v_fmac_f32_e32 v12, v13, v12
	v_mul_f32_e32 v13, v3, v12
	v_fma_f32 v14, -v2, v13, v3
	v_fmac_f32_e32 v13, v14, v12
	v_fma_f32 v2, -v2, v13, v3
	v_div_fmas_f32 v12, v2, v12, v13
	v_add_co_u32_e32 v6, vcc, s16, v6
	v_addc_co_u32_e32 v7, vcc, 0, v7, vcc
	v_add_co_u32_e32 v4, vcc, s17, v4
	v_addc_co_u32_e32 v5, vcc, 0, v5, vcc
	v_cmp_le_i64_e32 vcc, s[10:11], v[6:7]
	v_mov_b32_e32 v2, s14
	v_mov_b32_e32 v3, s15
	s_or_b64 s[0:1], vcc, s[0:1]
	v_div_fixup_f32 v12, v12, v1, v11
	v_add_f32_e32 v9, v9, v12
	v_sub_f32_e32 v10, v10, v9
	v_fmac_f32_e32 v8, v11, v10
	s_andn2_b64 exec, exec, s[0:1]
	s_cbranch_execnz .LBB4_2
; %bb.3:
	s_or_b64 exec, exec, s[0:1]
.LBB4_4:
	s_or_b64 exec, exec, s[12:13]
	v_mbcnt_lo_u32_b32 v4, -1, 0
	v_mbcnt_hi_u32_b32 v6, -1, v4
	v_mov_b32_e32 v4, 0x80
	v_lshl_or_b32 v7, v6, 2, v4
	ds_bpermute_b32 v13, v7, v9
	ds_bpermute_b32 v10, v7, v8
	;; [unrolled: 1-line block ×5, first 2 shown]
	v_cmp_neq_f32_e32 vcc, 0, v1
	s_and_saveexec_b64 s[0:1], vcc
	s_cbranch_execz .LBB4_8
; %bb.5:
	s_waitcnt lgkmcnt(0)
	v_cmp_neq_f32_e32 vcc, 0, v14
	s_and_saveexec_b64 s[10:11], vcc
	s_cbranch_execz .LBB4_7
; %bb.6:
	v_add_f32_e32 v4, v1, v14
	v_div_scale_f32 v2, s[12:13], v4, v4, v14
	v_div_scale_f32 v3, vcc, v14, v4, v14
	v_add_f32_e32 v8, v8, v10
	v_rcp_f32_e32 v5, v2
	v_fma_f32 v11, -v2, v5, 1.0
	v_fmac_f32_e32 v5, v11, v5
	v_mul_f32_e32 v11, v3, v5
	v_fma_f32 v12, -v2, v11, v3
	v_fmac_f32_e32 v11, v12, v5
	v_fma_f32 v2, -v2, v11, v3
	v_div_fmas_f32 v5, v2, v5, v11
	v_sub_f32_e32 v11, v13, v9
	v_mul_f32_e32 v10, v11, v11
	v_mov_b32_e32 v2, -1
	v_mul_f32_e32 v1, v1, v10
	v_mov_b32_e32 v3, -1
	v_div_fixup_f32 v5, v5, v4, v14
	v_fmac_f32_e32 v9, v11, v5
	v_fmac_f32_e32 v8, v1, v5
	v_mov_b32_e32 v1, v4
.LBB4_7:
	s_or_b64 exec, exec, s[10:11]
	v_mov_b32_e32 v5, v3
	v_mov_b32_e32 v14, v1
	;; [unrolled: 1-line block ×5, first 2 shown]
.LBB4_8:
	s_or_b64 exec, exec, s[0:1]
	v_and_b32_e32 v12, 63, v6
	v_cmp_gt_u32_e32 vcc, 48, v12
	v_cndmask_b32_e64 v1, 0, 16, vcc
	v_add_lshl_u32 v8, v1, v6, 2
	s_waitcnt lgkmcnt(4)
	ds_bpermute_b32 v15, v8, v13
	s_waitcnt lgkmcnt(4)
	ds_bpermute_b32 v11, v8, v10
	s_waitcnt lgkmcnt(4)
	ds_bpermute_b32 v1, v8, v4
	s_waitcnt lgkmcnt(4)
	ds_bpermute_b32 v2, v8, v5
	s_waitcnt lgkmcnt(4)
	ds_bpermute_b32 v16, v8, v14
	v_cmp_neq_f32_e32 vcc, 0, v14
	s_and_saveexec_b64 s[0:1], vcc
	s_cbranch_execz .LBB4_12
; %bb.9:
	s_waitcnt lgkmcnt(0)
	v_cmp_neq_f32_e32 vcc, 0, v16
	s_and_saveexec_b64 s[10:11], vcc
	s_cbranch_execz .LBB4_11
; %bb.10:
	v_add_f32_e32 v1, v14, v16
	v_div_scale_f32 v2, s[12:13], v1, v1, v16
	v_div_scale_f32 v3, vcc, v16, v1, v16
	v_add_f32_e32 v10, v10, v11
	v_rcp_f32_e32 v4, v2
	v_fma_f32 v5, -v2, v4, 1.0
	v_fmac_f32_e32 v4, v5, v4
	v_mul_f32_e32 v5, v3, v4
	v_fma_f32 v9, -v2, v5, v3
	v_fmac_f32_e32 v5, v9, v4
	v_fma_f32 v2, -v2, v5, v3
	v_div_fmas_f32 v2, v2, v4, v5
	v_sub_f32_e32 v3, v15, v13
	v_mul_f32_e32 v9, v3, v3
	v_mov_b32_e32 v4, -1
	v_mul_f32_e32 v9, v14, v9
	v_mov_b32_e32 v5, -1
	v_mov_b32_e32 v14, v1
	v_div_fixup_f32 v2, v2, v1, v16
	v_fmac_f32_e32 v13, v3, v2
	v_fmac_f32_e32 v10, v9, v2
.LBB4_11:
	s_or_b64 exec, exec, s[10:11]
	v_mov_b32_e32 v1, v4
	v_mov_b32_e32 v16, v14
	v_mov_b32_e32 v2, v5
	v_mov_b32_e32 v11, v10
	v_mov_b32_e32 v15, v13
.LBB4_12:
	s_or_b64 exec, exec, s[0:1]
	v_cmp_gt_u32_e32 vcc, 56, v12
	v_cndmask_b32_e64 v3, 0, 8, vcc
	v_add_lshl_u32 v9, v3, v6, 2
	s_waitcnt lgkmcnt(4)
	ds_bpermute_b32 v14, v9, v15
	s_waitcnt lgkmcnt(4)
	ds_bpermute_b32 v5, v9, v11
	s_waitcnt lgkmcnt(4)
	ds_bpermute_b32 v3, v9, v1
	s_waitcnt lgkmcnt(4)
	ds_bpermute_b32 v4, v9, v2
	s_waitcnt lgkmcnt(4)
	ds_bpermute_b32 v17, v9, v16
	v_cmp_neq_f32_e32 vcc, 0, v16
	s_and_saveexec_b64 s[0:1], vcc
	s_cbranch_execz .LBB4_16
; %bb.13:
	s_waitcnt lgkmcnt(0)
	v_cmp_neq_f32_e32 vcc, 0, v17
	s_and_saveexec_b64 s[10:11], vcc
	s_cbranch_execz .LBB4_15
; %bb.14:
	v_add_f32_e32 v3, v16, v17
	v_div_scale_f32 v1, s[12:13], v3, v3, v17
	v_div_scale_f32 v2, vcc, v17, v3, v17
	v_add_f32_e32 v11, v11, v5
	v_rcp_f32_e32 v4, v1
	v_fma_f32 v10, -v1, v4, 1.0
	v_fmac_f32_e32 v4, v10, v4
	v_mul_f32_e32 v10, v2, v4
	v_fma_f32 v13, -v1, v10, v2
	v_fmac_f32_e32 v10, v13, v4
	v_fma_f32 v1, -v1, v10, v2
	v_div_fmas_f32 v4, v1, v4, v10
	v_sub_f32_e32 v10, v14, v15
	v_mul_f32_e32 v5, v10, v10
	v_mov_b32_e32 v1, -1
	v_mul_f32_e32 v5, v16, v5
	v_mov_b32_e32 v2, -1
	v_mov_b32_e32 v16, v3
	v_div_fixup_f32 v4, v4, v3, v17
	v_fmac_f32_e32 v15, v10, v4
	v_fmac_f32_e32 v11, v5, v4
.LBB4_15:
	s_or_b64 exec, exec, s[10:11]
	v_mov_b32_e32 v4, v2
	v_mov_b32_e32 v17, v16
	v_mov_b32_e32 v3, v1
	v_mov_b32_e32 v5, v11
	v_mov_b32_e32 v14, v15
.LBB4_16:
	s_or_b64 exec, exec, s[0:1]
	;; [unrolled: 52-line block ×4, first 2 shown]
	v_cmp_ne_u32_e32 vcc, 63, v12
	v_addc_co_u32_e32 v1, vcc, 0, v6, vcc
	v_lshlrev_b32_e32 v12, 2, v1
	s_waitcnt lgkmcnt(4)
	ds_bpermute_b32 v1, v12, v16
	s_waitcnt lgkmcnt(4)
	ds_bpermute_b32 v2, v12, v14
	;; [unrolled: 2-line block ×5, first 2 shown]
	v_cmp_neq_f32_e32 vcc, 0, v17
	s_and_saveexec_b64 s[0:1], vcc
	s_cbranch_execz .LBB4_28
; %bb.25:
	s_waitcnt lgkmcnt(0)
	v_cmp_neq_f32_e32 vcc, 0, v13
	s_and_saveexec_b64 s[10:11], vcc
	s_cbranch_execz .LBB4_27
; %bb.26:
	v_add_f32_e32 v5, v17, v13
	v_div_scale_f32 v3, s[12:13], v5, v5, v13
	v_div_scale_f32 v4, vcc, v13, v5, v13
	v_sub_f32_e32 v1, v1, v16
	v_add_f32_e32 v14, v14, v2
	v_mul_f32_e32 v2, v1, v1
	v_mul_f32_e32 v2, v17, v2
	v_mov_b32_e32 v17, v5
	v_rcp_f32_e32 v6, v3
	v_fma_f32 v15, -v3, v6, 1.0
	v_fmac_f32_e32 v6, v15, v6
	v_mul_f32_e32 v15, v4, v6
	v_fma_f32 v18, -v3, v15, v4
	v_fmac_f32_e32 v15, v18, v6
	v_fma_f32 v3, -v3, v15, v4
	v_div_fmas_f32 v6, v3, v6, v15
	v_mov_b32_e32 v3, -1
	v_mov_b32_e32 v4, -1
	v_div_fixup_f32 v6, v6, v5, v13
	v_fmac_f32_e32 v16, v1, v6
	v_fmac_f32_e32 v14, v2, v6
.LBB4_27:
	s_or_b64 exec, exec, s[10:11]
	v_mov_b32_e32 v6, v4
	v_mov_b32_e32 v13, v17
	;; [unrolled: 1-line block ×5, first 2 shown]
.LBB4_28:
	s_or_b64 exec, exec, s[0:1]
	v_and_b32_e32 v3, 63, v0
	v_cmp_eq_u32_e32 vcc, 0, v3
	s_waitcnt lgkmcnt(0)
	s_barrier
	s_and_saveexec_b64 s[0:1], vcc
	s_cbranch_execz .LBB4_30
; %bb.29:
	v_lshrrev_b32_e32 v4, 6, v0
	v_mul_u32_u24_e32 v4, 24, v4
	ds_write2_b64 v4, v[1:2], v[5:6] offset1:1
	ds_write_b32 v4, v13 offset:16
.LBB4_30:
	s_or_b64 exec, exec, s[0:1]
	s_waitcnt lgkmcnt(0)
	s_barrier
	s_load_dword s0, s[4:5], 0x34
	v_mul_u32_u24_e32 v4, 24, v3
	v_mov_b32_e32 v2, 0
	v_mov_b32_e32 v1, 0
	s_waitcnt lgkmcnt(0)
	s_bfe_u32 s0, s0, 0xa0006
	v_cmp_gt_u32_e32 vcc, s0, v0
	s_and_saveexec_b64 s[0:1], vcc
	s_cbranch_execnz .LBB4_36
; %bb.31:
	s_or_b64 exec, exec, s[0:1]
	s_and_saveexec_b64 s[0:1], vcc
	s_cbranch_execnz .LBB4_37
.LBB4_32:
	s_or_b64 exec, exec, s[0:1]
	v_mov_b32_e32 v3, 0
	s_and_saveexec_b64 s[0:1], vcc
	s_cbranch_execnz .LBB4_38
.LBB4_33:
	s_or_b64 exec, exec, s[0:1]
	v_cmp_gt_u32_e32 vcc, 64, v0
	s_and_saveexec_b64 s[0:1], vcc
	s_cbranch_execnz .LBB4_39
.LBB4_34:
	s_or_b64 exec, exec, s[0:1]
	v_cmp_eq_u32_e32 vcc, 0, v0
	s_and_saveexec_b64 s[0:1], vcc
	s_cbranch_execnz .LBB4_64
.LBB4_35:
	s_endpgm
.LBB4_36:
	ds_read_b32 v1, v4
	s_or_b64 exec, exec, s[0:1]
	s_and_saveexec_b64 s[0:1], vcc
	s_cbranch_execz .LBB4_32
.LBB4_37:
	ds_read_b32 v2, v4 offset:4
	s_or_b64 exec, exec, s[0:1]
	v_mov_b32_e32 v3, 0
	s_and_saveexec_b64 s[0:1], vcc
	s_cbranch_execz .LBB4_33
.LBB4_38:
	ds_read_b32 v3, v4 offset:16
	s_or_b64 exec, exec, s[0:1]
	v_cmp_gt_u32_e32 vcc, 64, v0
	s_and_saveexec_b64 s[0:1], vcc
	s_cbranch_execz .LBB4_34
.LBB4_39:
	s_waitcnt lgkmcnt(0)
	ds_bpermute_b32 v5, v7, v1
	ds_bpermute_b32 v4, v7, v2
	;; [unrolled: 1-line block ×3, first 2 shown]
	v_cmp_neq_f32_e32 vcc, 0, v3
	s_and_saveexec_b64 s[10:11], vcc
	s_cbranch_execz .LBB4_43
; %bb.40:
	s_waitcnt lgkmcnt(0)
	v_cmp_neq_f32_e32 vcc, 0, v6
	s_and_saveexec_b64 s[12:13], vcc
	s_cbranch_execz .LBB4_42
; %bb.41:
	v_add_f32_e32 v7, v3, v6
	v_div_scale_f32 v13, s[14:15], v7, v7, v6
	v_div_scale_f32 v14, vcc, v6, v7, v6
	v_sub_f32_e32 v5, v5, v1
	v_add_f32_e32 v2, v2, v4
	v_mul_f32_e32 v4, v5, v5
	v_mul_f32_e32 v3, v3, v4
	v_rcp_f32_e32 v15, v13
	v_fma_f32 v16, -v13, v15, 1.0
	v_fmac_f32_e32 v15, v16, v15
	v_mul_f32_e32 v16, v14, v15
	v_fma_f32 v17, -v13, v16, v14
	v_fmac_f32_e32 v16, v17, v15
	v_fma_f32 v13, -v13, v16, v14
	v_div_fmas_f32 v13, v13, v15, v16
	v_div_fixup_f32 v4, v13, v7, v6
	v_fmac_f32_e32 v1, v5, v4
	v_fmac_f32_e32 v2, v3, v4
	v_mov_b32_e32 v3, v7
.LBB4_42:
	s_or_b64 exec, exec, s[12:13]
	v_mov_b32_e32 v6, v3
	v_mov_b32_e32 v4, v2
	;; [unrolled: 1-line block ×3, first 2 shown]
.LBB4_43:
	s_or_b64 exec, exec, s[10:11]
	s_waitcnt lgkmcnt(2)
	ds_bpermute_b32 v3, v8, v5
	s_waitcnt lgkmcnt(2)
	ds_bpermute_b32 v1, v8, v4
	;; [unrolled: 2-line block ×3, first 2 shown]
	v_cmp_neq_f32_e32 vcc, 0, v6
	s_and_saveexec_b64 s[10:11], vcc
	s_cbranch_execz .LBB4_47
; %bb.44:
	s_waitcnt lgkmcnt(0)
	v_cmp_neq_f32_e32 vcc, 0, v7
	s_and_saveexec_b64 s[12:13], vcc
	s_cbranch_execz .LBB4_46
; %bb.45:
	v_add_f32_e32 v2, v6, v7
	v_div_scale_f32 v8, s[14:15], v2, v2, v7
	v_div_scale_f32 v13, vcc, v7, v2, v7
	v_sub_f32_e32 v3, v3, v5
	v_add_f32_e32 v4, v4, v1
	v_mul_f32_e32 v1, v3, v3
	v_mul_f32_e32 v1, v6, v1
	v_rcp_f32_e32 v14, v8
	v_fma_f32 v15, -v8, v14, 1.0
	v_fmac_f32_e32 v14, v15, v14
	v_mul_f32_e32 v15, v13, v14
	v_fma_f32 v16, -v8, v15, v13
	v_fmac_f32_e32 v15, v16, v14
	v_fma_f32 v8, -v8, v15, v13
	v_div_fmas_f32 v8, v8, v14, v15
	v_div_fixup_f32 v6, v8, v2, v7
	v_fmac_f32_e32 v5, v3, v6
	v_fmac_f32_e32 v4, v1, v6
	v_mov_b32_e32 v6, v2
.LBB4_46:
	s_or_b64 exec, exec, s[12:13]
	v_mov_b32_e32 v7, v6
	v_mov_b32_e32 v1, v4
	;; [unrolled: 1-line block ×3, first 2 shown]
.LBB4_47:
	s_or_b64 exec, exec, s[10:11]
	s_waitcnt lgkmcnt(2)
	ds_bpermute_b32 v4, v9, v3
	s_waitcnt lgkmcnt(2)
	ds_bpermute_b32 v2, v9, v1
	;; [unrolled: 2-line block ×3, first 2 shown]
	v_cmp_neq_f32_e32 vcc, 0, v7
	s_and_saveexec_b64 s[10:11], vcc
	s_cbranch_execz .LBB4_51
; %bb.48:
	s_waitcnt lgkmcnt(0)
	v_cmp_neq_f32_e32 vcc, 0, v5
	s_and_saveexec_b64 s[12:13], vcc
	s_cbranch_execz .LBB4_50
; %bb.49:
	v_add_f32_e32 v6, v7, v5
	v_div_scale_f32 v8, s[14:15], v6, v6, v5
	v_div_scale_f32 v9, vcc, v5, v6, v5
	v_sub_f32_e32 v4, v4, v3
	v_add_f32_e32 v1, v1, v2
	v_mul_f32_e32 v2, v4, v4
	v_mul_f32_e32 v2, v7, v2
	v_mov_b32_e32 v7, v6
	v_rcp_f32_e32 v13, v8
	v_fma_f32 v14, -v8, v13, 1.0
	v_fmac_f32_e32 v13, v14, v13
	v_mul_f32_e32 v14, v9, v13
	v_fma_f32 v15, -v8, v14, v9
	v_fmac_f32_e32 v14, v15, v13
	v_fma_f32 v8, -v8, v14, v9
	v_div_fmas_f32 v8, v8, v13, v14
	v_div_fixup_f32 v5, v8, v6, v5
	v_fmac_f32_e32 v3, v4, v5
	v_fmac_f32_e32 v1, v2, v5
.LBB4_50:
	s_or_b64 exec, exec, s[12:13]
	v_mov_b32_e32 v5, v7
	v_mov_b32_e32 v2, v1
	v_mov_b32_e32 v4, v3
.LBB4_51:
	s_or_b64 exec, exec, s[10:11]
	s_waitcnt lgkmcnt(2)
	ds_bpermute_b32 v3, v10, v4
	s_waitcnt lgkmcnt(2)
	ds_bpermute_b32 v1, v10, v2
	;; [unrolled: 2-line block ×3, first 2 shown]
	v_cmp_neq_f32_e32 vcc, 0, v5
	s_and_saveexec_b64 s[10:11], vcc
	s_cbranch_execz .LBB4_55
; %bb.52:
	s_waitcnt lgkmcnt(0)
	v_cmp_neq_f32_e32 vcc, 0, v7
	s_and_saveexec_b64 s[12:13], vcc
	s_cbranch_execz .LBB4_54
; %bb.53:
	v_add_f32_e32 v6, v5, v7
	v_div_scale_f32 v8, s[14:15], v6, v6, v7
	v_div_scale_f32 v9, vcc, v7, v6, v7
	v_sub_f32_e32 v3, v3, v4
	v_add_f32_e32 v2, v2, v1
	v_mul_f32_e32 v1, v3, v3
	v_mul_f32_e32 v1, v5, v1
	v_rcp_f32_e32 v10, v8
	v_fma_f32 v13, -v8, v10, 1.0
	v_fmac_f32_e32 v10, v13, v10
	v_mul_f32_e32 v13, v9, v10
	v_fma_f32 v14, -v8, v13, v9
	v_fmac_f32_e32 v13, v14, v10
	v_fma_f32 v8, -v8, v13, v9
	v_div_fmas_f32 v8, v8, v10, v13
	v_div_fixup_f32 v5, v8, v6, v7
	v_fmac_f32_e32 v4, v3, v5
	v_fmac_f32_e32 v2, v1, v5
	v_mov_b32_e32 v5, v6
.LBB4_54:
	s_or_b64 exec, exec, s[12:13]
	v_mov_b32_e32 v7, v5
	v_mov_b32_e32 v1, v2
	;; [unrolled: 1-line block ×3, first 2 shown]
.LBB4_55:
	s_or_b64 exec, exec, s[10:11]
	s_waitcnt lgkmcnt(2)
	ds_bpermute_b32 v6, v11, v3
	s_waitcnt lgkmcnt(2)
	ds_bpermute_b32 v4, v11, v1
	;; [unrolled: 2-line block ×3, first 2 shown]
	v_cmp_neq_f32_e32 vcc, 0, v7
	s_and_saveexec_b64 s[10:11], vcc
	s_cbranch_execz .LBB4_59
; %bb.56:
	s_waitcnt lgkmcnt(0)
	v_cmp_neq_f32_e32 vcc, 0, v5
	s_and_saveexec_b64 s[12:13], vcc
	s_cbranch_execz .LBB4_58
; %bb.57:
	v_add_f32_e32 v2, v7, v5
	v_div_scale_f32 v8, s[14:15], v2, v2, v5
	v_div_scale_f32 v9, vcc, v5, v2, v5
	v_sub_f32_e32 v6, v6, v3
	v_add_f32_e32 v1, v1, v4
	v_mul_f32_e32 v4, v6, v6
	v_mul_f32_e32 v4, v7, v4
	v_mov_b32_e32 v7, v2
	v_rcp_f32_e32 v10, v8
	v_fma_f32 v11, -v8, v10, 1.0
	v_fmac_f32_e32 v10, v11, v10
	v_mul_f32_e32 v11, v9, v10
	v_fma_f32 v13, -v8, v11, v9
	v_fmac_f32_e32 v11, v13, v10
	v_fma_f32 v8, -v8, v11, v9
	v_div_fmas_f32 v8, v8, v10, v11
	v_div_fixup_f32 v5, v8, v2, v5
	v_fmac_f32_e32 v3, v6, v5
	v_fmac_f32_e32 v1, v4, v5
.LBB4_58:
	s_or_b64 exec, exec, s[12:13]
	v_mov_b32_e32 v5, v7
	v_mov_b32_e32 v4, v1
	;; [unrolled: 1-line block ×3, first 2 shown]
.LBB4_59:
	s_or_b64 exec, exec, s[10:11]
	s_waitcnt lgkmcnt(2)
	ds_bpermute_b32 v1, v12, v6
	s_waitcnt lgkmcnt(2)
	ds_bpermute_b32 v2, v12, v4
	;; [unrolled: 2-line block ×3, first 2 shown]
	v_cmp_neq_f32_e32 vcc, 0, v5
	s_and_saveexec_b64 s[10:11], vcc
	s_cbranch_execz .LBB4_63
; %bb.60:
	s_waitcnt lgkmcnt(0)
	v_cmp_neq_f32_e32 vcc, 0, v3
	s_and_saveexec_b64 s[12:13], vcc
	s_cbranch_execz .LBB4_62
; %bb.61:
	v_add_f32_e32 v7, v5, v3
	v_div_scale_f32 v8, s[14:15], v7, v7, v3
	v_div_scale_f32 v9, vcc, v3, v7, v3
	v_sub_f32_e32 v1, v1, v6
	v_add_f32_e32 v4, v4, v2
	v_mul_f32_e32 v2, v1, v1
	v_mul_f32_e32 v2, v5, v2
	v_mov_b32_e32 v5, v7
	v_rcp_f32_e32 v10, v8
	v_fma_f32 v11, -v8, v10, 1.0
	v_fmac_f32_e32 v10, v11, v10
	v_mul_f32_e32 v11, v9, v10
	v_fma_f32 v12, -v8, v11, v9
	v_fmac_f32_e32 v11, v12, v10
	v_fma_f32 v8, -v8, v11, v9
	v_div_fmas_f32 v8, v8, v10, v11
	v_div_fixup_f32 v3, v8, v7, v3
	v_fmac_f32_e32 v6, v1, v3
	v_fmac_f32_e32 v4, v2, v3
.LBB4_62:
	s_or_b64 exec, exec, s[12:13]
	v_mov_b32_e32 v3, v5
	v_mov_b32_e32 v2, v4
	;; [unrolled: 1-line block ×3, first 2 shown]
.LBB4_63:
	s_or_b64 exec, exec, s[10:11]
	s_or_b64 exec, exec, s[0:1]
	v_cmp_eq_u32_e32 vcc, 0, v0
	s_and_saveexec_b64 s[0:1], vcc
	s_cbranch_execz .LBB4_35
.LBB4_64:
	s_waitcnt lgkmcnt(0)
	v_max_f32_e32 v0, v3, v3
	v_max_f32_e32 v0, 0, v0
	v_div_scale_f32 v3, s[0:1], v0, v0, v2
	v_div_scale_f32 v4, vcc, v2, v0, v2
	s_load_dword s4, s[4:5], 0x8
	s_mov_b32 s5, 0x800000
	s_lshl_b64 s[0:1], s[6:7], 2
	s_add_u32 s2, s2, s0
	s_addc_u32 s3, s3, s1
	s_add_u32 s0, s8, s0
	s_addc_u32 s1, s9, s1
	v_rcp_f32_e32 v5, v3
	v_fma_f32 v6, -v3, v5, 1.0
	v_fmac_f32_e32 v5, v6, v5
	v_mul_f32_e32 v6, v4, v5
	v_fma_f32 v7, -v3, v6, v4
	v_fmac_f32_e32 v6, v7, v5
	v_fma_f32 v3, -v3, v6, v4
	v_div_fmas_f32 v3, v3, v5, v6
	v_mov_b32_e32 v4, 0
	global_store_dword v4, v1, s[2:3]
	v_div_fixup_f32 v0, v3, v0, v2
	s_waitcnt lgkmcnt(0)
	v_add_f32_e32 v0, s4, v0
	v_mul_f32_e32 v2, 0x4b800000, v0
	v_cmp_gt_f32_e32 vcc, s5, v0
	v_cndmask_b32_e32 v0, v0, v2, vcc
	v_rsq_f32_e32 v0, v0
	v_mul_f32_e32 v1, 0x45800000, v0
	v_cndmask_b32_e32 v0, v0, v1, vcc
	global_store_dword v4, v0, s[0:1]
	s_endpgm
	.section	.rodata,"a",@progbits
	.p2align	6, 0x0
	.amdhsa_kernel _ZN2at6native12_GLOBAL__N_124RowwiseMomentsCUDAKernelIffLb0EEEvlT0_PKT_PS3_S7_
		.amdhsa_group_segment_fixed_size 1536
		.amdhsa_private_segment_fixed_size 0
		.amdhsa_kernarg_size 296
		.amdhsa_user_sgpr_count 6
		.amdhsa_user_sgpr_private_segment_buffer 1
		.amdhsa_user_sgpr_dispatch_ptr 0
		.amdhsa_user_sgpr_queue_ptr 0
		.amdhsa_user_sgpr_kernarg_segment_ptr 1
		.amdhsa_user_sgpr_dispatch_id 0
		.amdhsa_user_sgpr_flat_scratch_init 0
		.amdhsa_user_sgpr_private_segment_size 0
		.amdhsa_uses_dynamic_stack 0
		.amdhsa_system_sgpr_private_segment_wavefront_offset 0
		.amdhsa_system_sgpr_workgroup_id_x 1
		.amdhsa_system_sgpr_workgroup_id_y 0
		.amdhsa_system_sgpr_workgroup_id_z 0
		.amdhsa_system_sgpr_workgroup_info 0
		.amdhsa_system_vgpr_workitem_id 0
		.amdhsa_next_free_vgpr 20
		.amdhsa_next_free_sgpr 21
		.amdhsa_reserve_vcc 1
		.amdhsa_reserve_flat_scratch 0
		.amdhsa_float_round_mode_32 0
		.amdhsa_float_round_mode_16_64 0
		.amdhsa_float_denorm_mode_32 3
		.amdhsa_float_denorm_mode_16_64 3
		.amdhsa_dx10_clamp 1
		.amdhsa_ieee_mode 1
		.amdhsa_fp16_overflow 0
		.amdhsa_exception_fp_ieee_invalid_op 0
		.amdhsa_exception_fp_denorm_src 0
		.amdhsa_exception_fp_ieee_div_zero 0
		.amdhsa_exception_fp_ieee_overflow 0
		.amdhsa_exception_fp_ieee_underflow 0
		.amdhsa_exception_fp_ieee_inexact 0
		.amdhsa_exception_int_div_zero 0
	.end_amdhsa_kernel
	.section	.text._ZN2at6native12_GLOBAL__N_124RowwiseMomentsCUDAKernelIffLb0EEEvlT0_PKT_PS3_S7_,"axG",@progbits,_ZN2at6native12_GLOBAL__N_124RowwiseMomentsCUDAKernelIffLb0EEEvlT0_PKT_PS3_S7_,comdat
.Lfunc_end4:
	.size	_ZN2at6native12_GLOBAL__N_124RowwiseMomentsCUDAKernelIffLb0EEEvlT0_PKT_PS3_S7_, .Lfunc_end4-_ZN2at6native12_GLOBAL__N_124RowwiseMomentsCUDAKernelIffLb0EEEvlT0_PKT_PS3_S7_
                                        ; -- End function
	.set _ZN2at6native12_GLOBAL__N_124RowwiseMomentsCUDAKernelIffLb0EEEvlT0_PKT_PS3_S7_.num_vgpr, 20
	.set _ZN2at6native12_GLOBAL__N_124RowwiseMomentsCUDAKernelIffLb0EEEvlT0_PKT_PS3_S7_.num_agpr, 0
	.set _ZN2at6native12_GLOBAL__N_124RowwiseMomentsCUDAKernelIffLb0EEEvlT0_PKT_PS3_S7_.numbered_sgpr, 21
	.set _ZN2at6native12_GLOBAL__N_124RowwiseMomentsCUDAKernelIffLb0EEEvlT0_PKT_PS3_S7_.num_named_barrier, 0
	.set _ZN2at6native12_GLOBAL__N_124RowwiseMomentsCUDAKernelIffLb0EEEvlT0_PKT_PS3_S7_.private_seg_size, 0
	.set _ZN2at6native12_GLOBAL__N_124RowwiseMomentsCUDAKernelIffLb0EEEvlT0_PKT_PS3_S7_.uses_vcc, 1
	.set _ZN2at6native12_GLOBAL__N_124RowwiseMomentsCUDAKernelIffLb0EEEvlT0_PKT_PS3_S7_.uses_flat_scratch, 0
	.set _ZN2at6native12_GLOBAL__N_124RowwiseMomentsCUDAKernelIffLb0EEEvlT0_PKT_PS3_S7_.has_dyn_sized_stack, 0
	.set _ZN2at6native12_GLOBAL__N_124RowwiseMomentsCUDAKernelIffLb0EEEvlT0_PKT_PS3_S7_.has_recursion, 0
	.set _ZN2at6native12_GLOBAL__N_124RowwiseMomentsCUDAKernelIffLb0EEEvlT0_PKT_PS3_S7_.has_indirect_call, 0
	.section	.AMDGPU.csdata,"",@progbits
; Kernel info:
; codeLenInByte = 3380
; TotalNumSgprs: 25
; NumVgprs: 20
; ScratchSize: 0
; MemoryBound: 0
; FloatMode: 240
; IeeeMode: 1
; LDSByteSize: 1536 bytes/workgroup (compile time only)
; SGPRBlocks: 3
; VGPRBlocks: 4
; NumSGPRsForWavesPerEU: 25
; NumVGPRsForWavesPerEU: 20
; Occupancy: 10
; WaveLimiterHint : 0
; COMPUTE_PGM_RSRC2:SCRATCH_EN: 0
; COMPUTE_PGM_RSRC2:USER_SGPR: 6
; COMPUTE_PGM_RSRC2:TRAP_HANDLER: 0
; COMPUTE_PGM_RSRC2:TGID_X_EN: 1
; COMPUTE_PGM_RSRC2:TGID_Y_EN: 0
; COMPUTE_PGM_RSRC2:TGID_Z_EN: 0
; COMPUTE_PGM_RSRC2:TIDIG_COMP_CNT: 0
	.section	.text._ZN2at6native12_GLOBAL__N_126LayerNormForwardCUDAKernelIffLb0EEEvlPKT_PKT0_S8_S5_S5_PS3_,"axG",@progbits,_ZN2at6native12_GLOBAL__N_126LayerNormForwardCUDAKernelIffLb0EEEvlPKT_PKT0_S8_S5_S5_PS3_,comdat
	.globl	_ZN2at6native12_GLOBAL__N_126LayerNormForwardCUDAKernelIffLb0EEEvlPKT_PKT0_S8_S5_S5_PS3_ ; -- Begin function _ZN2at6native12_GLOBAL__N_126LayerNormForwardCUDAKernelIffLb0EEEvlPKT_PKT0_S8_S5_S5_PS3_
	.p2align	8
	.type	_ZN2at6native12_GLOBAL__N_126LayerNormForwardCUDAKernelIffLb0EEEvlPKT_PKT0_S8_S5_S5_PS3_,@function
_ZN2at6native12_GLOBAL__N_126LayerNormForwardCUDAKernelIffLb0EEEvlPKT_PKT0_S8_S5_S5_PS3_: ; @_ZN2at6native12_GLOBAL__N_126LayerNormForwardCUDAKernelIffLb0EEEvlPKT_PKT0_S8_S5_S5_PS3_
; %bb.0:
	s_load_dwordx8 s[8:15], s[4:5], 0x0
	v_mov_b32_e32 v1, 0
	s_waitcnt lgkmcnt(0)
	v_cmp_gt_i64_e32 vcc, s[8:9], v[0:1]
	s_and_saveexec_b64 s[0:1], vcc
	s_cbranch_execz .LBB5_8
; %bb.1:
	s_load_dwordx8 s[16:23], s[4:5], 0x20
	s_mov_b32 s7, 0
	s_load_dword s4, s[4:5], 0x44
	s_mul_hi_u32 s5, s8, s6
	s_waitcnt lgkmcnt(0)
	s_mov_b64 s[22:23], 0
	s_cmp_lg_u64 s[16:17], 0
	s_cselect_b64 s[0:1], -1, 0
	s_cmp_lg_u64 s[18:19], 0
	s_cselect_b64 s[2:3], -1, 0
	s_lshl_b64 s[24:25], s[6:7], 2
	s_add_u32 s12, s12, s24
	s_addc_u32 s13, s13, s25
	s_add_u32 s14, s14, s24
	s_addc_u32 s15, s15, s25
	s_and_b32 s7, s4, 0xffff
	s_mul_i32 s4, s9, s6
	s_add_i32 s5, s5, s4
	s_mul_i32 s4, s8, s6
	s_lshl_b64 s[4:5], s[4:5], 2
	s_add_u32 s6, s10, s4
	s_addc_u32 s24, s11, s5
	s_lshl_b32 s10, s7, 2
	s_add_u32 s11, s20, s4
	v_cndmask_b32_e64 v2, 0, 1, s[0:1]
	v_cndmask_b32_e64 v3, 0, 1, s[2:3]
	s_addc_u32 s4, s21, s5
	v_cmp_ne_u32_e64 s[0:1], 1, v2
	v_cmp_ne_u32_e64 s[2:3], 1, v3
	v_mov_b32_e32 v3, v1
	v_lshlrev_b32_e32 v4, 2, v0
	v_mov_b32_e32 v5, v1
	v_mov_b32_e32 v6, s24
	v_mov_b32_e32 v7, s4
	v_mov_b32_e32 v2, v0
	s_branch .LBB5_4
.LBB5_2:                                ;   in Loop: Header=BB5_4 Depth=1
	v_mov_b32_e32 v9, s19
	v_add_co_u32_e32 v8, vcc, s18, v4
	v_addc_co_u32_e32 v9, vcc, v9, v5, vcc
	global_load_dword v8, v[8:9], off
.LBB5_3:                                ;   in Loop: Header=BB5_4 Depth=1
	v_add_co_u32_e32 v9, vcc, s6, v4
	v_addc_co_u32_e32 v10, vcc, v6, v5, vcc
	global_load_dword v11, v[9:10], off
	global_load_dword v12, v1, s[12:13]
	global_load_dword v13, v1, s[14:15]
	v_add_co_u32_e32 v2, vcc, s7, v2
	v_addc_co_u32_e32 v3, vcc, 0, v3, vcc
	v_cmp_le_i64_e32 vcc, s[8:9], v[2:3]
	v_add_co_u32_e64 v9, s[4:5], s11, v4
	s_or_b64 s[22:23], vcc, s[22:23]
	v_add_co_u32_e32 v4, vcc, s10, v4
	v_addc_co_u32_e64 v10, s[4:5], v7, v5, s[4:5]
	v_addc_co_u32_e32 v5, vcc, 0, v5, vcc
	s_waitcnt vmcnt(1)
	v_sub_f32_e32 v11, v11, v12
	s_waitcnt vmcnt(0)
	v_mul_f32_e32 v11, v11, v13
	v_fmac_f32_e32 v8, v0, v11
	global_store_dword v[9:10], v8, off
	s_andn2_b64 exec, exec, s[22:23]
	s_cbranch_execz .LBB5_8
.LBB5_4:                                ; =>This Inner Loop Header: Depth=1
	s_and_b64 vcc, exec, s[0:1]
	s_cbranch_vccnz .LBB5_6
; %bb.5:                                ;   in Loop: Header=BB5_4 Depth=1
	v_mov_b32_e32 v0, s17
	v_add_co_u32_e32 v8, vcc, s16, v4
	v_addc_co_u32_e32 v9, vcc, v0, v5, vcc
	global_load_dword v0, v[8:9], off
	s_and_b64 vcc, exec, s[2:3]
	s_cbranch_vccz .LBB5_2
	s_branch .LBB5_7
.LBB5_6:                                ;   in Loop: Header=BB5_4 Depth=1
	v_mov_b32_e32 v0, 1.0
	s_and_b64 vcc, exec, s[2:3]
	s_cbranch_vccz .LBB5_2
.LBB5_7:                                ;   in Loop: Header=BB5_4 Depth=1
	v_mov_b32_e32 v8, 0
	s_branch .LBB5_3
.LBB5_8:
	s_endpgm
	.section	.rodata,"a",@progbits
	.p2align	6, 0x0
	.amdhsa_kernel _ZN2at6native12_GLOBAL__N_126LayerNormForwardCUDAKernelIffLb0EEEvlPKT_PKT0_S8_S5_S5_PS3_
		.amdhsa_group_segment_fixed_size 0
		.amdhsa_private_segment_fixed_size 0
		.amdhsa_kernarg_size 312
		.amdhsa_user_sgpr_count 6
		.amdhsa_user_sgpr_private_segment_buffer 1
		.amdhsa_user_sgpr_dispatch_ptr 0
		.amdhsa_user_sgpr_queue_ptr 0
		.amdhsa_user_sgpr_kernarg_segment_ptr 1
		.amdhsa_user_sgpr_dispatch_id 0
		.amdhsa_user_sgpr_flat_scratch_init 0
		.amdhsa_user_sgpr_private_segment_size 0
		.amdhsa_uses_dynamic_stack 0
		.amdhsa_system_sgpr_private_segment_wavefront_offset 0
		.amdhsa_system_sgpr_workgroup_id_x 1
		.amdhsa_system_sgpr_workgroup_id_y 0
		.amdhsa_system_sgpr_workgroup_id_z 0
		.amdhsa_system_sgpr_workgroup_info 0
		.amdhsa_system_vgpr_workitem_id 0
		.amdhsa_next_free_vgpr 14
		.amdhsa_next_free_sgpr 26
		.amdhsa_reserve_vcc 1
		.amdhsa_reserve_flat_scratch 0
		.amdhsa_float_round_mode_32 0
		.amdhsa_float_round_mode_16_64 0
		.amdhsa_float_denorm_mode_32 3
		.amdhsa_float_denorm_mode_16_64 3
		.amdhsa_dx10_clamp 1
		.amdhsa_ieee_mode 1
		.amdhsa_fp16_overflow 0
		.amdhsa_exception_fp_ieee_invalid_op 0
		.amdhsa_exception_fp_denorm_src 0
		.amdhsa_exception_fp_ieee_div_zero 0
		.amdhsa_exception_fp_ieee_overflow 0
		.amdhsa_exception_fp_ieee_underflow 0
		.amdhsa_exception_fp_ieee_inexact 0
		.amdhsa_exception_int_div_zero 0
	.end_amdhsa_kernel
	.section	.text._ZN2at6native12_GLOBAL__N_126LayerNormForwardCUDAKernelIffLb0EEEvlPKT_PKT0_S8_S5_S5_PS3_,"axG",@progbits,_ZN2at6native12_GLOBAL__N_126LayerNormForwardCUDAKernelIffLb0EEEvlPKT_PKT0_S8_S5_S5_PS3_,comdat
.Lfunc_end5:
	.size	_ZN2at6native12_GLOBAL__N_126LayerNormForwardCUDAKernelIffLb0EEEvlPKT_PKT0_S8_S5_S5_PS3_, .Lfunc_end5-_ZN2at6native12_GLOBAL__N_126LayerNormForwardCUDAKernelIffLb0EEEvlPKT_PKT0_S8_S5_S5_PS3_
                                        ; -- End function
	.set _ZN2at6native12_GLOBAL__N_126LayerNormForwardCUDAKernelIffLb0EEEvlPKT_PKT0_S8_S5_S5_PS3_.num_vgpr, 14
	.set _ZN2at6native12_GLOBAL__N_126LayerNormForwardCUDAKernelIffLb0EEEvlPKT_PKT0_S8_S5_S5_PS3_.num_agpr, 0
	.set _ZN2at6native12_GLOBAL__N_126LayerNormForwardCUDAKernelIffLb0EEEvlPKT_PKT0_S8_S5_S5_PS3_.numbered_sgpr, 26
	.set _ZN2at6native12_GLOBAL__N_126LayerNormForwardCUDAKernelIffLb0EEEvlPKT_PKT0_S8_S5_S5_PS3_.num_named_barrier, 0
	.set _ZN2at6native12_GLOBAL__N_126LayerNormForwardCUDAKernelIffLb0EEEvlPKT_PKT0_S8_S5_S5_PS3_.private_seg_size, 0
	.set _ZN2at6native12_GLOBAL__N_126LayerNormForwardCUDAKernelIffLb0EEEvlPKT_PKT0_S8_S5_S5_PS3_.uses_vcc, 1
	.set _ZN2at6native12_GLOBAL__N_126LayerNormForwardCUDAKernelIffLb0EEEvlPKT_PKT0_S8_S5_S5_PS3_.uses_flat_scratch, 0
	.set _ZN2at6native12_GLOBAL__N_126LayerNormForwardCUDAKernelIffLb0EEEvlPKT_PKT0_S8_S5_S5_PS3_.has_dyn_sized_stack, 0
	.set _ZN2at6native12_GLOBAL__N_126LayerNormForwardCUDAKernelIffLb0EEEvlPKT_PKT0_S8_S5_S5_PS3_.has_recursion, 0
	.set _ZN2at6native12_GLOBAL__N_126LayerNormForwardCUDAKernelIffLb0EEEvlPKT_PKT0_S8_S5_S5_PS3_.has_indirect_call, 0
	.section	.AMDGPU.csdata,"",@progbits
; Kernel info:
; codeLenInByte = 392
; TotalNumSgprs: 30
; NumVgprs: 14
; ScratchSize: 0
; MemoryBound: 0
; FloatMode: 240
; IeeeMode: 1
; LDSByteSize: 0 bytes/workgroup (compile time only)
; SGPRBlocks: 3
; VGPRBlocks: 3
; NumSGPRsForWavesPerEU: 30
; NumVGPRsForWavesPerEU: 14
; Occupancy: 10
; WaveLimiterHint : 0
; COMPUTE_PGM_RSRC2:SCRATCH_EN: 0
; COMPUTE_PGM_RSRC2:USER_SGPR: 6
; COMPUTE_PGM_RSRC2:TRAP_HANDLER: 0
; COMPUTE_PGM_RSRC2:TGID_X_EN: 1
; COMPUTE_PGM_RSRC2:TGID_Y_EN: 0
; COMPUTE_PGM_RSRC2:TGID_Z_EN: 0
; COMPUTE_PGM_RSRC2:TIDIG_COMP_CNT: 0
	.section	.text._ZN2at6native12_GLOBAL__N_128vectorized_layer_norm_kernelIN3c104HalfEfLb0EEEviT0_PKT_S8_S8_PS5_S9_PS6_,"axG",@progbits,_ZN2at6native12_GLOBAL__N_128vectorized_layer_norm_kernelIN3c104HalfEfLb0EEEviT0_PKT_S8_S8_PS5_S9_PS6_,comdat
	.globl	_ZN2at6native12_GLOBAL__N_128vectorized_layer_norm_kernelIN3c104HalfEfLb0EEEviT0_PKT_S8_S8_PS5_S9_PS6_ ; -- Begin function _ZN2at6native12_GLOBAL__N_128vectorized_layer_norm_kernelIN3c104HalfEfLb0EEEviT0_PKT_S8_S8_PS5_S9_PS6_
	.p2align	8
	.type	_ZN2at6native12_GLOBAL__N_128vectorized_layer_norm_kernelIN3c104HalfEfLb0EEEviT0_PKT_S8_S8_PS5_S9_PS6_,@function
_ZN2at6native12_GLOBAL__N_128vectorized_layer_norm_kernelIN3c104HalfEfLb0EEEviT0_PKT_S8_S8_PS5_S9_PS6_: ; @_ZN2at6native12_GLOBAL__N_128vectorized_layer_norm_kernelIN3c104HalfEfLb0EEEviT0_PKT_S8_S8_PS5_S9_PS6_
; %bb.0:
	s_load_dwordx4 s[16:19], s[4:5], 0x0
	s_load_dword s0, s[4:5], 0x44
	s_mov_b32 s7, 0
	v_mov_b32_e32 v12, 0
	v_mov_b32_e32 v9, 0
	s_waitcnt lgkmcnt(0)
	s_ashr_i32 s1, s16, 31
	s_lshr_b32 s12, s0, 16
	s_and_b32 s0, s0, 0xffff
	s_mul_i32 s20, s12, s0
	v_mul_u32_u24_e32 v2, s0, v1
	v_mad_u32_u24 v7, v1, s0, v0
	s_lshr_b32 s0, s1, 30
	s_add_i32 s0, s16, s0
	s_mul_hi_u32 s2, s16, s6
	s_mul_i32 s3, s1, s6
	s_ashr_i32 s26, s0, 2
	s_add_i32 s23, s2, s3
	s_mul_i32 s22, s16, s6
	v_cmp_gt_i32_e64 s[0:1], s26, v7
	v_add_lshl_u32 v8, v2, v0, 3
	v_mov_b32_e32 v6, 0
	s_and_saveexec_b64 s[2:3], s[0:1]
	s_cbranch_execz .LBB6_4
; %bb.1:
	s_lshl_b64 s[8:9], s[22:23], 1
	s_add_u32 s8, s18, s8
	s_addc_u32 s9, s19, s9
	v_mov_b32_e32 v2, s9
	v_add_co_u32_e32 v3, vcc, s8, v8
	v_addc_co_u32_e32 v4, vcc, 0, v2, vcc
	s_ashr_i32 s21, s20, 31
	v_add_co_u32_e32 v2, vcc, 2, v3
	s_lshl_b64 s[10:11], s[20:21], 3
	v_mov_b32_e32 v12, 0
	v_addc_co_u32_e32 v3, vcc, 0, v4, vcc
	s_mov_b64 s[8:9], 0
	v_mov_b32_e32 v10, s11
	v_mov_b32_e32 v11, v7
	;; [unrolled: 1-line block ×4, first 2 shown]
.LBB6_2:                                ; =>This Inner Loop Header: Depth=1
	global_load_dwordx2 v[4:5], v[2:3], off offset:-2
	v_add_f32_e32 v12, 1.0, v12
	v_div_scale_f32 v15, s[14:15], v12, v12, 1.0
	v_add_u32_e32 v11, s20, v11
	v_rcp_f32_e32 v16, v15
	v_fma_f32 v17, -v15, v16, 1.0
	v_fmac_f32_e32 v16, v17, v16
	v_div_scale_f32 v17, vcc, 1.0, v12, 1.0
	v_mul_f32_e32 v18, v17, v16
	v_fma_f32 v19, -v15, v18, v17
	v_fmac_f32_e32 v18, v19, v16
	v_fma_f32 v15, -v15, v18, v17
	v_div_fmas_f32 v15, v15, v16, v18
	v_div_fixup_f32 v15, v15, v12, 1.0
	v_add_f32_e32 v12, 1.0, v12
	s_waitcnt vmcnt(0)
	v_cvt_f32_f16_e32 v13, v4
	v_cvt_f32_f16_sdwa v4, v4 dst_sel:DWORD dst_unused:UNUSED_PAD src0_sel:WORD_1
	v_sub_f32_e32 v14, v13, v6
	v_fmac_f32_e32 v6, v15, v14
	v_sub_f32_e32 v13, v13, v6
	v_fmac_f32_e32 v9, v14, v13
	v_div_scale_f32 v14, s[14:15], v12, v12, 1.0
	v_sub_f32_e32 v13, v4, v6
	v_rcp_f32_e32 v15, v14
	v_fma_f32 v16, -v14, v15, 1.0
	v_fmac_f32_e32 v15, v16, v15
	v_div_scale_f32 v16, vcc, 1.0, v12, 1.0
	v_mul_f32_e32 v17, v16, v15
	v_fma_f32 v18, -v14, v17, v16
	v_fmac_f32_e32 v17, v18, v15
	v_fma_f32 v14, -v14, v17, v16
	v_div_fmas_f32 v14, v14, v15, v17
	v_div_fixup_f32 v14, v14, v12, 1.0
	v_fmac_f32_e32 v6, v14, v13
	v_sub_f32_e32 v4, v4, v6
	v_fmac_f32_e32 v9, v13, v4
	v_add_f32_e32 v4, 1.0, v12
	v_div_scale_f32 v12, s[14:15], v4, v4, 1.0
	v_rcp_f32_e32 v13, v12
	v_fma_f32 v14, -v12, v13, 1.0
	v_fmac_f32_e32 v13, v14, v13
	v_div_scale_f32 v14, vcc, 1.0, v4, 1.0
	v_mul_f32_e32 v15, v14, v13
	v_fma_f32 v16, -v12, v15, v14
	v_fmac_f32_e32 v15, v16, v13
	v_fma_f32 v12, -v12, v15, v14
	v_div_fmas_f32 v12, v12, v13, v15
	v_div_fixup_f32 v13, v12, v4, 1.0
	v_add_f32_e32 v12, 1.0, v4
	v_div_scale_f32 v4, s[14:15], v12, v12, 1.0
	v_rcp_f32_e32 v14, v4
	v_fma_f32 v15, -v4, v14, 1.0
	v_fmac_f32_e32 v14, v15, v14
	v_div_scale_f32 v15, vcc, 1.0, v12, 1.0
	v_mul_f32_e32 v16, v15, v14
	v_fma_f32 v17, -v4, v16, v15
	v_fmac_f32_e32 v16, v17, v14
	v_fma_f32 v4, -v4, v16, v15
	v_div_fmas_f32 v4, v4, v14, v16
	v_cvt_f32_f16_sdwa v14, v5 dst_sel:DWORD dst_unused:UNUSED_PAD src0_sel:WORD_1
	v_cvt_f32_f16_e32 v5, v5
	v_mov_b32_e32 v16, v6
	v_add_co_u32_e32 v2, vcc, s10, v2
	v_sub_f32_e32 v15, v5, v6
	v_fmac_f32_e32 v16, v13, v15
	v_sub_f32_e32 v13, v14, v16
	v_sub_f32_e32 v5, v5, v16
	v_addc_co_u32_e32 v3, vcc, v3, v10, vcc
	v_fmac_f32_e32 v9, v15, v5
	v_cmp_le_i32_e32 vcc, s26, v11
	s_or_b64 s[8:9], vcc, s[8:9]
	v_div_fixup_f32 v4, v4, v12, 1.0
	v_fma_f32 v6, v4, v13, v16
	v_sub_f32_e32 v4, v14, v6
	v_fmac_f32_e32 v9, v13, v4
	s_andn2_b64 exec, exec, s[8:9]
	s_cbranch_execnz .LBB6_2
; %bb.3:
	s_or_b64 exec, exec, s[8:9]
.LBB6_4:
	s_or_b64 exec, exec, s[2:3]
	v_mbcnt_lo_u32_b32 v2, -1, 0
	v_mbcnt_hi_u32_b32 v3, -1, v2
	v_lshlrev_b32_e32 v2, 2, v3
	v_or_b32_e32 v10, 0x80, v2
	ds_bpermute_b32 v14, v10, v12
	ds_bpermute_b32 v5, v10, v6
	;; [unrolled: 1-line block ×3, first 2 shown]
	v_mov_b32_e32 v4, 0
	v_mov_b32_e32 v11, 0
	s_waitcnt lgkmcnt(2)
	v_add_f32_e32 v10, v12, v14
	v_cmp_lt_f32_e32 vcc, 0, v10
	v_mov_b32_e32 v13, 0
	s_and_saveexec_b64 s[2:3], vcc
	s_cbranch_execz .LBB6_6
; %bb.5:
	v_div_scale_f32 v11, s[8:9], v10, v10, 1.0
	v_div_scale_f32 v13, vcc, 1.0, v10, 1.0
	v_rcp_f32_e32 v16, v11
	v_fma_f32 v17, -v11, v16, 1.0
	v_fmac_f32_e32 v16, v17, v16
	v_mul_f32_e32 v17, v13, v16
	v_fma_f32 v18, -v11, v17, v13
	v_fmac_f32_e32 v17, v18, v16
	v_fma_f32 v11, -v11, v17, v13
	v_div_fmas_f32 v13, v11, v16, v17
	s_waitcnt lgkmcnt(1)
	v_sub_f32_e32 v16, v6, v5
	s_waitcnt lgkmcnt(0)
	v_add_f32_e32 v11, v9, v15
	v_mul_f32_e32 v9, v16, v16
	v_mul_f32_e32 v9, v9, v14
	v_div_fixup_f32 v13, v13, v10, 1.0
	v_mul_f32_e32 v12, v12, v13
	v_mul_f32_e32 v14, v13, v14
	v_mul_f32_e32 v13, v6, v12
	v_fmac_f32_e32 v13, v14, v5
	v_fmac_f32_e32 v11, v9, v12
.LBB6_6:
	s_or_b64 exec, exec, s[2:3]
	s_waitcnt lgkmcnt(1)
	v_and_b32_e32 v5, 63, v3
	v_cmp_gt_u32_e32 vcc, 48, v5
	v_cndmask_b32_e64 v6, 0, 16, vcc
	v_add_lshl_u32 v9, v6, v3, 2
	ds_bpermute_b32 v14, v9, v10
	ds_bpermute_b32 v6, v9, v13
	s_waitcnt lgkmcnt(2)
	ds_bpermute_b32 v15, v9, v11
	v_mov_b32_e32 v12, 0
	s_waitcnt lgkmcnt(2)
	v_add_f32_e32 v9, v10, v14
	v_cmp_lt_f32_e32 vcc, 0, v9
	s_and_saveexec_b64 s[2:3], vcc
	s_cbranch_execz .LBB6_8
; %bb.7:
	v_div_scale_f32 v4, s[8:9], v9, v9, 1.0
	v_div_scale_f32 v12, vcc, 1.0, v9, 1.0
	v_rcp_f32_e32 v16, v4
	v_fma_f32 v17, -v4, v16, 1.0
	v_fmac_f32_e32 v16, v17, v16
	v_mul_f32_e32 v17, v12, v16
	v_fma_f32 v18, -v4, v17, v12
	v_fmac_f32_e32 v17, v18, v16
	v_fma_f32 v4, -v4, v17, v12
	v_div_fmas_f32 v12, v4, v16, v17
	s_waitcnt lgkmcnt(1)
	v_sub_f32_e32 v16, v13, v6
	s_waitcnt lgkmcnt(0)
	v_add_f32_e32 v4, v11, v15
	v_mul_f32_e32 v11, v16, v16
	v_mul_f32_e32 v11, v11, v14
	v_div_fixup_f32 v12, v12, v9, 1.0
	v_mul_f32_e32 v10, v10, v12
	v_mul_f32_e32 v14, v12, v14
	;; [unrolled: 1-line block ×3, first 2 shown]
	v_fmac_f32_e32 v12, v14, v6
	v_fmac_f32_e32 v4, v11, v10
.LBB6_8:
	s_or_b64 exec, exec, s[2:3]
	v_cmp_gt_u32_e32 vcc, 56, v5
	s_waitcnt lgkmcnt(1)
	v_cndmask_b32_e64 v6, 0, 8, vcc
	v_add_lshl_u32 v10, v6, v3, 2
	s_waitcnt lgkmcnt(0)
	ds_bpermute_b32 v15, v10, v9
	ds_bpermute_b32 v11, v10, v12
	;; [unrolled: 1-line block ×3, first 2 shown]
	v_mov_b32_e32 v6, 0
	v_mov_b32_e32 v13, 0
	s_waitcnt lgkmcnt(2)
	v_add_f32_e32 v10, v9, v15
	v_cmp_lt_f32_e32 vcc, 0, v10
	v_mov_b32_e32 v14, 0
	s_and_saveexec_b64 s[2:3], vcc
	s_cbranch_execz .LBB6_10
; %bb.9:
	v_div_scale_f32 v13, s[8:9], v10, v10, 1.0
	v_div_scale_f32 v14, vcc, 1.0, v10, 1.0
	v_rcp_f32_e32 v17, v13
	v_fma_f32 v18, -v13, v17, 1.0
	v_fmac_f32_e32 v17, v18, v17
	v_mul_f32_e32 v18, v14, v17
	v_fma_f32 v19, -v13, v18, v14
	v_fmac_f32_e32 v18, v19, v17
	v_fma_f32 v13, -v13, v18, v14
	v_div_fmas_f32 v14, v13, v17, v18
	s_waitcnt lgkmcnt(1)
	v_sub_f32_e32 v17, v12, v11
	s_waitcnt lgkmcnt(0)
	v_add_f32_e32 v13, v4, v16
	v_mul_f32_e32 v4, v17, v17
	v_mul_f32_e32 v4, v4, v15
	v_div_fixup_f32 v14, v14, v10, 1.0
	v_mul_f32_e32 v9, v9, v14
	v_mul_f32_e32 v15, v14, v15
	;; [unrolled: 1-line block ×3, first 2 shown]
	v_fmac_f32_e32 v14, v15, v11
	v_fmac_f32_e32 v13, v4, v9
.LBB6_10:
	s_or_b64 exec, exec, s[2:3]
	v_cmp_gt_u32_e32 vcc, 60, v5
	v_cndmask_b32_e64 v4, 0, 4, vcc
	v_add_lshl_u32 v9, v4, v3, 2
	ds_bpermute_b32 v12, v9, v10
	ds_bpermute_b32 v4, v9, v14
	;; [unrolled: 1-line block ×3, first 2 shown]
	s_waitcnt lgkmcnt(4)
	v_mov_b32_e32 v11, 0
	s_waitcnt lgkmcnt(2)
	v_add_f32_e32 v9, v10, v12
	v_cmp_lt_f32_e32 vcc, 0, v9
	s_and_saveexec_b64 s[2:3], vcc
	s_cbranch_execz .LBB6_12
; %bb.11:
	v_div_scale_f32 v6, s[8:9], v9, v9, 1.0
	v_div_scale_f32 v11, vcc, 1.0, v9, 1.0
	v_rcp_f32_e32 v16, v6
	v_fma_f32 v17, -v6, v16, 1.0
	v_fmac_f32_e32 v16, v17, v16
	v_mul_f32_e32 v17, v11, v16
	v_fma_f32 v18, -v6, v17, v11
	v_fmac_f32_e32 v17, v18, v16
	v_fma_f32 v6, -v6, v17, v11
	v_div_fmas_f32 v11, v6, v16, v17
	s_waitcnt lgkmcnt(1)
	v_sub_f32_e32 v16, v14, v4
	s_waitcnt lgkmcnt(0)
	v_add_f32_e32 v6, v13, v15
	v_mul_f32_e32 v13, v16, v16
	v_mul_f32_e32 v13, v13, v12
	v_div_fixup_f32 v11, v11, v9, 1.0
	v_mul_f32_e32 v10, v10, v11
	v_mul_f32_e32 v12, v11, v12
	;; [unrolled: 1-line block ×3, first 2 shown]
	v_fmac_f32_e32 v11, v12, v4
	v_fmac_f32_e32 v6, v13, v10
.LBB6_12:
	s_or_b64 exec, exec, s[2:3]
	v_cmp_gt_u32_e32 vcc, 62, v5
	s_waitcnt lgkmcnt(1)
	v_cndmask_b32_e64 v4, 0, 2, vcc
	v_add_lshl_u32 v10, v4, v3, 2
	s_waitcnt lgkmcnt(0)
	ds_bpermute_b32 v15, v10, v9
	ds_bpermute_b32 v14, v10, v11
	;; [unrolled: 1-line block ×3, first 2 shown]
	v_mov_b32_e32 v4, 0
	v_mov_b32_e32 v12, 0
	s_waitcnt lgkmcnt(2)
	v_add_f32_e32 v10, v9, v15
	v_cmp_lt_f32_e32 vcc, 0, v10
	v_mov_b32_e32 v13, 0
	s_and_saveexec_b64 s[2:3], vcc
	s_cbranch_execz .LBB6_14
; %bb.13:
	v_div_scale_f32 v12, s[8:9], v10, v10, 1.0
	v_div_scale_f32 v13, vcc, 1.0, v10, 1.0
	v_rcp_f32_e32 v17, v12
	v_fma_f32 v18, -v12, v17, 1.0
	v_fmac_f32_e32 v17, v18, v17
	v_mul_f32_e32 v18, v13, v17
	v_fma_f32 v19, -v12, v18, v13
	v_fmac_f32_e32 v18, v19, v17
	v_fma_f32 v12, -v12, v18, v13
	v_div_fmas_f32 v13, v12, v17, v18
	s_waitcnt lgkmcnt(1)
	v_sub_f32_e32 v17, v11, v14
	s_waitcnt lgkmcnt(0)
	v_add_f32_e32 v12, v6, v16
	v_mul_f32_e32 v6, v17, v17
	v_mul_f32_e32 v6, v6, v15
	v_div_fixup_f32 v13, v13, v10, 1.0
	v_mul_f32_e32 v9, v9, v13
	v_mul_f32_e32 v15, v13, v15
	;; [unrolled: 1-line block ×3, first 2 shown]
	v_fmac_f32_e32 v13, v15, v14
	v_fmac_f32_e32 v12, v6, v9
.LBB6_14:
	s_or_b64 exec, exec, s[2:3]
	v_cmp_ne_u32_e32 vcc, 63, v5
	v_addc_co_u32_e32 v3, vcc, 0, v3, vcc
	v_lshlrev_b32_e32 v5, 2, v3
	ds_bpermute_b32 v9, v5, v10
	ds_bpermute_b32 v3, v5, v13
	ds_bpermute_b32 v11, v5, v12
	v_mov_b32_e32 v6, 0
	s_waitcnt lgkmcnt(2)
	v_add_f32_e32 v5, v10, v9
	v_cmp_lt_f32_e32 vcc, 0, v5
	s_and_saveexec_b64 s[2:3], vcc
	s_cbranch_execz .LBB6_16
; %bb.15:
	v_div_scale_f32 v4, s[8:9], v5, v5, 1.0
	v_div_scale_f32 v6, vcc, 1.0, v5, 1.0
	v_rcp_f32_e32 v14, v4
	v_fma_f32 v15, -v4, v14, 1.0
	v_fmac_f32_e32 v14, v15, v14
	v_mul_f32_e32 v15, v6, v14
	v_fma_f32 v16, -v4, v15, v6
	v_fmac_f32_e32 v15, v16, v14
	v_fma_f32 v4, -v4, v15, v6
	v_div_fmas_f32 v6, v4, v14, v15
	s_waitcnt lgkmcnt(1)
	v_sub_f32_e32 v14, v13, v3
	s_waitcnt lgkmcnt(0)
	v_add_f32_e32 v4, v12, v11
	v_mul_f32_e32 v11, v14, v14
	v_mul_f32_e32 v11, v11, v9
	v_div_fixup_f32 v6, v6, v5, 1.0
	v_mul_f32_e32 v10, v10, v6
	v_mul_f32_e32 v9, v6, v9
	;; [unrolled: 1-line block ×3, first 2 shown]
	v_fmac_f32_e32 v6, v9, v3
	v_fmac_f32_e32 v4, v11, v10
.LBB6_16:
	s_or_b64 exec, exec, s[2:3]
	s_cmp_lt_u32 s12, 2
	s_cbranch_scc0 .LBB6_18
; %bb.17:
	v_and_b32_e32 v2, 0x100, v2
	s_waitcnt lgkmcnt(1)
	ds_bpermute_b32 v3, v2, v4
	v_cvt_f32_i32_e32 v9, s16
	ds_bpermute_b32 v2, v2, v6
	s_waitcnt lgkmcnt(1)
	v_div_scale_f32 v10, s[2:3], v9, v9, v3
	v_div_scale_f32 v11, vcc, v3, v9, v3
	v_rcp_f32_e32 v12, v10
	v_fma_f32 v13, -v10, v12, 1.0
	v_fmac_f32_e32 v12, v13, v12
	v_mul_f32_e32 v13, v11, v12
	v_fma_f32 v14, -v10, v13, v11
	v_fmac_f32_e32 v13, v14, v12
	v_fma_f32 v10, -v10, v13, v11
	v_div_fmas_f32 v10, v10, v12, v13
	v_div_fixup_f32 v3, v10, v9, v3
	s_cbranch_execz .LBB6_19
	s_branch .LBB6_31
.LBB6_18:
                                        ; implicit-def: $vgpr3
.LBB6_19:
	s_lshl_b32 s2, s12, 2
	s_add_i32 s13, s2, 0
	s_waitcnt lgkmcnt(1)
	v_lshlrev_b32_e32 v3, 3, v1
	v_cmp_eq_u32_e64 s[2:3], 0, v0
	s_waitcnt lgkmcnt(0)
	v_lshl_add_u32 v2, v1, 2, s13
	v_add_u32_e32 v3, 0, v3
.LBB6_20:                               ; =>This Inner Loop Header: Depth=1
	s_lshr_b32 s14, s12, 1
	v_cmp_le_u32_e32 vcc, s14, v1
	s_and_b32 s10, s12, 0xfffe
	s_and_b64 s[8:9], s[2:3], vcc
	v_cmp_gt_u32_e32 vcc, s10, v1
	s_and_b64 s[10:11], s[8:9], vcc
	s_and_saveexec_b64 s[8:9], s[10:11]
	s_cbranch_execz .LBB6_22
; %bb.21:                               ;   in Loop: Header=BB6_20 Depth=1
	v_subrev_u32_e32 v9, s14, v1
	v_lshl_add_u32 v10, v9, 2, s13
	v_lshl_add_u32 v9, v9, 3, 0
	ds_write2_b32 v9, v6, v4 offset1:1
	ds_write_b32 v10, v5
.LBB6_22:                               ;   in Loop: Header=BB6_20 Depth=1
	s_or_b64 exec, exec, s[8:9]
	v_cmp_gt_u32_e32 vcc, s14, v1
	s_and_b64 s[10:11], s[2:3], vcc
	s_waitcnt lgkmcnt(0)
	s_barrier
	s_and_saveexec_b64 s[8:9], s[10:11]
	s_cbranch_execz .LBB6_26
; %bb.23:                               ;   in Loop: Header=BB6_20 Depth=1
	ds_read_b32 v10, v2
	v_mov_b32_e32 v11, 0
	v_mov_b32_e32 v12, 0
	s_waitcnt lgkmcnt(0)
	v_add_f32_e32 v9, v5, v10
	v_cmp_lt_f32_e32 vcc, 0, v9
	s_and_saveexec_b64 s[10:11], vcc
	s_cbranch_execz .LBB6_25
; %bb.24:                               ;   in Loop: Header=BB6_20 Depth=1
	v_div_scale_f32 v11, s[24:25], v9, v9, 1.0
	v_div_scale_f32 v12, vcc, 1.0, v9, 1.0
	v_rcp_f32_e32 v13, v11
	v_fma_f32 v14, -v11, v13, 1.0
	v_fmac_f32_e32 v13, v14, v13
	v_mul_f32_e32 v14, v12, v13
	v_fma_f32 v15, -v11, v14, v12
	v_fmac_f32_e32 v14, v15, v13
	v_fma_f32 v11, -v11, v14, v12
	v_div_fmas_f32 v14, v11, v13, v14
	ds_read2_b32 v[12:13], v3 offset1:1
	s_waitcnt lgkmcnt(0)
	v_sub_f32_e32 v15, v6, v12
	v_add_f32_e32 v11, v4, v13
	v_mul_f32_e32 v4, v15, v15
	v_mul_f32_e32 v4, v10, v4
	v_div_fixup_f32 v13, v14, v9, 1.0
	v_mul_f32_e32 v10, v10, v13
	v_mul_f32_e32 v5, v5, v13
	;; [unrolled: 1-line block ×3, first 2 shown]
	v_fmac_f32_e32 v12, v6, v5
	v_fmac_f32_e32 v11, v5, v4
.LBB6_25:                               ;   in Loop: Header=BB6_20 Depth=1
	s_or_b64 exec, exec, s[10:11]
	v_mov_b32_e32 v6, v12
	v_mov_b32_e32 v4, v11
	;; [unrolled: 1-line block ×3, first 2 shown]
.LBB6_26:                               ;   in Loop: Header=BB6_20 Depth=1
	s_or_b64 exec, exec, s[8:9]
	s_cmp_lt_u32 s12, 4
	s_barrier
	s_cbranch_scc1 .LBB6_28
; %bb.27:                               ;   in Loop: Header=BB6_20 Depth=1
	s_mov_b32 s12, s14
	s_branch .LBB6_20
.LBB6_28:
	v_or_b32_e32 v0, v0, v1
	v_cmp_eq_u32_e32 vcc, 0, v0
	s_and_saveexec_b64 s[2:3], vcc
	s_cbranch_execz .LBB6_30
; %bb.29:
	v_cvt_f32_i32_e32 v0, s16
	v_div_scale_f32 v1, s[8:9], v0, v0, v4
	v_div_scale_f32 v2, vcc, v4, v0, v4
	v_rcp_f32_e32 v3, v1
	v_fma_f32 v5, -v1, v3, 1.0
	v_fmac_f32_e32 v3, v5, v3
	v_mul_f32_e32 v5, v2, v3
	v_fma_f32 v9, -v1, v5, v2
	v_fmac_f32_e32 v5, v9, v3
	v_fma_f32 v1, -v1, v5, v2
	v_div_fmas_f32 v1, v1, v3, v5
	v_div_fixup_f32 v0, v1, v0, v4
	v_mov_b32_e32 v1, 0
	ds_write2_b32 v1, v6, v0 offset1:1
.LBB6_30:
	s_or_b64 exec, exec, s[2:3]
	v_mov_b32_e32 v0, 0
	s_waitcnt lgkmcnt(0)
	s_barrier
	ds_read2_b32 v[2:3], v0 offset1:1
.LBB6_31:
	s_waitcnt lgkmcnt(0)
	v_add_f32_e32 v0, s17, v3
	s_mov_b32 s2, 0x800000
	v_mul_f32_e32 v1, 0x4b800000, v0
	v_cmp_gt_f32_e32 vcc, s2, v0
	v_cndmask_b32_e32 v0, v0, v1, vcc
	v_rsq_f32_e32 v0, v0
	s_load_dwordx8 s[8:15], s[4:5], 0x10
	s_load_dwordx2 s[24:25], s[4:5], 0x30
	v_mul_f32_e32 v1, 0x45800000, v0
	v_cndmask_b32_e32 v9, v0, v1, vcc
	s_and_saveexec_b64 s[2:3], s[0:1]
	s_cbranch_execz .LBB6_46
; %bb.32:
	s_waitcnt lgkmcnt(0)
	s_cmp_eq_u64 s[8:9], 0
	s_cselect_b64 s[16:17], -1, 0
	s_cmp_eq_u64 s[10:11], 0
	s_cselect_b64 s[0:1], -1, 0
	s_lshl_b64 s[30:31], s[22:23], 1
	s_add_u32 s27, s24, s30
	s_addc_u32 s28, s25, s31
	s_ashr_i32 s21, s20, 31
	s_or_b64 s[22:23], s[16:17], s[0:1]
	s_lshl_b64 s[24:25], s[20:21], 3
	v_cndmask_b32_e64 v0, 0, 1, s[0:1]
	s_add_u32 s0, s18, s30
	s_addc_u32 s1, s19, s31
	s_add_u32 s18, s0, 4
	s_addc_u32 s0, s1, 0
	s_add_u32 s19, s8, 4
	s_mov_b64 s[4:5], 0
	v_mov_b32_e32 v10, v9
	v_mov_b32_e32 v11, v2
	;; [unrolled: 1-line block ×3, first 2 shown]
	s_addc_u32 s21, s9, 0
	v_mov_b32_e32 v13, s0
	v_cmp_ne_u32_e64 s[0:1], 1, v0
	v_mov_b32_e32 v14, v7
	s_branch .LBB6_34
.LBB6_33:                               ;   in Loop: Header=BB6_34 Depth=1
	v_cvt_f16_f32_e32 v15, v4
	v_cvt_f16_f32_e32 v3, v3
	;; [unrolled: 1-line block ×4, first 2 shown]
	s_waitcnt vmcnt(0)
	v_mov_b32_e32 v1, s28
	v_add_co_u32_e32 v0, vcc, s27, v8
	v_addc_co_u32_e32 v1, vcc, v1, v12, vcc
	v_add_u32_e32 v14, s20, v14
	v_pack_b32_f16 v4, v5, v4
	v_pack_b32_f16 v3, v3, v15
	v_cmp_le_i32_e32 vcc, s26, v14
	global_store_dwordx2 v[0:1], v[3:4], off
	v_mov_b32_e32 v0, s25
	s_or_b64 s[4:5], vcc, s[4:5]
	v_add_co_u32_e32 v8, vcc, s24, v8
	v_addc_co_u32_e32 v12, vcc, v12, v0, vcc
	s_andn2_b64 exec, exec, s[4:5]
	s_cbranch_execz .LBB6_46
.LBB6_34:                               ; =>This Inner Loop Header: Depth=1
	v_add_co_u32_e32 v0, vcc, s18, v8
	v_addc_co_u32_e32 v1, vcc, v13, v12, vcc
	global_load_dwordx2 v[0:1], v[0:1], off offset:-4
	s_mov_b64 s[8:9], -1
	s_and_b64 vcc, exec, s[22:23]
                                        ; implicit-def: $vgpr5_vgpr6
                                        ; implicit-def: $vgpr3_vgpr4
	s_cbranch_vccz .LBB6_44
; %bb.35:                               ;   in Loop: Header=BB6_34 Depth=1
	s_and_b64 vcc, exec, s[16:17]
                                        ; implicit-def: $vgpr5_vgpr6
                                        ; implicit-def: $vgpr3_vgpr4
	s_cbranch_vccz .LBB6_41
; %bb.36:                               ;   in Loop: Header=BB6_34 Depth=1
	s_and_b64 vcc, exec, s[0:1]
                                        ; implicit-def: $vgpr5_vgpr6
                                        ; implicit-def: $vgpr3_vgpr4
	s_cbranch_vccnz .LBB6_38
; %bb.37:                               ;   in Loop: Header=BB6_34 Depth=1
	s_waitcnt vmcnt(0)
	v_cvt_f32_f16_sdwa v3, v0 dst_sel:DWORD dst_unused:UNUSED_PAD src0_sel:WORD_1
	v_cvt_f32_f16_e32 v4, v0
	v_cvt_f32_f16_sdwa v5, v1 dst_sel:DWORD dst_unused:UNUSED_PAD src0_sel:WORD_1
	v_cvt_f32_f16_e32 v15, v1
	v_sub_f32_e32 v6, v3, v11
	v_sub_f32_e32 v3, v4, v2
	v_mul_f32_e32 v4, v10, v6
	v_sub_f32_e32 v6, v5, v11
	v_sub_f32_e32 v5, v15, v2
	v_mul_f32_e32 v3, v9, v3
	v_mul_f32_e32 v5, v9, v5
	;; [unrolled: 1-line block ×3, first 2 shown]
	s_mov_b64 s[8:9], 0
.LBB6_38:                               ;   in Loop: Header=BB6_34 Depth=1
	s_andn2_b64 vcc, exec, s[8:9]
	s_cbranch_vccnz .LBB6_40
; %bb.39:                               ;   in Loop: Header=BB6_34 Depth=1
	v_mov_b32_e32 v4, s11
	v_add_co_u32_e32 v3, vcc, s10, v8
	v_addc_co_u32_e32 v4, vcc, v4, v12, vcc
	global_load_dwordx2 v[5:6], v[3:4], off
	s_waitcnt vmcnt(1)
	v_cvt_f32_f16_sdwa v3, v0 dst_sel:DWORD dst_unused:UNUSED_PAD src0_sel:WORD_1
	v_cvt_f32_f16_e32 v4, v0
	v_cvt_f32_f16_sdwa v15, v1 dst_sel:DWORD dst_unused:UNUSED_PAD src0_sel:WORD_1
	v_cvt_f32_f16_e32 v16, v1
	v_sub_f32_e32 v17, v3, v11
	v_sub_f32_e32 v3, v4, v2
	;; [unrolled: 1-line block ×4, first 2 shown]
	s_waitcnt vmcnt(0)
	v_fma_mix_f32 v3, v9, v3, v5 op_sel_hi:[0,0,1]
	v_fma_mix_f32 v4, v10, v17, v5 op_sel:[0,0,1] op_sel_hi:[0,0,1]
	v_fma_mix_f32 v5, v9, v16, v6 op_sel_hi:[0,0,1]
	v_fma_mix_f32 v6, v10, v15, v6 op_sel:[0,0,1] op_sel_hi:[0,0,1]
.LBB6_40:                               ;   in Loop: Header=BB6_34 Depth=1
	s_mov_b64 s[8:9], 0
.LBB6_41:                               ;   in Loop: Header=BB6_34 Depth=1
	s_andn2_b64 vcc, exec, s[8:9]
	s_cbranch_vccnz .LBB6_43
; %bb.42:                               ;   in Loop: Header=BB6_34 Depth=1
	v_mov_b32_e32 v4, s21
	v_add_co_u32_e32 v3, vcc, s19, v8
	v_addc_co_u32_e32 v4, vcc, v4, v12, vcc
	global_load_dwordx2 v[3:4], v[3:4], off offset:-4
	s_waitcnt vmcnt(1)
	v_cvt_f32_f16_e32 v5, v0
	v_cvt_f32_f16_sdwa v6, v0 dst_sel:DWORD dst_unused:UNUSED_PAD src0_sel:WORD_1
	v_cvt_f32_f16_e32 v15, v1
	v_cvt_f32_f16_sdwa v16, v1 dst_sel:DWORD dst_unused:UNUSED_PAD src0_sel:WORD_1
	v_sub_f32_e32 v5, v5, v2
	v_sub_f32_e32 v6, v6, v11
	;; [unrolled: 1-line block ×4, first 2 shown]
	v_mul_f32_e32 v6, v10, v6
	v_mul_f32_e32 v5, v9, v5
	;; [unrolled: 1-line block ×4, first 2 shown]
	s_waitcnt vmcnt(0)
	v_cvt_f32_f16_e32 v17, v3
	v_cvt_f32_f16_sdwa v18, v3 dst_sel:DWORD dst_unused:UNUSED_PAD src0_sel:WORD_1
	v_cvt_f32_f16_e32 v19, v4
	v_cvt_f32_f16_sdwa v20, v4 dst_sel:DWORD dst_unused:UNUSED_PAD src0_sel:WORD_1
	v_mul_f32_e32 v3, v5, v17
	v_mul_f32_e32 v4, v6, v18
	;; [unrolled: 1-line block ×4, first 2 shown]
.LBB6_43:                               ;   in Loop: Header=BB6_34 Depth=1
	s_mov_b64 s[8:9], 0
.LBB6_44:                               ;   in Loop: Header=BB6_34 Depth=1
	s_andn2_b64 vcc, exec, s[8:9]
	s_cbranch_vccnz .LBB6_33
; %bb.45:                               ;   in Loop: Header=BB6_34 Depth=1
	v_mov_b32_e32 v4, s21
	v_add_co_u32_e32 v3, vcc, s19, v8
	v_addc_co_u32_e32 v4, vcc, v4, v12, vcc
	v_mov_b32_e32 v6, s11
	v_add_co_u32_e32 v5, vcc, s10, v8
	v_addc_co_u32_e32 v6, vcc, v6, v12, vcc
	global_load_dwordx2 v[15:16], v[3:4], off offset:-4
	global_load_dwordx2 v[17:18], v[5:6], off
	s_waitcnt vmcnt(2)
	v_cvt_f32_f16_e32 v3, v0
	v_cvt_f32_f16_sdwa v0, v0 dst_sel:DWORD dst_unused:UNUSED_PAD src0_sel:WORD_1
	v_cvt_f32_f16_e32 v4, v1
	v_cvt_f32_f16_sdwa v1, v1 dst_sel:DWORD dst_unused:UNUSED_PAD src0_sel:WORD_1
	v_sub_f32_e32 v3, v3, v2
	v_sub_f32_e32 v0, v0, v11
	;; [unrolled: 1-line block ×4, first 2 shown]
	v_mul_f32_e32 v0, v10, v0
	v_mul_f32_e32 v3, v9, v3
	;; [unrolled: 1-line block ×4, first 2 shown]
	s_waitcnt vmcnt(0)
	v_fma_mix_f32 v3, v3, v15, v17 op_sel_hi:[0,1,1]
	v_fma_mix_f32 v4, v0, v15, v17 op_sel:[0,1,1] op_sel_hi:[0,1,1]
	v_fma_mix_f32 v5, v5, v16, v18 op_sel_hi:[0,1,1]
	v_fma_mix_f32 v6, v1, v16, v18 op_sel:[0,1,1] op_sel_hi:[0,1,1]
	s_branch .LBB6_33
.LBB6_46:
	s_or_b64 exec, exec, s[2:3]
	v_cmp_eq_u32_e32 vcc, 0, v7
	s_and_saveexec_b64 s[0:1], vcc
	s_cbranch_execz .LBB6_48
; %bb.47:
	s_lshl_b64 s[0:1], s[6:7], 2
	s_waitcnt lgkmcnt(0)
	s_add_u32 s2, s12, s0
	s_addc_u32 s3, s13, s1
	v_mov_b32_e32 v0, 0
	s_add_u32 s0, s14, s0
	s_addc_u32 s1, s15, s1
	global_store_dword v0, v2, s[2:3]
	global_store_dword v0, v9, s[0:1]
.LBB6_48:
	s_endpgm
	.section	.rodata,"a",@progbits
	.p2align	6, 0x0
	.amdhsa_kernel _ZN2at6native12_GLOBAL__N_128vectorized_layer_norm_kernelIN3c104HalfEfLb0EEEviT0_PKT_S8_S8_PS5_S9_PS6_
		.amdhsa_group_segment_fixed_size 0
		.amdhsa_private_segment_fixed_size 0
		.amdhsa_kernarg_size 312
		.amdhsa_user_sgpr_count 6
		.amdhsa_user_sgpr_private_segment_buffer 1
		.amdhsa_user_sgpr_dispatch_ptr 0
		.amdhsa_user_sgpr_queue_ptr 0
		.amdhsa_user_sgpr_kernarg_segment_ptr 1
		.amdhsa_user_sgpr_dispatch_id 0
		.amdhsa_user_sgpr_flat_scratch_init 0
		.amdhsa_user_sgpr_private_segment_size 0
		.amdhsa_uses_dynamic_stack 0
		.amdhsa_system_sgpr_private_segment_wavefront_offset 0
		.amdhsa_system_sgpr_workgroup_id_x 1
		.amdhsa_system_sgpr_workgroup_id_y 0
		.amdhsa_system_sgpr_workgroup_id_z 0
		.amdhsa_system_sgpr_workgroup_info 0
		.amdhsa_system_vgpr_workitem_id 1
		.amdhsa_next_free_vgpr 21
		.amdhsa_next_free_sgpr 32
		.amdhsa_reserve_vcc 1
		.amdhsa_reserve_flat_scratch 0
		.amdhsa_float_round_mode_32 0
		.amdhsa_float_round_mode_16_64 0
		.amdhsa_float_denorm_mode_32 3
		.amdhsa_float_denorm_mode_16_64 3
		.amdhsa_dx10_clamp 1
		.amdhsa_ieee_mode 1
		.amdhsa_fp16_overflow 0
		.amdhsa_exception_fp_ieee_invalid_op 0
		.amdhsa_exception_fp_denorm_src 0
		.amdhsa_exception_fp_ieee_div_zero 0
		.amdhsa_exception_fp_ieee_overflow 0
		.amdhsa_exception_fp_ieee_underflow 0
		.amdhsa_exception_fp_ieee_inexact 0
		.amdhsa_exception_int_div_zero 0
	.end_amdhsa_kernel
	.section	.text._ZN2at6native12_GLOBAL__N_128vectorized_layer_norm_kernelIN3c104HalfEfLb0EEEviT0_PKT_S8_S8_PS5_S9_PS6_,"axG",@progbits,_ZN2at6native12_GLOBAL__N_128vectorized_layer_norm_kernelIN3c104HalfEfLb0EEEviT0_PKT_S8_S8_PS5_S9_PS6_,comdat
.Lfunc_end6:
	.size	_ZN2at6native12_GLOBAL__N_128vectorized_layer_norm_kernelIN3c104HalfEfLb0EEEviT0_PKT_S8_S8_PS5_S9_PS6_, .Lfunc_end6-_ZN2at6native12_GLOBAL__N_128vectorized_layer_norm_kernelIN3c104HalfEfLb0EEEviT0_PKT_S8_S8_PS5_S9_PS6_
                                        ; -- End function
	.set _ZN2at6native12_GLOBAL__N_128vectorized_layer_norm_kernelIN3c104HalfEfLb0EEEviT0_PKT_S8_S8_PS5_S9_PS6_.num_vgpr, 21
	.set _ZN2at6native12_GLOBAL__N_128vectorized_layer_norm_kernelIN3c104HalfEfLb0EEEviT0_PKT_S8_S8_PS5_S9_PS6_.num_agpr, 0
	.set _ZN2at6native12_GLOBAL__N_128vectorized_layer_norm_kernelIN3c104HalfEfLb0EEEviT0_PKT_S8_S8_PS5_S9_PS6_.numbered_sgpr, 32
	.set _ZN2at6native12_GLOBAL__N_128vectorized_layer_norm_kernelIN3c104HalfEfLb0EEEviT0_PKT_S8_S8_PS5_S9_PS6_.num_named_barrier, 0
	.set _ZN2at6native12_GLOBAL__N_128vectorized_layer_norm_kernelIN3c104HalfEfLb0EEEviT0_PKT_S8_S8_PS5_S9_PS6_.private_seg_size, 0
	.set _ZN2at6native12_GLOBAL__N_128vectorized_layer_norm_kernelIN3c104HalfEfLb0EEEviT0_PKT_S8_S8_PS5_S9_PS6_.uses_vcc, 1
	.set _ZN2at6native12_GLOBAL__N_128vectorized_layer_norm_kernelIN3c104HalfEfLb0EEEviT0_PKT_S8_S8_PS5_S9_PS6_.uses_flat_scratch, 0
	.set _ZN2at6native12_GLOBAL__N_128vectorized_layer_norm_kernelIN3c104HalfEfLb0EEEviT0_PKT_S8_S8_PS5_S9_PS6_.has_dyn_sized_stack, 0
	.set _ZN2at6native12_GLOBAL__N_128vectorized_layer_norm_kernelIN3c104HalfEfLb0EEEviT0_PKT_S8_S8_PS5_S9_PS6_.has_recursion, 0
	.set _ZN2at6native12_GLOBAL__N_128vectorized_layer_norm_kernelIN3c104HalfEfLb0EEEviT0_PKT_S8_S8_PS5_S9_PS6_.has_indirect_call, 0
	.section	.AMDGPU.csdata,"",@progbits
; Kernel info:
; codeLenInByte = 3244
; TotalNumSgprs: 36
; NumVgprs: 21
; ScratchSize: 0
; MemoryBound: 0
; FloatMode: 240
; IeeeMode: 1
; LDSByteSize: 0 bytes/workgroup (compile time only)
; SGPRBlocks: 4
; VGPRBlocks: 5
; NumSGPRsForWavesPerEU: 36
; NumVGPRsForWavesPerEU: 21
; Occupancy: 10
; WaveLimiterHint : 0
; COMPUTE_PGM_RSRC2:SCRATCH_EN: 0
; COMPUTE_PGM_RSRC2:USER_SGPR: 6
; COMPUTE_PGM_RSRC2:TRAP_HANDLER: 0
; COMPUTE_PGM_RSRC2:TGID_X_EN: 1
; COMPUTE_PGM_RSRC2:TGID_Y_EN: 0
; COMPUTE_PGM_RSRC2:TGID_Z_EN: 0
; COMPUTE_PGM_RSRC2:TIDIG_COMP_CNT: 1
	.section	.text._ZN2at6native12_GLOBAL__N_124RowwiseMomentsCUDAKernelIN3c104HalfEfLb0EEEvlT0_PKT_PS5_S9_,"axG",@progbits,_ZN2at6native12_GLOBAL__N_124RowwiseMomentsCUDAKernelIN3c104HalfEfLb0EEEvlT0_PKT_PS5_S9_,comdat
	.globl	_ZN2at6native12_GLOBAL__N_124RowwiseMomentsCUDAKernelIN3c104HalfEfLb0EEEvlT0_PKT_PS5_S9_ ; -- Begin function _ZN2at6native12_GLOBAL__N_124RowwiseMomentsCUDAKernelIN3c104HalfEfLb0EEEvlT0_PKT_PS5_S9_
	.p2align	8
	.type	_ZN2at6native12_GLOBAL__N_124RowwiseMomentsCUDAKernelIN3c104HalfEfLb0EEEvlT0_PKT_PS5_S9_,@function
_ZN2at6native12_GLOBAL__N_124RowwiseMomentsCUDAKernelIN3c104HalfEfLb0EEEvlT0_PKT_PS5_S9_: ; @_ZN2at6native12_GLOBAL__N_124RowwiseMomentsCUDAKernelIN3c104HalfEfLb0EEEvlT0_PKT_PS5_S9_
; %bb.0:
	s_load_dwordx2 s[10:11], s[4:5], 0x0
	s_load_dwordx4 s[0:3], s[4:5], 0x10
	s_load_dwordx2 s[8:9], s[4:5], 0x20
	v_mov_b32_e32 v1, 0
	v_mov_b32_e32 v2, 0
	s_waitcnt lgkmcnt(0)
	v_cmp_gt_i64_e32 vcc, s[10:11], v[0:1]
	s_mov_b32 s7, 0
	v_mov_b32_e32 v3, 0
	v_mov_b32_e32 v8, v1
	;; [unrolled: 1-line block ×3, first 2 shown]
	s_and_saveexec_b64 s[12:13], vcc
	s_cbranch_execz .LBB7_4
; %bb.1:
	s_load_dword s16, s[4:5], 0x34
	s_mul_i32 s15, s11, s6
	s_mul_hi_u32 s17, s10, s6
	s_mul_i32 s14, s10, s6
	s_add_i32 s15, s17, s15
	s_waitcnt lgkmcnt(0)
	s_and_b32 s16, s16, 0xffff
	s_lshl_b64 s[14:15], s[14:15], 1
	s_add_u32 s0, s0, s14
	v_lshlrev_b32_e32 v2, 1, v0
	s_addc_u32 s1, s1, s15
	v_mov_b32_e32 v3, s1
	v_add_co_u32_e32 v4, vcc, s0, v2
	v_mov_b32_e32 v7, v1
	v_mov_b32_e32 v8, 0
	v_addc_co_u32_e32 v5, vcc, 0, v3, vcc
	s_lshl_b32 s17, s16, 1
	s_mov_b64 s[0:1], 0
	v_mov_b32_e32 v6, v0
	s_mov_b64 s[14:15], 0
	v_mov_b32_e32 v9, 0
.LBB7_2:                                ; =>This Inner Loop Header: Depth=1
	global_load_ushort v1, v[4:5], off
	s_add_u32 s14, s14, 1
	s_addc_u32 s15, s15, 0
	s_flbit_i32_b32 s18, s15
	s_min_u32 s20, s18, 32
	s_lshl_b64 s[18:19], s[14:15], s20
	s_min_u32 s18, s18, 1
	s_or_b32 s18, s19, s18
	v_cvt_f32_u32_e32 v2, s18
	s_sub_i32 s20, 32, s20
	s_waitcnt vmcnt(0)
	v_cvt_f32_f16_e32 v10, v1
	v_ldexp_f32 v1, v2, s20
	v_sub_f32_e32 v11, v10, v9
	v_div_scale_f32 v2, s[18:19], v1, v1, v11
	v_div_scale_f32 v3, vcc, v11, v1, v11
	v_rcp_f32_e32 v12, v2
	v_fma_f32 v13, -v2, v12, 1.0
	v_fmac_f32_e32 v12, v13, v12
	v_mul_f32_e32 v13, v3, v12
	v_fma_f32 v14, -v2, v13, v3
	v_fmac_f32_e32 v13, v14, v12
	v_fma_f32 v2, -v2, v13, v3
	v_div_fmas_f32 v12, v2, v12, v13
	v_add_co_u32_e32 v6, vcc, s16, v6
	v_addc_co_u32_e32 v7, vcc, 0, v7, vcc
	v_add_co_u32_e32 v4, vcc, s17, v4
	v_addc_co_u32_e32 v5, vcc, 0, v5, vcc
	v_cmp_le_i64_e32 vcc, s[10:11], v[6:7]
	v_mov_b32_e32 v2, s14
	v_mov_b32_e32 v3, s15
	s_or_b64 s[0:1], vcc, s[0:1]
	v_div_fixup_f32 v12, v12, v1, v11
	v_add_f32_e32 v9, v9, v12
	v_sub_f32_e32 v10, v10, v9
	v_fmac_f32_e32 v8, v11, v10
	s_andn2_b64 exec, exec, s[0:1]
	s_cbranch_execnz .LBB7_2
; %bb.3:
	s_or_b64 exec, exec, s[0:1]
.LBB7_4:
	s_or_b64 exec, exec, s[12:13]
	v_mbcnt_lo_u32_b32 v4, -1, 0
	v_mbcnt_hi_u32_b32 v6, -1, v4
	v_mov_b32_e32 v4, 0x80
	v_lshl_or_b32 v7, v6, 2, v4
	ds_bpermute_b32 v13, v7, v9
	ds_bpermute_b32 v10, v7, v8
	;; [unrolled: 1-line block ×5, first 2 shown]
	v_cmp_neq_f32_e32 vcc, 0, v1
	s_and_saveexec_b64 s[0:1], vcc
	s_cbranch_execz .LBB7_8
; %bb.5:
	s_waitcnt lgkmcnt(0)
	v_cmp_neq_f32_e32 vcc, 0, v14
	s_and_saveexec_b64 s[10:11], vcc
	s_cbranch_execz .LBB7_7
; %bb.6:
	v_add_f32_e32 v4, v1, v14
	v_div_scale_f32 v2, s[12:13], v4, v4, v14
	v_div_scale_f32 v3, vcc, v14, v4, v14
	v_add_f32_e32 v8, v8, v10
	v_rcp_f32_e32 v5, v2
	v_fma_f32 v11, -v2, v5, 1.0
	v_fmac_f32_e32 v5, v11, v5
	v_mul_f32_e32 v11, v3, v5
	v_fma_f32 v12, -v2, v11, v3
	v_fmac_f32_e32 v11, v12, v5
	v_fma_f32 v2, -v2, v11, v3
	v_div_fmas_f32 v5, v2, v5, v11
	v_sub_f32_e32 v11, v13, v9
	v_mul_f32_e32 v10, v11, v11
	v_mov_b32_e32 v2, -1
	v_mul_f32_e32 v1, v1, v10
	v_mov_b32_e32 v3, -1
	v_div_fixup_f32 v5, v5, v4, v14
	v_fmac_f32_e32 v9, v11, v5
	v_fmac_f32_e32 v8, v1, v5
	v_mov_b32_e32 v1, v4
.LBB7_7:
	s_or_b64 exec, exec, s[10:11]
	v_mov_b32_e32 v5, v3
	v_mov_b32_e32 v14, v1
	;; [unrolled: 1-line block ×5, first 2 shown]
.LBB7_8:
	s_or_b64 exec, exec, s[0:1]
	v_and_b32_e32 v12, 63, v6
	v_cmp_gt_u32_e32 vcc, 48, v12
	v_cndmask_b32_e64 v1, 0, 16, vcc
	v_add_lshl_u32 v8, v1, v6, 2
	s_waitcnt lgkmcnt(4)
	ds_bpermute_b32 v15, v8, v13
	s_waitcnt lgkmcnt(4)
	ds_bpermute_b32 v11, v8, v10
	s_waitcnt lgkmcnt(4)
	ds_bpermute_b32 v1, v8, v4
	s_waitcnt lgkmcnt(4)
	ds_bpermute_b32 v2, v8, v5
	s_waitcnt lgkmcnt(4)
	ds_bpermute_b32 v16, v8, v14
	v_cmp_neq_f32_e32 vcc, 0, v14
	s_and_saveexec_b64 s[0:1], vcc
	s_cbranch_execz .LBB7_12
; %bb.9:
	s_waitcnt lgkmcnt(0)
	v_cmp_neq_f32_e32 vcc, 0, v16
	s_and_saveexec_b64 s[10:11], vcc
	s_cbranch_execz .LBB7_11
; %bb.10:
	v_add_f32_e32 v1, v14, v16
	v_div_scale_f32 v2, s[12:13], v1, v1, v16
	v_div_scale_f32 v3, vcc, v16, v1, v16
	v_add_f32_e32 v10, v10, v11
	v_rcp_f32_e32 v4, v2
	v_fma_f32 v5, -v2, v4, 1.0
	v_fmac_f32_e32 v4, v5, v4
	v_mul_f32_e32 v5, v3, v4
	v_fma_f32 v9, -v2, v5, v3
	v_fmac_f32_e32 v5, v9, v4
	v_fma_f32 v2, -v2, v5, v3
	v_div_fmas_f32 v2, v2, v4, v5
	v_sub_f32_e32 v3, v15, v13
	v_mul_f32_e32 v9, v3, v3
	v_mov_b32_e32 v4, -1
	v_mul_f32_e32 v9, v14, v9
	v_mov_b32_e32 v5, -1
	v_mov_b32_e32 v14, v1
	v_div_fixup_f32 v2, v2, v1, v16
	v_fmac_f32_e32 v13, v3, v2
	v_fmac_f32_e32 v10, v9, v2
.LBB7_11:
	s_or_b64 exec, exec, s[10:11]
	v_mov_b32_e32 v1, v4
	v_mov_b32_e32 v16, v14
	v_mov_b32_e32 v2, v5
	v_mov_b32_e32 v11, v10
	v_mov_b32_e32 v15, v13
.LBB7_12:
	s_or_b64 exec, exec, s[0:1]
	v_cmp_gt_u32_e32 vcc, 56, v12
	v_cndmask_b32_e64 v3, 0, 8, vcc
	v_add_lshl_u32 v9, v3, v6, 2
	s_waitcnt lgkmcnt(4)
	ds_bpermute_b32 v14, v9, v15
	s_waitcnt lgkmcnt(4)
	ds_bpermute_b32 v5, v9, v11
	s_waitcnt lgkmcnt(4)
	ds_bpermute_b32 v3, v9, v1
	s_waitcnt lgkmcnt(4)
	ds_bpermute_b32 v4, v9, v2
	s_waitcnt lgkmcnt(4)
	ds_bpermute_b32 v17, v9, v16
	v_cmp_neq_f32_e32 vcc, 0, v16
	s_and_saveexec_b64 s[0:1], vcc
	s_cbranch_execz .LBB7_16
; %bb.13:
	s_waitcnt lgkmcnt(0)
	v_cmp_neq_f32_e32 vcc, 0, v17
	s_and_saveexec_b64 s[10:11], vcc
	s_cbranch_execz .LBB7_15
; %bb.14:
	v_add_f32_e32 v3, v16, v17
	v_div_scale_f32 v1, s[12:13], v3, v3, v17
	v_div_scale_f32 v2, vcc, v17, v3, v17
	v_add_f32_e32 v11, v11, v5
	v_rcp_f32_e32 v4, v1
	v_fma_f32 v10, -v1, v4, 1.0
	v_fmac_f32_e32 v4, v10, v4
	v_mul_f32_e32 v10, v2, v4
	v_fma_f32 v13, -v1, v10, v2
	v_fmac_f32_e32 v10, v13, v4
	v_fma_f32 v1, -v1, v10, v2
	v_div_fmas_f32 v4, v1, v4, v10
	v_sub_f32_e32 v10, v14, v15
	v_mul_f32_e32 v5, v10, v10
	v_mov_b32_e32 v1, -1
	v_mul_f32_e32 v5, v16, v5
	v_mov_b32_e32 v2, -1
	v_mov_b32_e32 v16, v3
	v_div_fixup_f32 v4, v4, v3, v17
	v_fmac_f32_e32 v15, v10, v4
	v_fmac_f32_e32 v11, v5, v4
.LBB7_15:
	s_or_b64 exec, exec, s[10:11]
	v_mov_b32_e32 v4, v2
	v_mov_b32_e32 v17, v16
	v_mov_b32_e32 v3, v1
	v_mov_b32_e32 v5, v11
	v_mov_b32_e32 v14, v15
.LBB7_16:
	s_or_b64 exec, exec, s[0:1]
	;; [unrolled: 52-line block ×4, first 2 shown]
	v_cmp_ne_u32_e32 vcc, 63, v12
	v_addc_co_u32_e32 v1, vcc, 0, v6, vcc
	v_lshlrev_b32_e32 v12, 2, v1
	s_waitcnt lgkmcnt(4)
	ds_bpermute_b32 v1, v12, v16
	s_waitcnt lgkmcnt(4)
	ds_bpermute_b32 v2, v12, v14
	s_waitcnt lgkmcnt(4)
	ds_bpermute_b32 v5, v12, v3
	s_waitcnt lgkmcnt(4)
	ds_bpermute_b32 v6, v12, v4
	s_waitcnt lgkmcnt(4)
	ds_bpermute_b32 v13, v12, v17
	v_cmp_neq_f32_e32 vcc, 0, v17
	s_and_saveexec_b64 s[0:1], vcc
	s_cbranch_execz .LBB7_28
; %bb.25:
	s_waitcnt lgkmcnt(0)
	v_cmp_neq_f32_e32 vcc, 0, v13
	s_and_saveexec_b64 s[10:11], vcc
	s_cbranch_execz .LBB7_27
; %bb.26:
	v_add_f32_e32 v5, v17, v13
	v_div_scale_f32 v3, s[12:13], v5, v5, v13
	v_div_scale_f32 v4, vcc, v13, v5, v13
	v_sub_f32_e32 v1, v1, v16
	v_add_f32_e32 v14, v14, v2
	v_mul_f32_e32 v2, v1, v1
	v_mul_f32_e32 v2, v17, v2
	v_mov_b32_e32 v17, v5
	v_rcp_f32_e32 v6, v3
	v_fma_f32 v15, -v3, v6, 1.0
	v_fmac_f32_e32 v6, v15, v6
	v_mul_f32_e32 v15, v4, v6
	v_fma_f32 v18, -v3, v15, v4
	v_fmac_f32_e32 v15, v18, v6
	v_fma_f32 v3, -v3, v15, v4
	v_div_fmas_f32 v6, v3, v6, v15
	v_mov_b32_e32 v3, -1
	v_mov_b32_e32 v4, -1
	v_div_fixup_f32 v6, v6, v5, v13
	v_fmac_f32_e32 v16, v1, v6
	v_fmac_f32_e32 v14, v2, v6
.LBB7_27:
	s_or_b64 exec, exec, s[10:11]
	v_mov_b32_e32 v6, v4
	v_mov_b32_e32 v13, v17
	;; [unrolled: 1-line block ×5, first 2 shown]
.LBB7_28:
	s_or_b64 exec, exec, s[0:1]
	v_and_b32_e32 v3, 63, v0
	v_cmp_eq_u32_e32 vcc, 0, v3
	s_waitcnt lgkmcnt(0)
	s_barrier
	s_and_saveexec_b64 s[0:1], vcc
	s_cbranch_execz .LBB7_30
; %bb.29:
	v_lshrrev_b32_e32 v4, 6, v0
	v_mul_u32_u24_e32 v4, 24, v4
	ds_write2_b64 v4, v[1:2], v[5:6] offset1:1
	ds_write_b32 v4, v13 offset:16
.LBB7_30:
	s_or_b64 exec, exec, s[0:1]
	s_waitcnt lgkmcnt(0)
	s_barrier
	s_load_dword s0, s[4:5], 0x34
	v_mul_u32_u24_e32 v4, 24, v3
	v_mov_b32_e32 v2, 0
	v_mov_b32_e32 v1, 0
	s_waitcnt lgkmcnt(0)
	s_bfe_u32 s0, s0, 0xa0006
	v_cmp_gt_u32_e32 vcc, s0, v0
	s_and_saveexec_b64 s[0:1], vcc
	s_cbranch_execnz .LBB7_36
; %bb.31:
	s_or_b64 exec, exec, s[0:1]
	s_and_saveexec_b64 s[0:1], vcc
	s_cbranch_execnz .LBB7_37
.LBB7_32:
	s_or_b64 exec, exec, s[0:1]
	v_mov_b32_e32 v3, 0
	s_and_saveexec_b64 s[0:1], vcc
	s_cbranch_execnz .LBB7_38
.LBB7_33:
	s_or_b64 exec, exec, s[0:1]
	v_cmp_gt_u32_e32 vcc, 64, v0
	s_and_saveexec_b64 s[0:1], vcc
	s_cbranch_execnz .LBB7_39
.LBB7_34:
	s_or_b64 exec, exec, s[0:1]
	v_cmp_eq_u32_e32 vcc, 0, v0
	s_and_saveexec_b64 s[0:1], vcc
	s_cbranch_execnz .LBB7_64
.LBB7_35:
	s_endpgm
.LBB7_36:
	ds_read_b32 v1, v4
	s_or_b64 exec, exec, s[0:1]
	s_and_saveexec_b64 s[0:1], vcc
	s_cbranch_execz .LBB7_32
.LBB7_37:
	ds_read_b32 v2, v4 offset:4
	s_or_b64 exec, exec, s[0:1]
	v_mov_b32_e32 v3, 0
	s_and_saveexec_b64 s[0:1], vcc
	s_cbranch_execz .LBB7_33
.LBB7_38:
	ds_read_b32 v3, v4 offset:16
	s_or_b64 exec, exec, s[0:1]
	v_cmp_gt_u32_e32 vcc, 64, v0
	s_and_saveexec_b64 s[0:1], vcc
	s_cbranch_execz .LBB7_34
.LBB7_39:
	s_waitcnt lgkmcnt(0)
	ds_bpermute_b32 v5, v7, v1
	ds_bpermute_b32 v4, v7, v2
	;; [unrolled: 1-line block ×3, first 2 shown]
	v_cmp_neq_f32_e32 vcc, 0, v3
	s_and_saveexec_b64 s[10:11], vcc
	s_cbranch_execz .LBB7_43
; %bb.40:
	s_waitcnt lgkmcnt(0)
	v_cmp_neq_f32_e32 vcc, 0, v6
	s_and_saveexec_b64 s[12:13], vcc
	s_cbranch_execz .LBB7_42
; %bb.41:
	v_add_f32_e32 v7, v3, v6
	v_div_scale_f32 v13, s[14:15], v7, v7, v6
	v_div_scale_f32 v14, vcc, v6, v7, v6
	v_sub_f32_e32 v5, v5, v1
	v_add_f32_e32 v2, v2, v4
	v_mul_f32_e32 v4, v5, v5
	v_mul_f32_e32 v3, v3, v4
	v_rcp_f32_e32 v15, v13
	v_fma_f32 v16, -v13, v15, 1.0
	v_fmac_f32_e32 v15, v16, v15
	v_mul_f32_e32 v16, v14, v15
	v_fma_f32 v17, -v13, v16, v14
	v_fmac_f32_e32 v16, v17, v15
	v_fma_f32 v13, -v13, v16, v14
	v_div_fmas_f32 v13, v13, v15, v16
	v_div_fixup_f32 v4, v13, v7, v6
	v_fmac_f32_e32 v1, v5, v4
	v_fmac_f32_e32 v2, v3, v4
	v_mov_b32_e32 v3, v7
.LBB7_42:
	s_or_b64 exec, exec, s[12:13]
	v_mov_b32_e32 v6, v3
	v_mov_b32_e32 v4, v2
	;; [unrolled: 1-line block ×3, first 2 shown]
.LBB7_43:
	s_or_b64 exec, exec, s[10:11]
	s_waitcnt lgkmcnt(2)
	ds_bpermute_b32 v3, v8, v5
	s_waitcnt lgkmcnt(2)
	ds_bpermute_b32 v1, v8, v4
	;; [unrolled: 2-line block ×3, first 2 shown]
	v_cmp_neq_f32_e32 vcc, 0, v6
	s_and_saveexec_b64 s[10:11], vcc
	s_cbranch_execz .LBB7_47
; %bb.44:
	s_waitcnt lgkmcnt(0)
	v_cmp_neq_f32_e32 vcc, 0, v7
	s_and_saveexec_b64 s[12:13], vcc
	s_cbranch_execz .LBB7_46
; %bb.45:
	v_add_f32_e32 v2, v6, v7
	v_div_scale_f32 v8, s[14:15], v2, v2, v7
	v_div_scale_f32 v13, vcc, v7, v2, v7
	v_sub_f32_e32 v3, v3, v5
	v_add_f32_e32 v4, v4, v1
	v_mul_f32_e32 v1, v3, v3
	v_mul_f32_e32 v1, v6, v1
	v_rcp_f32_e32 v14, v8
	v_fma_f32 v15, -v8, v14, 1.0
	v_fmac_f32_e32 v14, v15, v14
	v_mul_f32_e32 v15, v13, v14
	v_fma_f32 v16, -v8, v15, v13
	v_fmac_f32_e32 v15, v16, v14
	v_fma_f32 v8, -v8, v15, v13
	v_div_fmas_f32 v8, v8, v14, v15
	v_div_fixup_f32 v6, v8, v2, v7
	v_fmac_f32_e32 v5, v3, v6
	v_fmac_f32_e32 v4, v1, v6
	v_mov_b32_e32 v6, v2
.LBB7_46:
	s_or_b64 exec, exec, s[12:13]
	v_mov_b32_e32 v7, v6
	v_mov_b32_e32 v1, v4
	;; [unrolled: 1-line block ×3, first 2 shown]
.LBB7_47:
	s_or_b64 exec, exec, s[10:11]
	s_waitcnt lgkmcnt(2)
	ds_bpermute_b32 v4, v9, v3
	s_waitcnt lgkmcnt(2)
	ds_bpermute_b32 v2, v9, v1
	;; [unrolled: 2-line block ×3, first 2 shown]
	v_cmp_neq_f32_e32 vcc, 0, v7
	s_and_saveexec_b64 s[10:11], vcc
	s_cbranch_execz .LBB7_51
; %bb.48:
	s_waitcnt lgkmcnt(0)
	v_cmp_neq_f32_e32 vcc, 0, v5
	s_and_saveexec_b64 s[12:13], vcc
	s_cbranch_execz .LBB7_50
; %bb.49:
	v_add_f32_e32 v6, v7, v5
	v_div_scale_f32 v8, s[14:15], v6, v6, v5
	v_div_scale_f32 v9, vcc, v5, v6, v5
	v_sub_f32_e32 v4, v4, v3
	v_add_f32_e32 v1, v1, v2
	v_mul_f32_e32 v2, v4, v4
	v_mul_f32_e32 v2, v7, v2
	v_mov_b32_e32 v7, v6
	v_rcp_f32_e32 v13, v8
	v_fma_f32 v14, -v8, v13, 1.0
	v_fmac_f32_e32 v13, v14, v13
	v_mul_f32_e32 v14, v9, v13
	v_fma_f32 v15, -v8, v14, v9
	v_fmac_f32_e32 v14, v15, v13
	v_fma_f32 v8, -v8, v14, v9
	v_div_fmas_f32 v8, v8, v13, v14
	v_div_fixup_f32 v5, v8, v6, v5
	v_fmac_f32_e32 v3, v4, v5
	v_fmac_f32_e32 v1, v2, v5
.LBB7_50:
	s_or_b64 exec, exec, s[12:13]
	v_mov_b32_e32 v5, v7
	v_mov_b32_e32 v2, v1
	;; [unrolled: 1-line block ×3, first 2 shown]
.LBB7_51:
	s_or_b64 exec, exec, s[10:11]
	s_waitcnt lgkmcnt(2)
	ds_bpermute_b32 v3, v10, v4
	s_waitcnt lgkmcnt(2)
	ds_bpermute_b32 v1, v10, v2
	;; [unrolled: 2-line block ×3, first 2 shown]
	v_cmp_neq_f32_e32 vcc, 0, v5
	s_and_saveexec_b64 s[10:11], vcc
	s_cbranch_execz .LBB7_55
; %bb.52:
	s_waitcnt lgkmcnt(0)
	v_cmp_neq_f32_e32 vcc, 0, v7
	s_and_saveexec_b64 s[12:13], vcc
	s_cbranch_execz .LBB7_54
; %bb.53:
	v_add_f32_e32 v6, v5, v7
	v_div_scale_f32 v8, s[14:15], v6, v6, v7
	v_div_scale_f32 v9, vcc, v7, v6, v7
	v_sub_f32_e32 v3, v3, v4
	v_add_f32_e32 v2, v2, v1
	v_mul_f32_e32 v1, v3, v3
	v_mul_f32_e32 v1, v5, v1
	v_rcp_f32_e32 v10, v8
	v_fma_f32 v13, -v8, v10, 1.0
	v_fmac_f32_e32 v10, v13, v10
	v_mul_f32_e32 v13, v9, v10
	v_fma_f32 v14, -v8, v13, v9
	v_fmac_f32_e32 v13, v14, v10
	v_fma_f32 v8, -v8, v13, v9
	v_div_fmas_f32 v8, v8, v10, v13
	v_div_fixup_f32 v5, v8, v6, v7
	v_fmac_f32_e32 v4, v3, v5
	v_fmac_f32_e32 v2, v1, v5
	v_mov_b32_e32 v5, v6
.LBB7_54:
	s_or_b64 exec, exec, s[12:13]
	v_mov_b32_e32 v7, v5
	v_mov_b32_e32 v1, v2
	;; [unrolled: 1-line block ×3, first 2 shown]
.LBB7_55:
	s_or_b64 exec, exec, s[10:11]
	s_waitcnt lgkmcnt(2)
	ds_bpermute_b32 v6, v11, v3
	s_waitcnt lgkmcnt(2)
	ds_bpermute_b32 v4, v11, v1
	;; [unrolled: 2-line block ×3, first 2 shown]
	v_cmp_neq_f32_e32 vcc, 0, v7
	s_and_saveexec_b64 s[10:11], vcc
	s_cbranch_execz .LBB7_59
; %bb.56:
	s_waitcnt lgkmcnt(0)
	v_cmp_neq_f32_e32 vcc, 0, v5
	s_and_saveexec_b64 s[12:13], vcc
	s_cbranch_execz .LBB7_58
; %bb.57:
	v_add_f32_e32 v2, v7, v5
	v_div_scale_f32 v8, s[14:15], v2, v2, v5
	v_div_scale_f32 v9, vcc, v5, v2, v5
	v_sub_f32_e32 v6, v6, v3
	v_add_f32_e32 v1, v1, v4
	v_mul_f32_e32 v4, v6, v6
	v_mul_f32_e32 v4, v7, v4
	v_mov_b32_e32 v7, v2
	v_rcp_f32_e32 v10, v8
	v_fma_f32 v11, -v8, v10, 1.0
	v_fmac_f32_e32 v10, v11, v10
	v_mul_f32_e32 v11, v9, v10
	v_fma_f32 v13, -v8, v11, v9
	v_fmac_f32_e32 v11, v13, v10
	v_fma_f32 v8, -v8, v11, v9
	v_div_fmas_f32 v8, v8, v10, v11
	v_div_fixup_f32 v5, v8, v2, v5
	v_fmac_f32_e32 v3, v6, v5
	v_fmac_f32_e32 v1, v4, v5
.LBB7_58:
	s_or_b64 exec, exec, s[12:13]
	v_mov_b32_e32 v5, v7
	v_mov_b32_e32 v4, v1
	;; [unrolled: 1-line block ×3, first 2 shown]
.LBB7_59:
	s_or_b64 exec, exec, s[10:11]
	s_waitcnt lgkmcnt(2)
	ds_bpermute_b32 v1, v12, v6
	s_waitcnt lgkmcnt(2)
	ds_bpermute_b32 v2, v12, v4
	;; [unrolled: 2-line block ×3, first 2 shown]
	v_cmp_neq_f32_e32 vcc, 0, v5
	s_and_saveexec_b64 s[10:11], vcc
	s_cbranch_execz .LBB7_63
; %bb.60:
	s_waitcnt lgkmcnt(0)
	v_cmp_neq_f32_e32 vcc, 0, v3
	s_and_saveexec_b64 s[12:13], vcc
	s_cbranch_execz .LBB7_62
; %bb.61:
	v_add_f32_e32 v7, v5, v3
	v_div_scale_f32 v8, s[14:15], v7, v7, v3
	v_div_scale_f32 v9, vcc, v3, v7, v3
	v_sub_f32_e32 v1, v1, v6
	v_add_f32_e32 v4, v4, v2
	v_mul_f32_e32 v2, v1, v1
	v_mul_f32_e32 v2, v5, v2
	v_mov_b32_e32 v5, v7
	v_rcp_f32_e32 v10, v8
	v_fma_f32 v11, -v8, v10, 1.0
	v_fmac_f32_e32 v10, v11, v10
	v_mul_f32_e32 v11, v9, v10
	v_fma_f32 v12, -v8, v11, v9
	v_fmac_f32_e32 v11, v12, v10
	v_fma_f32 v8, -v8, v11, v9
	v_div_fmas_f32 v8, v8, v10, v11
	v_div_fixup_f32 v3, v8, v7, v3
	v_fmac_f32_e32 v6, v1, v3
	v_fmac_f32_e32 v4, v2, v3
.LBB7_62:
	s_or_b64 exec, exec, s[12:13]
	v_mov_b32_e32 v3, v5
	v_mov_b32_e32 v2, v4
	;; [unrolled: 1-line block ×3, first 2 shown]
.LBB7_63:
	s_or_b64 exec, exec, s[10:11]
	s_or_b64 exec, exec, s[0:1]
	v_cmp_eq_u32_e32 vcc, 0, v0
	s_and_saveexec_b64 s[0:1], vcc
	s_cbranch_execz .LBB7_35
.LBB7_64:
	s_waitcnt lgkmcnt(0)
	v_max_f32_e32 v0, v3, v3
	v_max_f32_e32 v0, 0, v0
	v_div_scale_f32 v3, s[0:1], v0, v0, v2
	v_div_scale_f32 v4, vcc, v2, v0, v2
	s_load_dword s4, s[4:5], 0x8
	s_mov_b32 s5, 0x800000
	s_lshl_b64 s[0:1], s[6:7], 2
	s_add_u32 s2, s2, s0
	s_addc_u32 s3, s3, s1
	s_add_u32 s0, s8, s0
	s_addc_u32 s1, s9, s1
	v_rcp_f32_e32 v5, v3
	v_fma_f32 v6, -v3, v5, 1.0
	v_fmac_f32_e32 v5, v6, v5
	v_mul_f32_e32 v6, v4, v5
	v_fma_f32 v7, -v3, v6, v4
	v_fmac_f32_e32 v6, v7, v5
	v_fma_f32 v3, -v3, v6, v4
	v_div_fmas_f32 v3, v3, v5, v6
	v_mov_b32_e32 v4, 0
	global_store_dword v4, v1, s[2:3]
	v_div_fixup_f32 v0, v3, v0, v2
	s_waitcnt lgkmcnt(0)
	v_add_f32_e32 v0, s4, v0
	v_mul_f32_e32 v2, 0x4b800000, v0
	v_cmp_gt_f32_e32 vcc, s5, v0
	v_cndmask_b32_e32 v0, v0, v2, vcc
	v_rsq_f32_e32 v0, v0
	v_mul_f32_e32 v1, 0x45800000, v0
	v_cndmask_b32_e32 v0, v0, v1, vcc
	global_store_dword v4, v0, s[0:1]
	s_endpgm
	.section	.rodata,"a",@progbits
	.p2align	6, 0x0
	.amdhsa_kernel _ZN2at6native12_GLOBAL__N_124RowwiseMomentsCUDAKernelIN3c104HalfEfLb0EEEvlT0_PKT_PS5_S9_
		.amdhsa_group_segment_fixed_size 1536
		.amdhsa_private_segment_fixed_size 0
		.amdhsa_kernarg_size 296
		.amdhsa_user_sgpr_count 6
		.amdhsa_user_sgpr_private_segment_buffer 1
		.amdhsa_user_sgpr_dispatch_ptr 0
		.amdhsa_user_sgpr_queue_ptr 0
		.amdhsa_user_sgpr_kernarg_segment_ptr 1
		.amdhsa_user_sgpr_dispatch_id 0
		.amdhsa_user_sgpr_flat_scratch_init 0
		.amdhsa_user_sgpr_private_segment_size 0
		.amdhsa_uses_dynamic_stack 0
		.amdhsa_system_sgpr_private_segment_wavefront_offset 0
		.amdhsa_system_sgpr_workgroup_id_x 1
		.amdhsa_system_sgpr_workgroup_id_y 0
		.amdhsa_system_sgpr_workgroup_id_z 0
		.amdhsa_system_sgpr_workgroup_info 0
		.amdhsa_system_vgpr_workitem_id 0
		.amdhsa_next_free_vgpr 20
		.amdhsa_next_free_sgpr 21
		.amdhsa_reserve_vcc 1
		.amdhsa_reserve_flat_scratch 0
		.amdhsa_float_round_mode_32 0
		.amdhsa_float_round_mode_16_64 0
		.amdhsa_float_denorm_mode_32 3
		.amdhsa_float_denorm_mode_16_64 3
		.amdhsa_dx10_clamp 1
		.amdhsa_ieee_mode 1
		.amdhsa_fp16_overflow 0
		.amdhsa_exception_fp_ieee_invalid_op 0
		.amdhsa_exception_fp_denorm_src 0
		.amdhsa_exception_fp_ieee_div_zero 0
		.amdhsa_exception_fp_ieee_overflow 0
		.amdhsa_exception_fp_ieee_underflow 0
		.amdhsa_exception_fp_ieee_inexact 0
		.amdhsa_exception_int_div_zero 0
	.end_amdhsa_kernel
	.section	.text._ZN2at6native12_GLOBAL__N_124RowwiseMomentsCUDAKernelIN3c104HalfEfLb0EEEvlT0_PKT_PS5_S9_,"axG",@progbits,_ZN2at6native12_GLOBAL__N_124RowwiseMomentsCUDAKernelIN3c104HalfEfLb0EEEvlT0_PKT_PS5_S9_,comdat
.Lfunc_end7:
	.size	_ZN2at6native12_GLOBAL__N_124RowwiseMomentsCUDAKernelIN3c104HalfEfLb0EEEvlT0_PKT_PS5_S9_, .Lfunc_end7-_ZN2at6native12_GLOBAL__N_124RowwiseMomentsCUDAKernelIN3c104HalfEfLb0EEEvlT0_PKT_PS5_S9_
                                        ; -- End function
	.set _ZN2at6native12_GLOBAL__N_124RowwiseMomentsCUDAKernelIN3c104HalfEfLb0EEEvlT0_PKT_PS5_S9_.num_vgpr, 20
	.set _ZN2at6native12_GLOBAL__N_124RowwiseMomentsCUDAKernelIN3c104HalfEfLb0EEEvlT0_PKT_PS5_S9_.num_agpr, 0
	.set _ZN2at6native12_GLOBAL__N_124RowwiseMomentsCUDAKernelIN3c104HalfEfLb0EEEvlT0_PKT_PS5_S9_.numbered_sgpr, 21
	.set _ZN2at6native12_GLOBAL__N_124RowwiseMomentsCUDAKernelIN3c104HalfEfLb0EEEvlT0_PKT_PS5_S9_.num_named_barrier, 0
	.set _ZN2at6native12_GLOBAL__N_124RowwiseMomentsCUDAKernelIN3c104HalfEfLb0EEEvlT0_PKT_PS5_S9_.private_seg_size, 0
	.set _ZN2at6native12_GLOBAL__N_124RowwiseMomentsCUDAKernelIN3c104HalfEfLb0EEEvlT0_PKT_PS5_S9_.uses_vcc, 1
	.set _ZN2at6native12_GLOBAL__N_124RowwiseMomentsCUDAKernelIN3c104HalfEfLb0EEEvlT0_PKT_PS5_S9_.uses_flat_scratch, 0
	.set _ZN2at6native12_GLOBAL__N_124RowwiseMomentsCUDAKernelIN3c104HalfEfLb0EEEvlT0_PKT_PS5_S9_.has_dyn_sized_stack, 0
	.set _ZN2at6native12_GLOBAL__N_124RowwiseMomentsCUDAKernelIN3c104HalfEfLb0EEEvlT0_PKT_PS5_S9_.has_recursion, 0
	.set _ZN2at6native12_GLOBAL__N_124RowwiseMomentsCUDAKernelIN3c104HalfEfLb0EEEvlT0_PKT_PS5_S9_.has_indirect_call, 0
	.section	.AMDGPU.csdata,"",@progbits
; Kernel info:
; codeLenInByte = 3384
; TotalNumSgprs: 25
; NumVgprs: 20
; ScratchSize: 0
; MemoryBound: 0
; FloatMode: 240
; IeeeMode: 1
; LDSByteSize: 1536 bytes/workgroup (compile time only)
; SGPRBlocks: 3
; VGPRBlocks: 4
; NumSGPRsForWavesPerEU: 25
; NumVGPRsForWavesPerEU: 20
; Occupancy: 10
; WaveLimiterHint : 0
; COMPUTE_PGM_RSRC2:SCRATCH_EN: 0
; COMPUTE_PGM_RSRC2:USER_SGPR: 6
; COMPUTE_PGM_RSRC2:TRAP_HANDLER: 0
; COMPUTE_PGM_RSRC2:TGID_X_EN: 1
; COMPUTE_PGM_RSRC2:TGID_Y_EN: 0
; COMPUTE_PGM_RSRC2:TGID_Z_EN: 0
; COMPUTE_PGM_RSRC2:TIDIG_COMP_CNT: 0
	.section	.text._ZN2at6native12_GLOBAL__N_126LayerNormForwardCUDAKernelIN3c104HalfEfLb0EEEvlPKT_PKT0_SA_S7_S7_PS5_,"axG",@progbits,_ZN2at6native12_GLOBAL__N_126LayerNormForwardCUDAKernelIN3c104HalfEfLb0EEEvlPKT_PKT0_SA_S7_S7_PS5_,comdat
	.globl	_ZN2at6native12_GLOBAL__N_126LayerNormForwardCUDAKernelIN3c104HalfEfLb0EEEvlPKT_PKT0_SA_S7_S7_PS5_ ; -- Begin function _ZN2at6native12_GLOBAL__N_126LayerNormForwardCUDAKernelIN3c104HalfEfLb0EEEvlPKT_PKT0_SA_S7_S7_PS5_
	.p2align	8
	.type	_ZN2at6native12_GLOBAL__N_126LayerNormForwardCUDAKernelIN3c104HalfEfLb0EEEvlPKT_PKT0_SA_S7_S7_PS5_,@function
_ZN2at6native12_GLOBAL__N_126LayerNormForwardCUDAKernelIN3c104HalfEfLb0EEEvlPKT_PKT0_SA_S7_S7_PS5_: ; @_ZN2at6native12_GLOBAL__N_126LayerNormForwardCUDAKernelIN3c104HalfEfLb0EEEvlPKT_PKT0_SA_S7_S7_PS5_
; %bb.0:
	s_load_dwordx8 s[8:15], s[4:5], 0x0
	v_mov_b32_e32 v1, 0
	s_waitcnt lgkmcnt(0)
	v_cmp_gt_i64_e32 vcc, s[8:9], v[0:1]
	s_and_saveexec_b64 s[0:1], vcc
	s_cbranch_execz .LBB8_8
; %bb.1:
	s_load_dwordx8 s[16:23], s[4:5], 0x20
	s_mov_b32 s7, 0
	s_waitcnt lgkmcnt(0)
	s_mov_b64 s[22:23], 0
	v_lshlrev_b32_e32 v2, 1, v0
	v_mov_b32_e32 v3, v1
	s_cmp_lg_u64 s[16:17], 0
	s_cselect_b64 s[0:1], -1, 0
	s_cmp_lg_u64 s[18:19], 0
	s_cselect_b64 s[2:3], -1, 0
	s_lshl_b64 s[24:25], s[6:7], 2
	s_add_u32 s12, s12, s24
	s_addc_u32 s13, s13, s25
	s_load_dword s26, s[4:5], 0x44
	s_load_dword s7, s[12:13], 0x0
	s_add_u32 s4, s14, s24
	s_addc_u32 s5, s15, s25
	s_load_dword s12, s[4:5], 0x0
	s_mul_i32 s4, s9, s6
	s_mul_hi_u32 s5, s8, s6
	s_add_i32 s5, s5, s4
	s_mul_i32 s4, s8, s6
	s_waitcnt lgkmcnt(0)
	s_and_b32 s13, s26, 0xffff
	s_lshl_b64 s[4:5], s[4:5], 1
	s_add_u32 s6, s10, s4
	s_addc_u32 s14, s11, s5
	s_lshl_b32 s10, s13, 1
	s_add_u32 s11, s20, s4
	s_addc_u32 s4, s21, s5
	v_cndmask_b32_e64 v6, 0, 1, s[0:1]
	v_cndmask_b32_e64 v7, 0, 1, s[2:3]
	v_mov_b32_e32 v4, s14
	v_mov_b32_e32 v5, s4
	v_cmp_ne_u32_e64 s[0:1], 1, v6
	v_cmp_ne_u32_e64 s[2:3], 1, v7
	s_branch .LBB8_4
.LBB8_2:                                ;   in Loop: Header=BB8_4 Depth=1
	v_mov_b32_e32 v8, s19
	v_add_co_u32_e32 v7, vcc, s18, v2
	v_addc_co_u32_e32 v8, vcc, v8, v3, vcc
	global_load_ushort v7, v[7:8], off
	s_waitcnt vmcnt(0)
	v_cvt_f32_f16_e32 v7, v7
.LBB8_3:                                ;   in Loop: Header=BB8_4 Depth=1
	v_add_co_u32_e32 v8, vcc, s6, v2
	v_addc_co_u32_e32 v9, vcc, v4, v3, vcc
	global_load_ushort v8, v[8:9], off
	v_add_co_u32_e32 v0, vcc, s13, v0
	v_addc_co_u32_e32 v1, vcc, 0, v1, vcc
	v_cmp_le_i64_e32 vcc, s[8:9], v[0:1]
	s_or_b64 s[22:23], vcc, s[22:23]
	s_waitcnt vmcnt(0)
	v_cvt_f32_f16_e32 v10, v8
	v_add_co_u32_e64 v8, s[4:5], s11, v2
	v_add_co_u32_e32 v2, vcc, s10, v2
	v_subrev_f32_e32 v10, s7, v10
	v_mul_f32_e32 v10, s12, v10
	v_addc_co_u32_e64 v9, s[4:5], v5, v3, s[4:5]
	v_fma_mixlo_f16 v6, v6, v10, v7
	v_addc_co_u32_e32 v3, vcc, 0, v3, vcc
	global_store_short v[8:9], v6, off
	s_andn2_b64 exec, exec, s[22:23]
	s_cbranch_execz .LBB8_8
.LBB8_4:                                ; =>This Inner Loop Header: Depth=1
	s_and_b64 vcc, exec, s[0:1]
	s_cbranch_vccnz .LBB8_6
; %bb.5:                                ;   in Loop: Header=BB8_4 Depth=1
	v_mov_b32_e32 v7, s17
	v_add_co_u32_e32 v6, vcc, s16, v2
	v_addc_co_u32_e32 v7, vcc, v7, v3, vcc
	global_load_ushort v6, v[6:7], off
	s_waitcnt vmcnt(0)
	v_cvt_f32_f16_e32 v6, v6
	s_and_b64 vcc, exec, s[2:3]
	s_cbranch_vccz .LBB8_2
	s_branch .LBB8_7
.LBB8_6:                                ;   in Loop: Header=BB8_4 Depth=1
	v_mov_b32_e32 v6, 1.0
	s_and_b64 vcc, exec, s[2:3]
	s_cbranch_vccz .LBB8_2
.LBB8_7:                                ;   in Loop: Header=BB8_4 Depth=1
	v_mov_b32_e32 v7, 0
	s_branch .LBB8_3
.LBB8_8:
	s_endpgm
	.section	.rodata,"a",@progbits
	.p2align	6, 0x0
	.amdhsa_kernel _ZN2at6native12_GLOBAL__N_126LayerNormForwardCUDAKernelIN3c104HalfEfLb0EEEvlPKT_PKT0_SA_S7_S7_PS5_
		.amdhsa_group_segment_fixed_size 0
		.amdhsa_private_segment_fixed_size 0
		.amdhsa_kernarg_size 312
		.amdhsa_user_sgpr_count 6
		.amdhsa_user_sgpr_private_segment_buffer 1
		.amdhsa_user_sgpr_dispatch_ptr 0
		.amdhsa_user_sgpr_queue_ptr 0
		.amdhsa_user_sgpr_kernarg_segment_ptr 1
		.amdhsa_user_sgpr_dispatch_id 0
		.amdhsa_user_sgpr_flat_scratch_init 0
		.amdhsa_user_sgpr_private_segment_size 0
		.amdhsa_uses_dynamic_stack 0
		.amdhsa_system_sgpr_private_segment_wavefront_offset 0
		.amdhsa_system_sgpr_workgroup_id_x 1
		.amdhsa_system_sgpr_workgroup_id_y 0
		.amdhsa_system_sgpr_workgroup_id_z 0
		.amdhsa_system_sgpr_workgroup_info 0
		.amdhsa_system_vgpr_workitem_id 0
		.amdhsa_next_free_vgpr 11
		.amdhsa_next_free_sgpr 27
		.amdhsa_reserve_vcc 1
		.amdhsa_reserve_flat_scratch 0
		.amdhsa_float_round_mode_32 0
		.amdhsa_float_round_mode_16_64 0
		.amdhsa_float_denorm_mode_32 3
		.amdhsa_float_denorm_mode_16_64 3
		.amdhsa_dx10_clamp 1
		.amdhsa_ieee_mode 1
		.amdhsa_fp16_overflow 0
		.amdhsa_exception_fp_ieee_invalid_op 0
		.amdhsa_exception_fp_denorm_src 0
		.amdhsa_exception_fp_ieee_div_zero 0
		.amdhsa_exception_fp_ieee_overflow 0
		.amdhsa_exception_fp_ieee_underflow 0
		.amdhsa_exception_fp_ieee_inexact 0
		.amdhsa_exception_int_div_zero 0
	.end_amdhsa_kernel
	.section	.text._ZN2at6native12_GLOBAL__N_126LayerNormForwardCUDAKernelIN3c104HalfEfLb0EEEvlPKT_PKT0_SA_S7_S7_PS5_,"axG",@progbits,_ZN2at6native12_GLOBAL__N_126LayerNormForwardCUDAKernelIN3c104HalfEfLb0EEEvlPKT_PKT0_SA_S7_S7_PS5_,comdat
.Lfunc_end8:
	.size	_ZN2at6native12_GLOBAL__N_126LayerNormForwardCUDAKernelIN3c104HalfEfLb0EEEvlPKT_PKT0_SA_S7_S7_PS5_, .Lfunc_end8-_ZN2at6native12_GLOBAL__N_126LayerNormForwardCUDAKernelIN3c104HalfEfLb0EEEvlPKT_PKT0_SA_S7_S7_PS5_
                                        ; -- End function
	.set _ZN2at6native12_GLOBAL__N_126LayerNormForwardCUDAKernelIN3c104HalfEfLb0EEEvlPKT_PKT0_SA_S7_S7_PS5_.num_vgpr, 11
	.set _ZN2at6native12_GLOBAL__N_126LayerNormForwardCUDAKernelIN3c104HalfEfLb0EEEvlPKT_PKT0_SA_S7_S7_PS5_.num_agpr, 0
	.set _ZN2at6native12_GLOBAL__N_126LayerNormForwardCUDAKernelIN3c104HalfEfLb0EEEvlPKT_PKT0_SA_S7_S7_PS5_.numbered_sgpr, 27
	.set _ZN2at6native12_GLOBAL__N_126LayerNormForwardCUDAKernelIN3c104HalfEfLb0EEEvlPKT_PKT0_SA_S7_S7_PS5_.num_named_barrier, 0
	.set _ZN2at6native12_GLOBAL__N_126LayerNormForwardCUDAKernelIN3c104HalfEfLb0EEEvlPKT_PKT0_SA_S7_S7_PS5_.private_seg_size, 0
	.set _ZN2at6native12_GLOBAL__N_126LayerNormForwardCUDAKernelIN3c104HalfEfLb0EEEvlPKT_PKT0_SA_S7_S7_PS5_.uses_vcc, 1
	.set _ZN2at6native12_GLOBAL__N_126LayerNormForwardCUDAKernelIN3c104HalfEfLb0EEEvlPKT_PKT0_SA_S7_S7_PS5_.uses_flat_scratch, 0
	.set _ZN2at6native12_GLOBAL__N_126LayerNormForwardCUDAKernelIN3c104HalfEfLb0EEEvlPKT_PKT0_SA_S7_S7_PS5_.has_dyn_sized_stack, 0
	.set _ZN2at6native12_GLOBAL__N_126LayerNormForwardCUDAKernelIN3c104HalfEfLb0EEEvlPKT_PKT0_SA_S7_S7_PS5_.has_recursion, 0
	.set _ZN2at6native12_GLOBAL__N_126LayerNormForwardCUDAKernelIN3c104HalfEfLb0EEEvlPKT_PKT0_SA_S7_S7_PS5_.has_indirect_call, 0
	.section	.AMDGPU.csdata,"",@progbits
; Kernel info:
; codeLenInByte = 408
; TotalNumSgprs: 31
; NumVgprs: 11
; ScratchSize: 0
; MemoryBound: 0
; FloatMode: 240
; IeeeMode: 1
; LDSByteSize: 0 bytes/workgroup (compile time only)
; SGPRBlocks: 3
; VGPRBlocks: 2
; NumSGPRsForWavesPerEU: 31
; NumVGPRsForWavesPerEU: 11
; Occupancy: 10
; WaveLimiterHint : 0
; COMPUTE_PGM_RSRC2:SCRATCH_EN: 0
; COMPUTE_PGM_RSRC2:USER_SGPR: 6
; COMPUTE_PGM_RSRC2:TRAP_HANDLER: 0
; COMPUTE_PGM_RSRC2:TGID_X_EN: 1
; COMPUTE_PGM_RSRC2:TGID_Y_EN: 0
; COMPUTE_PGM_RSRC2:TGID_Z_EN: 0
; COMPUTE_PGM_RSRC2:TIDIG_COMP_CNT: 0
	.section	.text._ZN2at6native12_GLOBAL__N_128vectorized_layer_norm_kernelIN3c108BFloat16EfLb0EEEviT0_PKT_S8_S8_PS5_S9_PS6_,"axG",@progbits,_ZN2at6native12_GLOBAL__N_128vectorized_layer_norm_kernelIN3c108BFloat16EfLb0EEEviT0_PKT_S8_S8_PS5_S9_PS6_,comdat
	.globl	_ZN2at6native12_GLOBAL__N_128vectorized_layer_norm_kernelIN3c108BFloat16EfLb0EEEviT0_PKT_S8_S8_PS5_S9_PS6_ ; -- Begin function _ZN2at6native12_GLOBAL__N_128vectorized_layer_norm_kernelIN3c108BFloat16EfLb0EEEviT0_PKT_S8_S8_PS5_S9_PS6_
	.p2align	8
	.type	_ZN2at6native12_GLOBAL__N_128vectorized_layer_norm_kernelIN3c108BFloat16EfLb0EEEviT0_PKT_S8_S8_PS5_S9_PS6_,@function
_ZN2at6native12_GLOBAL__N_128vectorized_layer_norm_kernelIN3c108BFloat16EfLb0EEEviT0_PKT_S8_S8_PS5_S9_PS6_: ; @_ZN2at6native12_GLOBAL__N_128vectorized_layer_norm_kernelIN3c108BFloat16EfLb0EEEviT0_PKT_S8_S8_PS5_S9_PS6_
; %bb.0:
	s_load_dwordx4 s[16:19], s[4:5], 0x0
	s_load_dword s0, s[4:5], 0x44
	s_mov_b32 s7, 0
	v_mov_b32_e32 v10, 0
	v_mov_b32_e32 v5, 0
	s_waitcnt lgkmcnt(0)
	s_ashr_i32 s1, s16, 31
	s_lshr_b32 s12, s0, 16
	s_and_b32 s0, s0, 0xffff
	s_mul_i32 s20, s12, s0
	v_mul_u32_u24_e32 v2, s0, v1
	v_mad_u32_u24 v7, v1, s0, v0
	s_lshr_b32 s0, s1, 30
	s_add_i32 s0, s16, s0
	s_mul_hi_u32 s2, s16, s6
	s_mul_i32 s3, s1, s6
	s_ashr_i32 s26, s0, 2
	s_add_i32 s23, s2, s3
	s_mul_i32 s22, s16, s6
	v_cmp_gt_i32_e64 s[0:1], s26, v7
	v_add_lshl_u32 v8, v2, v0, 3
	v_mov_b32_e32 v4, 0
	s_and_saveexec_b64 s[2:3], s[0:1]
	s_cbranch_execz .LBB9_4
; %bb.1:
	s_lshl_b64 s[8:9], s[22:23], 1
	s_add_u32 s8, s18, s8
	s_addc_u32 s9, s19, s9
	s_ashr_i32 s21, s20, 31
	v_mov_b32_e32 v3, s9
	v_add_co_u32_e32 v2, vcc, s8, v8
	s_lshl_b64 s[10:11], s[20:21], 3
	v_mov_b32_e32 v10, 0
	v_addc_co_u32_e32 v3, vcc, 0, v3, vcc
	s_mov_b64 s[8:9], 0
	v_mov_b32_e32 v6, s11
	v_mov_b32_e32 v9, v7
	;; [unrolled: 1-line block ×4, first 2 shown]
.LBB9_2:                                ; =>This Inner Loop Header: Depth=1
	global_load_dwordx2 v[11:12], v[2:3], off
	v_add_f32_e32 v10, 1.0, v10
	v_div_scale_f32 v16, s[14:15], v10, v10, 1.0
	v_add_u32_e32 v9, s20, v9
	v_rcp_f32_e32 v17, v16
	v_fma_f32 v18, -v16, v17, 1.0
	v_fmac_f32_e32 v17, v18, v17
	v_div_scale_f32 v18, vcc, 1.0, v10, 1.0
	v_mul_f32_e32 v19, v18, v17
	v_fma_f32 v20, -v16, v19, v18
	v_fmac_f32_e32 v19, v20, v17
	v_fma_f32 v16, -v16, v19, v18
	v_div_fmas_f32 v16, v16, v17, v19
	v_div_fixup_f32 v16, v16, v10, 1.0
	v_add_f32_e32 v10, 1.0, v10
	s_waitcnt vmcnt(0)
	v_lshlrev_b32_e32 v14, 16, v11
	v_sub_f32_e32 v15, v14, v4
	v_fmac_f32_e32 v4, v16, v15
	v_sub_f32_e32 v14, v14, v4
	v_fmac_f32_e32 v5, v15, v14
	v_div_scale_f32 v15, s[14:15], v10, v10, 1.0
	v_and_b32_e32 v13, 0xffff0000, v11
	v_sub_f32_e32 v14, v13, v4
	v_alignbit_b32 v11, v12, v11, 16
	v_and_b32_e32 v11, 0xffff0000, v11
	v_rcp_f32_e32 v16, v15
	v_fma_f32 v17, -v15, v16, 1.0
	v_fmac_f32_e32 v16, v17, v16
	v_div_scale_f32 v17, vcc, 1.0, v10, 1.0
	v_mul_f32_e32 v18, v17, v16
	v_fma_f32 v19, -v15, v18, v17
	v_fmac_f32_e32 v18, v19, v16
	v_fma_f32 v15, -v15, v18, v17
	v_div_fmas_f32 v15, v15, v16, v18
	v_div_fixup_f32 v15, v15, v10, 1.0
	v_fmac_f32_e32 v4, v15, v14
	v_sub_f32_e32 v13, v13, v4
	v_add_f32_e32 v10, 1.0, v10
	v_fmac_f32_e32 v5, v14, v13
	v_div_scale_f32 v14, s[14:15], v10, v10, 1.0
	v_sub_f32_e32 v13, v11, v4
	v_rcp_f32_e32 v15, v14
	v_fma_f32 v16, -v14, v15, 1.0
	v_fmac_f32_e32 v15, v16, v15
	v_div_scale_f32 v16, vcc, 1.0, v10, 1.0
	v_mul_f32_e32 v17, v16, v15
	v_fma_f32 v18, -v14, v17, v16
	v_fmac_f32_e32 v17, v18, v15
	v_fma_f32 v14, -v14, v17, v16
	v_div_fmas_f32 v14, v14, v15, v17
	v_div_fixup_f32 v14, v14, v10, 1.0
	v_fmac_f32_e32 v4, v14, v13
	v_sub_f32_e32 v11, v11, v4
	v_add_f32_e32 v10, 1.0, v10
	v_fmac_f32_e32 v5, v13, v11
	v_div_scale_f32 v13, s[14:15], v10, v10, 1.0
	v_and_b32_e32 v11, 0xffff0000, v12
	v_sub_f32_e32 v12, v11, v4
	v_rcp_f32_e32 v14, v13
	v_fma_f32 v15, -v13, v14, 1.0
	v_fmac_f32_e32 v14, v15, v14
	v_div_scale_f32 v15, vcc, 1.0, v10, 1.0
	v_mul_f32_e32 v16, v15, v14
	v_fma_f32 v17, -v13, v16, v15
	v_fmac_f32_e32 v16, v17, v14
	v_fma_f32 v13, -v13, v16, v15
	v_div_fmas_f32 v13, v13, v14, v16
	v_add_co_u32_e32 v2, vcc, s10, v2
	v_addc_co_u32_e32 v3, vcc, v3, v6, vcc
	v_cmp_le_i32_e32 vcc, s26, v9
	s_or_b64 s[8:9], vcc, s[8:9]
	v_div_fixup_f32 v13, v13, v10, 1.0
	v_fmac_f32_e32 v4, v13, v12
	v_sub_f32_e32 v11, v11, v4
	v_fmac_f32_e32 v5, v12, v11
	s_andn2_b64 exec, exec, s[8:9]
	s_cbranch_execnz .LBB9_2
; %bb.3:
	s_or_b64 exec, exec, s[8:9]
.LBB9_4:
	s_or_b64 exec, exec, s[2:3]
	v_mbcnt_lo_u32_b32 v2, -1, 0
	v_mbcnt_hi_u32_b32 v3, -1, v2
	v_lshlrev_b32_e32 v2, 2, v3
	v_or_b32_e32 v9, 0x80, v2
	ds_bpermute_b32 v14, v9, v10
	ds_bpermute_b32 v12, v9, v4
	;; [unrolled: 1-line block ×3, first 2 shown]
	v_mov_b32_e32 v6, 0
	v_mov_b32_e32 v11, 0
	s_waitcnt lgkmcnt(2)
	v_add_f32_e32 v9, v10, v14
	v_cmp_lt_f32_e32 vcc, 0, v9
	v_mov_b32_e32 v13, 0
	s_and_saveexec_b64 s[2:3], vcc
	s_cbranch_execz .LBB9_6
; %bb.5:
	v_div_scale_f32 v11, s[8:9], v9, v9, 1.0
	v_div_scale_f32 v13, vcc, 1.0, v9, 1.0
	v_rcp_f32_e32 v16, v11
	v_fma_f32 v17, -v11, v16, 1.0
	v_fmac_f32_e32 v16, v17, v16
	v_mul_f32_e32 v17, v13, v16
	v_fma_f32 v18, -v11, v17, v13
	v_fmac_f32_e32 v17, v18, v16
	v_fma_f32 v11, -v11, v17, v13
	v_div_fmas_f32 v13, v11, v16, v17
	s_waitcnt lgkmcnt(1)
	v_sub_f32_e32 v16, v4, v12
	s_waitcnt lgkmcnt(0)
	v_add_f32_e32 v11, v5, v15
	v_mul_f32_e32 v5, v16, v16
	v_mul_f32_e32 v5, v5, v14
	v_div_fixup_f32 v13, v13, v9, 1.0
	v_mul_f32_e32 v10, v10, v13
	v_mul_f32_e32 v14, v13, v14
	;; [unrolled: 1-line block ×3, first 2 shown]
	v_fmac_f32_e32 v13, v14, v12
	v_fmac_f32_e32 v11, v5, v10
.LBB9_6:
	s_or_b64 exec, exec, s[2:3]
	v_and_b32_e32 v5, 63, v3
	v_cmp_gt_u32_e32 vcc, 48, v5
	v_cndmask_b32_e64 v4, 0, 16, vcc
	v_add_lshl_u32 v4, v4, v3, 2
	ds_bpermute_b32 v14, v4, v9
	ds_bpermute_b32 v10, v4, v13
	s_waitcnt lgkmcnt(2)
	ds_bpermute_b32 v15, v4, v11
	v_mov_b32_e32 v12, 0
	s_waitcnt lgkmcnt(2)
	v_add_f32_e32 v4, v9, v14
	v_cmp_lt_f32_e32 vcc, 0, v4
	s_and_saveexec_b64 s[2:3], vcc
	s_cbranch_execz .LBB9_8
; %bb.7:
	v_div_scale_f32 v6, s[8:9], v4, v4, 1.0
	v_div_scale_f32 v12, vcc, 1.0, v4, 1.0
	v_rcp_f32_e32 v16, v6
	v_fma_f32 v17, -v6, v16, 1.0
	v_fmac_f32_e32 v16, v17, v16
	v_mul_f32_e32 v17, v12, v16
	v_fma_f32 v18, -v6, v17, v12
	v_fmac_f32_e32 v17, v18, v16
	v_fma_f32 v6, -v6, v17, v12
	v_div_fmas_f32 v12, v6, v16, v17
	s_waitcnt lgkmcnt(1)
	v_sub_f32_e32 v16, v13, v10
	s_waitcnt lgkmcnt(0)
	v_add_f32_e32 v6, v11, v15
	v_mul_f32_e32 v11, v16, v16
	v_mul_f32_e32 v11, v11, v14
	v_div_fixup_f32 v12, v12, v4, 1.0
	v_mul_f32_e32 v9, v9, v12
	v_mul_f32_e32 v14, v12, v14
	;; [unrolled: 1-line block ×3, first 2 shown]
	v_fmac_f32_e32 v12, v14, v10
	v_fmac_f32_e32 v6, v11, v9
.LBB9_8:
	s_or_b64 exec, exec, s[2:3]
	v_cmp_gt_u32_e32 vcc, 56, v5
	v_cndmask_b32_e64 v9, 0, 8, vcc
	s_waitcnt lgkmcnt(1)
	v_add_lshl_u32 v10, v9, v3, 2
	s_waitcnt lgkmcnt(0)
	ds_bpermute_b32 v15, v10, v4
	ds_bpermute_b32 v11, v10, v12
	;; [unrolled: 1-line block ×3, first 2 shown]
	v_mov_b32_e32 v9, 0
	v_mov_b32_e32 v13, 0
	s_waitcnt lgkmcnt(2)
	v_add_f32_e32 v10, v4, v15
	v_cmp_lt_f32_e32 vcc, 0, v10
	v_mov_b32_e32 v14, 0
	s_and_saveexec_b64 s[2:3], vcc
	s_cbranch_execz .LBB9_10
; %bb.9:
	v_div_scale_f32 v13, s[8:9], v10, v10, 1.0
	v_div_scale_f32 v14, vcc, 1.0, v10, 1.0
	v_rcp_f32_e32 v17, v13
	v_fma_f32 v18, -v13, v17, 1.0
	v_fmac_f32_e32 v17, v18, v17
	v_mul_f32_e32 v18, v14, v17
	v_fma_f32 v19, -v13, v18, v14
	v_fmac_f32_e32 v18, v19, v17
	v_fma_f32 v13, -v13, v18, v14
	v_div_fmas_f32 v14, v13, v17, v18
	s_waitcnt lgkmcnt(1)
	v_sub_f32_e32 v17, v12, v11
	s_waitcnt lgkmcnt(0)
	v_add_f32_e32 v13, v6, v16
	v_mul_f32_e32 v6, v17, v17
	v_mul_f32_e32 v6, v6, v15
	v_div_fixup_f32 v14, v14, v10, 1.0
	v_mul_f32_e32 v4, v4, v14
	v_mul_f32_e32 v15, v14, v15
	;; [unrolled: 1-line block ×3, first 2 shown]
	v_fmac_f32_e32 v14, v15, v11
	v_fmac_f32_e32 v13, v6, v4
.LBB9_10:
	s_or_b64 exec, exec, s[2:3]
	v_cmp_gt_u32_e32 vcc, 60, v5
	v_cndmask_b32_e64 v4, 0, 4, vcc
	v_add_lshl_u32 v6, v4, v3, 2
	ds_bpermute_b32 v12, v6, v10
	ds_bpermute_b32 v4, v6, v14
	;; [unrolled: 1-line block ×3, first 2 shown]
	s_waitcnt lgkmcnt(4)
	v_mov_b32_e32 v11, 0
	s_waitcnt lgkmcnt(2)
	v_add_f32_e32 v6, v10, v12
	v_cmp_lt_f32_e32 vcc, 0, v6
	s_and_saveexec_b64 s[2:3], vcc
	s_cbranch_execz .LBB9_12
; %bb.11:
	v_div_scale_f32 v9, s[8:9], v6, v6, 1.0
	v_div_scale_f32 v11, vcc, 1.0, v6, 1.0
	v_rcp_f32_e32 v16, v9
	v_fma_f32 v17, -v9, v16, 1.0
	v_fmac_f32_e32 v16, v17, v16
	v_mul_f32_e32 v17, v11, v16
	v_fma_f32 v18, -v9, v17, v11
	v_fmac_f32_e32 v17, v18, v16
	v_fma_f32 v9, -v9, v17, v11
	v_div_fmas_f32 v11, v9, v16, v17
	s_waitcnt lgkmcnt(1)
	v_sub_f32_e32 v16, v14, v4
	s_waitcnt lgkmcnt(0)
	v_add_f32_e32 v9, v13, v15
	v_mul_f32_e32 v13, v16, v16
	v_mul_f32_e32 v13, v13, v12
	v_div_fixup_f32 v11, v11, v6, 1.0
	v_mul_f32_e32 v10, v10, v11
	v_mul_f32_e32 v12, v11, v12
	;; [unrolled: 1-line block ×3, first 2 shown]
	v_fmac_f32_e32 v11, v12, v4
	v_fmac_f32_e32 v9, v13, v10
.LBB9_12:
	s_or_b64 exec, exec, s[2:3]
	v_cmp_gt_u32_e32 vcc, 62, v5
	s_waitcnt lgkmcnt(1)
	v_cndmask_b32_e64 v4, 0, 2, vcc
	v_add_lshl_u32 v10, v4, v3, 2
	s_waitcnt lgkmcnt(0)
	ds_bpermute_b32 v15, v10, v6
	ds_bpermute_b32 v14, v10, v11
	;; [unrolled: 1-line block ×3, first 2 shown]
	v_mov_b32_e32 v4, 0
	v_mov_b32_e32 v12, 0
	s_waitcnt lgkmcnt(2)
	v_add_f32_e32 v10, v6, v15
	v_cmp_lt_f32_e32 vcc, 0, v10
	v_mov_b32_e32 v13, 0
	s_and_saveexec_b64 s[2:3], vcc
	s_cbranch_execz .LBB9_14
; %bb.13:
	v_div_scale_f32 v12, s[8:9], v10, v10, 1.0
	v_div_scale_f32 v13, vcc, 1.0, v10, 1.0
	v_rcp_f32_e32 v17, v12
	v_fma_f32 v18, -v12, v17, 1.0
	v_fmac_f32_e32 v17, v18, v17
	v_mul_f32_e32 v18, v13, v17
	v_fma_f32 v19, -v12, v18, v13
	v_fmac_f32_e32 v18, v19, v17
	v_fma_f32 v12, -v12, v18, v13
	v_div_fmas_f32 v13, v12, v17, v18
	s_waitcnt lgkmcnt(1)
	v_sub_f32_e32 v17, v11, v14
	s_waitcnt lgkmcnt(0)
	v_add_f32_e32 v12, v9, v16
	v_mul_f32_e32 v9, v17, v17
	v_mul_f32_e32 v9, v9, v15
	v_div_fixup_f32 v13, v13, v10, 1.0
	v_mul_f32_e32 v6, v6, v13
	v_mul_f32_e32 v15, v13, v15
	;; [unrolled: 1-line block ×3, first 2 shown]
	v_fmac_f32_e32 v13, v15, v14
	v_fmac_f32_e32 v12, v9, v6
.LBB9_14:
	s_or_b64 exec, exec, s[2:3]
	v_cmp_ne_u32_e32 vcc, 63, v5
	v_addc_co_u32_e32 v3, vcc, 0, v3, vcc
	v_lshlrev_b32_e32 v5, 2, v3
	ds_bpermute_b32 v9, v5, v10
	ds_bpermute_b32 v3, v5, v13
	;; [unrolled: 1-line block ×3, first 2 shown]
	v_mov_b32_e32 v6, 0
	s_waitcnt lgkmcnt(2)
	v_add_f32_e32 v5, v10, v9
	v_cmp_lt_f32_e32 vcc, 0, v5
	s_and_saveexec_b64 s[2:3], vcc
	s_cbranch_execz .LBB9_16
; %bb.15:
	v_div_scale_f32 v4, s[8:9], v5, v5, 1.0
	v_div_scale_f32 v6, vcc, 1.0, v5, 1.0
	v_rcp_f32_e32 v14, v4
	v_fma_f32 v15, -v4, v14, 1.0
	v_fmac_f32_e32 v14, v15, v14
	v_mul_f32_e32 v15, v6, v14
	v_fma_f32 v16, -v4, v15, v6
	v_fmac_f32_e32 v15, v16, v14
	v_fma_f32 v4, -v4, v15, v6
	v_div_fmas_f32 v6, v4, v14, v15
	s_waitcnt lgkmcnt(1)
	v_sub_f32_e32 v14, v13, v3
	s_waitcnt lgkmcnt(0)
	v_add_f32_e32 v4, v12, v11
	v_mul_f32_e32 v11, v14, v14
	v_mul_f32_e32 v11, v11, v9
	v_div_fixup_f32 v6, v6, v5, 1.0
	v_mul_f32_e32 v10, v10, v6
	v_mul_f32_e32 v9, v6, v9
	v_mul_f32_e32 v6, v13, v10
	v_fmac_f32_e32 v6, v9, v3
	v_fmac_f32_e32 v4, v11, v10
.LBB9_16:
	s_or_b64 exec, exec, s[2:3]
	s_cmp_lt_u32 s12, 2
	s_cbranch_scc0 .LBB9_18
; %bb.17:
	v_and_b32_e32 v2, 0x100, v2
	s_waitcnt lgkmcnt(1)
	ds_bpermute_b32 v3, v2, v4
	v_cvt_f32_i32_e32 v9, s16
	ds_bpermute_b32 v2, v2, v6
	s_waitcnt lgkmcnt(1)
	v_div_scale_f32 v10, s[2:3], v9, v9, v3
	v_div_scale_f32 v11, vcc, v3, v9, v3
	v_rcp_f32_e32 v12, v10
	v_fma_f32 v13, -v10, v12, 1.0
	v_fmac_f32_e32 v12, v13, v12
	v_mul_f32_e32 v13, v11, v12
	v_fma_f32 v14, -v10, v13, v11
	v_fmac_f32_e32 v13, v14, v12
	v_fma_f32 v10, -v10, v13, v11
	v_div_fmas_f32 v10, v10, v12, v13
	v_div_fixup_f32 v3, v10, v9, v3
	s_cbranch_execz .LBB9_19
	s_branch .LBB9_31
.LBB9_18:
                                        ; implicit-def: $vgpr3
.LBB9_19:
	s_lshl_b32 s2, s12, 2
	s_add_i32 s13, s2, 0
	s_waitcnt lgkmcnt(1)
	v_lshlrev_b32_e32 v3, 3, v1
	v_cmp_eq_u32_e64 s[2:3], 0, v0
	s_waitcnt lgkmcnt(0)
	v_lshl_add_u32 v2, v1, 2, s13
	v_add_u32_e32 v3, 0, v3
.LBB9_20:                               ; =>This Inner Loop Header: Depth=1
	s_lshr_b32 s14, s12, 1
	v_cmp_le_u32_e32 vcc, s14, v1
	s_and_b32 s10, s12, 0xfffe
	s_and_b64 s[8:9], s[2:3], vcc
	v_cmp_gt_u32_e32 vcc, s10, v1
	s_and_b64 s[10:11], s[8:9], vcc
	s_and_saveexec_b64 s[8:9], s[10:11]
	s_cbranch_execz .LBB9_22
; %bb.21:                               ;   in Loop: Header=BB9_20 Depth=1
	v_subrev_u32_e32 v9, s14, v1
	v_lshl_add_u32 v10, v9, 2, s13
	v_lshl_add_u32 v9, v9, 3, 0
	ds_write2_b32 v9, v6, v4 offset1:1
	ds_write_b32 v10, v5
.LBB9_22:                               ;   in Loop: Header=BB9_20 Depth=1
	s_or_b64 exec, exec, s[8:9]
	v_cmp_gt_u32_e32 vcc, s14, v1
	s_and_b64 s[10:11], s[2:3], vcc
	s_waitcnt lgkmcnt(0)
	s_barrier
	s_and_saveexec_b64 s[8:9], s[10:11]
	s_cbranch_execz .LBB9_26
; %bb.23:                               ;   in Loop: Header=BB9_20 Depth=1
	ds_read_b32 v10, v2
	v_mov_b32_e32 v11, 0
	v_mov_b32_e32 v12, 0
	s_waitcnt lgkmcnt(0)
	v_add_f32_e32 v9, v5, v10
	v_cmp_lt_f32_e32 vcc, 0, v9
	s_and_saveexec_b64 s[10:11], vcc
	s_cbranch_execz .LBB9_25
; %bb.24:                               ;   in Loop: Header=BB9_20 Depth=1
	v_div_scale_f32 v11, s[24:25], v9, v9, 1.0
	v_div_scale_f32 v12, vcc, 1.0, v9, 1.0
	v_rcp_f32_e32 v13, v11
	v_fma_f32 v14, -v11, v13, 1.0
	v_fmac_f32_e32 v13, v14, v13
	v_mul_f32_e32 v14, v12, v13
	v_fma_f32 v15, -v11, v14, v12
	v_fmac_f32_e32 v14, v15, v13
	v_fma_f32 v11, -v11, v14, v12
	v_div_fmas_f32 v14, v11, v13, v14
	ds_read2_b32 v[12:13], v3 offset1:1
	s_waitcnt lgkmcnt(0)
	v_sub_f32_e32 v15, v6, v12
	v_add_f32_e32 v11, v4, v13
	v_mul_f32_e32 v4, v15, v15
	v_mul_f32_e32 v4, v10, v4
	v_div_fixup_f32 v13, v14, v9, 1.0
	v_mul_f32_e32 v10, v10, v13
	v_mul_f32_e32 v5, v5, v13
	v_mul_f32_e32 v12, v10, v12
	v_fmac_f32_e32 v12, v6, v5
	v_fmac_f32_e32 v11, v5, v4
.LBB9_25:                               ;   in Loop: Header=BB9_20 Depth=1
	s_or_b64 exec, exec, s[10:11]
	v_mov_b32_e32 v6, v12
	v_mov_b32_e32 v4, v11
	;; [unrolled: 1-line block ×3, first 2 shown]
.LBB9_26:                               ;   in Loop: Header=BB9_20 Depth=1
	s_or_b64 exec, exec, s[8:9]
	s_cmp_lt_u32 s12, 4
	s_barrier
	s_cbranch_scc1 .LBB9_28
; %bb.27:                               ;   in Loop: Header=BB9_20 Depth=1
	s_mov_b32 s12, s14
	s_branch .LBB9_20
.LBB9_28:
	v_or_b32_e32 v0, v0, v1
	v_cmp_eq_u32_e32 vcc, 0, v0
	s_and_saveexec_b64 s[2:3], vcc
	s_cbranch_execz .LBB9_30
; %bb.29:
	v_cvt_f32_i32_e32 v0, s16
	v_div_scale_f32 v1, s[8:9], v0, v0, v4
	v_div_scale_f32 v2, vcc, v4, v0, v4
	v_rcp_f32_e32 v3, v1
	v_fma_f32 v5, -v1, v3, 1.0
	v_fmac_f32_e32 v3, v5, v3
	v_mul_f32_e32 v5, v2, v3
	v_fma_f32 v9, -v1, v5, v2
	v_fmac_f32_e32 v5, v9, v3
	v_fma_f32 v1, -v1, v5, v2
	v_div_fmas_f32 v1, v1, v3, v5
	v_div_fixup_f32 v0, v1, v0, v4
	v_mov_b32_e32 v1, 0
	ds_write2_b32 v1, v6, v0 offset1:1
.LBB9_30:
	s_or_b64 exec, exec, s[2:3]
	v_mov_b32_e32 v0, 0
	s_waitcnt lgkmcnt(0)
	s_barrier
	ds_read2_b32 v[2:3], v0 offset1:1
.LBB9_31:
	s_waitcnt lgkmcnt(0)
	v_add_f32_e32 v0, s17, v3
	s_mov_b32 s2, 0x800000
	v_mul_f32_e32 v1, 0x4b800000, v0
	v_cmp_gt_f32_e32 vcc, s2, v0
	v_cndmask_b32_e32 v0, v0, v1, vcc
	v_rsq_f32_e32 v0, v0
	s_load_dwordx8 s[8:15], s[4:5], 0x10
	s_load_dwordx2 s[2:3], s[4:5], 0x30
	v_mul_f32_e32 v1, 0x45800000, v0
	v_cndmask_b32_e32 v9, v0, v1, vcc
	s_and_saveexec_b64 s[4:5], s[0:1]
	s_cbranch_execz .LBB9_46
; %bb.32:
	s_waitcnt lgkmcnt(0)
	s_cmp_eq_u64 s[8:9], 0
	s_cselect_b64 s[24:25], -1, 0
	s_cmp_eq_u64 s[10:11], 0
	s_cselect_b64 s[0:1], -1, 0
	s_lshl_b64 s[22:23], s[22:23], 1
	s_add_u32 s27, s2, s22
	s_addc_u32 s28, s3, s23
	s_add_u32 s29, s18, s22
	s_addc_u32 s30, s19, s23
	v_cndmask_b32_e64 v0, 0, 1, s[0:1]
	s_ashr_i32 s21, s20, 31
	s_mov_b64 s[16:17], 0
	s_or_b64 s[18:19], s[24:25], s[0:1]
	v_mov_b32_e32 v10, v9
	v_mov_b32_e32 v11, v2
	;; [unrolled: 1-line block ×3, first 2 shown]
	s_lshl_b64 s[22:23], s[20:21], 3
	v_cmp_ne_u32_e64 s[0:1], 1, v0
	s_movk_i32 s21, 0x7fff
	v_mov_b32_e32 v13, 0x7fc0
	v_mov_b32_e32 v14, 1
	;; [unrolled: 1-line block ×4, first 2 shown]
	s_branch .LBB9_34
.LBB9_33:                               ;   in Loop: Header=BB9_34 Depth=1
	s_add_u32 s29, s29, s22
	v_bfe_u32 v0, v17, 16, 1
	s_addc_u32 s30, s30, s23
	v_add3_u32 v3, v17, v0, s21
	v_add_co_u32_e32 v0, vcc, s27, v8
	s_add_u32 s27, s27, s22
	v_mov_b32_e32 v1, s28
	s_addc_u32 s28, s28, s23
	s_add_u32 s8, s8, s22
	v_addc_co_u32_e32 v1, vcc, 0, v1, vcc
	s_addc_u32 s9, s9, s23
	v_and_b32_e32 v3, 0xffff0000, v3
	v_cmp_o_f32_e32 vcc, v17, v17
	v_add_u32_e32 v16, s20, v16
	s_add_u32 s10, s10, s22
	v_cndmask_b32_e32 v4, v15, v3, vcc
	v_or_b32_sdwa v6, v12, v6 dst_sel:DWORD dst_unused:UNUSED_PAD src0_sel:DWORD src1_sel:WORD_0
	s_addc_u32 s11, s11, s23
	v_cmp_le_i32_e32 vcc, s26, v16
	v_lshl_or_b32 v3, v5, 16, v18
	v_or_b32_e32 v4, v6, v4
	s_or_b64 s[16:17], vcc, s[16:17]
	global_store_dwordx2 v[0:1], v[3:4], off
	s_andn2_b64 exec, exec, s[16:17]
	s_cbranch_execz .LBB9_46
.LBB9_34:                               ; =>This Inner Loop Header: Depth=1
	v_mov_b32_e32 v1, s30
	v_add_co_u32_e32 v0, vcc, s29, v8
	v_addc_co_u32_e32 v1, vcc, 0, v1, vcc
	global_load_dwordx2 v[0:1], v[0:1], off
	s_mov_b64 s[2:3], -1
	s_and_b64 vcc, exec, s[18:19]
                                        ; implicit-def: $vgpr5_vgpr6
                                        ; implicit-def: $vgpr17
                                        ; implicit-def: $vgpr18
	s_waitcnt vmcnt(0)
	v_lshrrev_b64 v[3:4], 16, v[0:1]
	s_cbranch_vccz .LBB9_44
; %bb.35:                               ;   in Loop: Header=BB9_34 Depth=1
	s_and_b64 vcc, exec, s[24:25]
                                        ; implicit-def: $vgpr5_vgpr6
                                        ; implicit-def: $vgpr17
                                        ; implicit-def: $vgpr18
	s_cbranch_vccz .LBB9_41
; %bb.36:                               ;   in Loop: Header=BB9_34 Depth=1
	s_and_b64 vcc, exec, s[0:1]
                                        ; implicit-def: $vgpr5_vgpr6
                                        ; implicit-def: $vgpr17
                                        ; implicit-def: $vgpr18
	s_cbranch_vccnz .LBB9_38
; %bb.37:                               ;   in Loop: Header=BB9_34 Depth=1
	v_lshlrev_b32_e32 v4, 16, v0
	v_sub_f32_e32 v4, v4, v2
	v_mul_f32_e32 v4, v9, v4
	v_bfe_u32 v5, v4, 16, 1
	v_add3_u32 v5, v4, v5, s21
	v_cmp_o_f32_e32 vcc, v4, v4
	v_cndmask_b32_sdwa v18, v13, v5, vcc dst_sel:DWORD dst_unused:UNUSED_PAD src0_sel:DWORD src1_sel:WORD_1
	v_lshlrev_b32_e32 v5, 16, v1
	v_lshlrev_b32_e32 v4, 16, v3
	v_sub_f32_e32 v5, v5, v11
	v_sub_f32_e32 v4, v4, v2
	v_mul_f32_e32 v5, v10, v5
	v_mul_f32_e32 v4, v9, v4
	v_and_b32_sdwa v6, v5, v14 dst_sel:DWORD dst_unused:UNUSED_PAD src0_sel:WORD_1 src1_sel:DWORD
	v_and_b32_sdwa v17, v4, v14 dst_sel:DWORD dst_unused:UNUSED_PAD src0_sel:WORD_1 src1_sel:DWORD
	v_add3_u32 v6, v5, v6, s21
	v_cmp_o_f32_e32 vcc, v5, v5
	v_add3_u32 v17, v4, v17, s21
	v_cndmask_b32_sdwa v6, v13, v6, vcc dst_sel:DWORD dst_unused:UNUSED_PAD src0_sel:DWORD src1_sel:WORD_1
	v_cmp_o_f32_e32 vcc, v4, v4
	v_and_b32_e32 v4, 0xffff0000, v1
	v_sub_f32_e32 v4, v4, v2
	v_cndmask_b32_sdwa v5, v13, v17, vcc dst_sel:DWORD dst_unused:UNUSED_PAD src0_sel:DWORD src1_sel:WORD_1
	v_mul_f32_e32 v17, v9, v4
	s_mov_b64 s[2:3], 0
.LBB9_38:                               ;   in Loop: Header=BB9_34 Depth=1
	s_andn2_b64 vcc, exec, s[2:3]
	s_cbranch_vccnz .LBB9_40
; %bb.39:                               ;   in Loop: Header=BB9_34 Depth=1
	v_mov_b32_e32 v5, s11
	v_add_co_u32_e32 v4, vcc, s10, v8
	v_addc_co_u32_e32 v5, vcc, 0, v5, vcc
	global_load_dwordx2 v[4:5], v[4:5], off
	v_lshlrev_b32_e32 v6, 16, v0
	v_lshlrev_b32_e32 v19, 16, v1
	v_sub_f32_e32 v6, v6, v2
	v_sub_f32_e32 v19, v19, v11
	v_lshlrev_b32_e32 v18, 16, v3
	v_sub_f32_e32 v18, v18, v2
	s_waitcnt vmcnt(0)
	v_lshlrev_b32_e32 v20, 16, v4
	v_lshlrev_b32_e32 v21, 16, v5
	v_and_b32_e32 v17, 0xffff0000, v5
	v_and_b32_e32 v5, 0xffff0000, v1
	v_fmac_f32_e32 v20, v9, v6
	v_fmac_f32_e32 v21, v10, v19
	v_and_b32_e32 v4, 0xffff0000, v4
	v_sub_f32_e32 v22, v5, v2
	v_bfe_u32 v5, v20, 16, 1
	v_and_b32_sdwa v6, v21, v14 dst_sel:DWORD dst_unused:UNUSED_PAD src0_sel:WORD_1 src1_sel:DWORD
	v_fmac_f32_e32 v4, v9, v18
	v_cmp_o_f32_e32 vcc, v21, v21
	v_add3_u32 v5, v20, v5, s21
	v_add3_u32 v6, v21, v6, s21
	v_and_b32_sdwa v18, v4, v14 dst_sel:DWORD dst_unused:UNUSED_PAD src0_sel:WORD_1 src1_sel:DWORD
	v_cmp_o_f32_e64 s[2:3], v4, v4
	v_lshrrev_b32_e32 v5, 16, v5
	v_cndmask_b32_sdwa v6, v13, v6, vcc dst_sel:DWORD dst_unused:UNUSED_PAD src0_sel:DWORD src1_sel:WORD_1
	v_cmp_o_f32_e32 vcc, v20, v20
	v_add3_u32 v4, v4, v18, s21
	v_cndmask_b32_e32 v18, v13, v5, vcc
	s_mov_b64 vcc, s[2:3]
	v_cndmask_b32_sdwa v5, v13, v4, vcc dst_sel:DWORD dst_unused:UNUSED_PAD src0_sel:DWORD src1_sel:WORD_1
	v_fmac_f32_e32 v17, v9, v22
.LBB9_40:                               ;   in Loop: Header=BB9_34 Depth=1
	s_mov_b64 s[2:3], 0
.LBB9_41:                               ;   in Loop: Header=BB9_34 Depth=1
	s_andn2_b64 vcc, exec, s[2:3]
	s_cbranch_vccnz .LBB9_43
; %bb.42:                               ;   in Loop: Header=BB9_34 Depth=1
	v_mov_b32_e32 v5, s9
	v_add_co_u32_e32 v4, vcc, s8, v8
	v_addc_co_u32_e32 v5, vcc, 0, v5, vcc
	global_load_dwordx2 v[4:5], v[4:5], off
	v_lshlrev_b32_e32 v6, 16, v0
	v_lshlrev_b32_e32 v17, 16, v1
	;; [unrolled: 1-line block ×3, first 2 shown]
	v_sub_f32_e32 v6, v6, v2
	v_sub_f32_e32 v17, v17, v11
	;; [unrolled: 1-line block ×3, first 2 shown]
	v_mul_f32_e32 v6, v9, v6
	v_mul_f32_e32 v17, v10, v17
	;; [unrolled: 1-line block ×3, first 2 shown]
	s_waitcnt vmcnt(0)
	v_lshlrev_b32_e32 v20, 16, v5
	v_and_b32_e32 v21, 0xffff0000, v5
	v_and_b32_e32 v5, 0xffff0000, v1
	v_lshlrev_b32_e32 v19, 16, v4
	v_sub_f32_e32 v5, v5, v2
	v_and_b32_e32 v4, 0xffff0000, v4
	v_mul_f32_e32 v22, v9, v5
	v_mul_f32_e32 v5, v6, v19
	;; [unrolled: 1-line block ×4, first 2 shown]
	v_bfe_u32 v17, v5, 16, 1
	v_and_b32_sdwa v18, v6, v14 dst_sel:DWORD dst_unused:UNUSED_PAD src0_sel:WORD_1 src1_sel:DWORD
	v_cmp_o_f32_e32 vcc, v6, v6
	v_add3_u32 v17, v5, v17, s21
	v_add3_u32 v6, v6, v18, s21
	v_and_b32_sdwa v19, v4, v14 dst_sel:DWORD dst_unused:UNUSED_PAD src0_sel:WORD_1 src1_sel:DWORD
	v_cmp_o_f32_e64 s[2:3], v4, v4
	v_lshrrev_b32_e32 v17, 16, v17
	v_cndmask_b32_sdwa v6, v13, v6, vcc dst_sel:DWORD dst_unused:UNUSED_PAD src0_sel:DWORD src1_sel:WORD_1
	v_cmp_o_f32_e32 vcc, v5, v5
	v_add3_u32 v4, v4, v19, s21
	v_cndmask_b32_e32 v18, v13, v17, vcc
	s_mov_b64 vcc, s[2:3]
	v_cndmask_b32_sdwa v5, v13, v4, vcc dst_sel:DWORD dst_unused:UNUSED_PAD src0_sel:DWORD src1_sel:WORD_1
	v_mul_f32_e32 v17, v22, v21
.LBB9_43:                               ;   in Loop: Header=BB9_34 Depth=1
	s_mov_b64 s[2:3], 0
.LBB9_44:                               ;   in Loop: Header=BB9_34 Depth=1
	s_andn2_b64 vcc, exec, s[2:3]
	s_cbranch_vccnz .LBB9_33
; %bb.45:                               ;   in Loop: Header=BB9_34 Depth=1
	v_mov_b32_e32 v5, s9
	v_add_co_u32_e32 v4, vcc, s8, v8
	v_addc_co_u32_e32 v5, vcc, 0, v5, vcc
	v_mov_b32_e32 v6, s11
	v_add_co_u32_e32 v17, vcc, s10, v8
	v_addc_co_u32_e32 v18, vcc, 0, v6, vcc
	global_load_dwordx2 v[19:20], v[4:5], off
	global_load_dwordx2 v[21:22], v[17:18], off
	v_lshlrev_b32_e32 v0, 16, v0
	v_lshlrev_b32_e32 v4, 16, v1
	;; [unrolled: 1-line block ×3, first 2 shown]
	v_sub_f32_e32 v0, v0, v2
	v_sub_f32_e32 v4, v4, v11
	;; [unrolled: 1-line block ×3, first 2 shown]
	v_mul_f32_e32 v0, v9, v0
	v_mul_f32_e32 v4, v10, v4
	;; [unrolled: 1-line block ×3, first 2 shown]
	v_and_b32_e32 v1, 0xffff0000, v1
	v_sub_f32_e32 v1, v1, v2
	v_mul_f32_e32 v1, v9, v1
	s_waitcnt vmcnt(1)
	v_lshlrev_b32_e32 v5, 16, v19
	s_waitcnt vmcnt(0)
	v_lshlrev_b32_e32 v18, 16, v21
	v_lshlrev_b32_e32 v6, 16, v20
	v_lshlrev_b32_e32 v23, 16, v22
	v_and_b32_e32 v19, 0xffff0000, v19
	v_and_b32_e32 v21, 0xffff0000, v21
	v_fmac_f32_e32 v18, v0, v5
	v_fmac_f32_e32 v23, v4, v6
	;; [unrolled: 1-line block ×3, first 2 shown]
	v_bfe_u32 v0, v18, 16, 1
	v_and_b32_sdwa v3, v23, v14 dst_sel:DWORD dst_unused:UNUSED_PAD src0_sel:WORD_1 src1_sel:DWORD
	v_cmp_o_f32_e32 vcc, v23, v23
	v_add3_u32 v0, v18, v0, s21
	v_add3_u32 v3, v23, v3, s21
	v_and_b32_sdwa v4, v21, v14 dst_sel:DWORD dst_unused:UNUSED_PAD src0_sel:WORD_1 src1_sel:DWORD
	v_cmp_o_f32_e64 s[2:3], v21, v21
	v_lshrrev_b32_e32 v0, 16, v0
	v_cndmask_b32_sdwa v6, v13, v3, vcc dst_sel:DWORD dst_unused:UNUSED_PAD src0_sel:DWORD src1_sel:WORD_1
	v_cmp_o_f32_e32 vcc, v18, v18
	v_and_b32_e32 v20, 0xffff0000, v20
	v_and_b32_e32 v17, 0xffff0000, v22
	v_add3_u32 v4, v21, v4, s21
	v_cndmask_b32_e32 v18, v13, v0, vcc
	s_mov_b64 vcc, s[2:3]
	v_cndmask_b32_sdwa v5, v13, v4, vcc dst_sel:DWORD dst_unused:UNUSED_PAD src0_sel:DWORD src1_sel:WORD_1
	v_fmac_f32_e32 v17, v1, v20
	s_branch .LBB9_33
.LBB9_46:
	s_or_b64 exec, exec, s[4:5]
	v_cmp_eq_u32_e32 vcc, 0, v7
	s_and_saveexec_b64 s[0:1], vcc
	s_cbranch_execz .LBB9_48
; %bb.47:
	s_lshl_b64 s[0:1], s[6:7], 2
	s_waitcnt lgkmcnt(0)
	s_add_u32 s2, s12, s0
	s_addc_u32 s3, s13, s1
	v_mov_b32_e32 v0, 0
	s_add_u32 s0, s14, s0
	s_addc_u32 s1, s15, s1
	global_store_dword v0, v2, s[2:3]
	global_store_dword v0, v9, s[0:1]
.LBB9_48:
	s_endpgm
	.section	.rodata,"a",@progbits
	.p2align	6, 0x0
	.amdhsa_kernel _ZN2at6native12_GLOBAL__N_128vectorized_layer_norm_kernelIN3c108BFloat16EfLb0EEEviT0_PKT_S8_S8_PS5_S9_PS6_
		.amdhsa_group_segment_fixed_size 0
		.amdhsa_private_segment_fixed_size 0
		.amdhsa_kernarg_size 312
		.amdhsa_user_sgpr_count 6
		.amdhsa_user_sgpr_private_segment_buffer 1
		.amdhsa_user_sgpr_dispatch_ptr 0
		.amdhsa_user_sgpr_queue_ptr 0
		.amdhsa_user_sgpr_kernarg_segment_ptr 1
		.amdhsa_user_sgpr_dispatch_id 0
		.amdhsa_user_sgpr_flat_scratch_init 0
		.amdhsa_user_sgpr_private_segment_size 0
		.amdhsa_uses_dynamic_stack 0
		.amdhsa_system_sgpr_private_segment_wavefront_offset 0
		.amdhsa_system_sgpr_workgroup_id_x 1
		.amdhsa_system_sgpr_workgroup_id_y 0
		.amdhsa_system_sgpr_workgroup_id_z 0
		.amdhsa_system_sgpr_workgroup_info 0
		.amdhsa_system_vgpr_workitem_id 1
		.amdhsa_next_free_vgpr 24
		.amdhsa_next_free_sgpr 31
		.amdhsa_reserve_vcc 1
		.amdhsa_reserve_flat_scratch 0
		.amdhsa_float_round_mode_32 0
		.amdhsa_float_round_mode_16_64 0
		.amdhsa_float_denorm_mode_32 3
		.amdhsa_float_denorm_mode_16_64 3
		.amdhsa_dx10_clamp 1
		.amdhsa_ieee_mode 1
		.amdhsa_fp16_overflow 0
		.amdhsa_exception_fp_ieee_invalid_op 0
		.amdhsa_exception_fp_denorm_src 0
		.amdhsa_exception_fp_ieee_div_zero 0
		.amdhsa_exception_fp_ieee_overflow 0
		.amdhsa_exception_fp_ieee_underflow 0
		.amdhsa_exception_fp_ieee_inexact 0
		.amdhsa_exception_int_div_zero 0
	.end_amdhsa_kernel
	.section	.text._ZN2at6native12_GLOBAL__N_128vectorized_layer_norm_kernelIN3c108BFloat16EfLb0EEEviT0_PKT_S8_S8_PS5_S9_PS6_,"axG",@progbits,_ZN2at6native12_GLOBAL__N_128vectorized_layer_norm_kernelIN3c108BFloat16EfLb0EEEviT0_PKT_S8_S8_PS5_S9_PS6_,comdat
.Lfunc_end9:
	.size	_ZN2at6native12_GLOBAL__N_128vectorized_layer_norm_kernelIN3c108BFloat16EfLb0EEEviT0_PKT_S8_S8_PS5_S9_PS6_, .Lfunc_end9-_ZN2at6native12_GLOBAL__N_128vectorized_layer_norm_kernelIN3c108BFloat16EfLb0EEEviT0_PKT_S8_S8_PS5_S9_PS6_
                                        ; -- End function
	.set _ZN2at6native12_GLOBAL__N_128vectorized_layer_norm_kernelIN3c108BFloat16EfLb0EEEviT0_PKT_S8_S8_PS5_S9_PS6_.num_vgpr, 24
	.set _ZN2at6native12_GLOBAL__N_128vectorized_layer_norm_kernelIN3c108BFloat16EfLb0EEEviT0_PKT_S8_S8_PS5_S9_PS6_.num_agpr, 0
	.set _ZN2at6native12_GLOBAL__N_128vectorized_layer_norm_kernelIN3c108BFloat16EfLb0EEEviT0_PKT_S8_S8_PS5_S9_PS6_.numbered_sgpr, 31
	.set _ZN2at6native12_GLOBAL__N_128vectorized_layer_norm_kernelIN3c108BFloat16EfLb0EEEviT0_PKT_S8_S8_PS5_S9_PS6_.num_named_barrier, 0
	.set _ZN2at6native12_GLOBAL__N_128vectorized_layer_norm_kernelIN3c108BFloat16EfLb0EEEviT0_PKT_S8_S8_PS5_S9_PS6_.private_seg_size, 0
	.set _ZN2at6native12_GLOBAL__N_128vectorized_layer_norm_kernelIN3c108BFloat16EfLb0EEEviT0_PKT_S8_S8_PS5_S9_PS6_.uses_vcc, 1
	.set _ZN2at6native12_GLOBAL__N_128vectorized_layer_norm_kernelIN3c108BFloat16EfLb0EEEviT0_PKT_S8_S8_PS5_S9_PS6_.uses_flat_scratch, 0
	.set _ZN2at6native12_GLOBAL__N_128vectorized_layer_norm_kernelIN3c108BFloat16EfLb0EEEviT0_PKT_S8_S8_PS5_S9_PS6_.has_dyn_sized_stack, 0
	.set _ZN2at6native12_GLOBAL__N_128vectorized_layer_norm_kernelIN3c108BFloat16EfLb0EEEviT0_PKT_S8_S8_PS5_S9_PS6_.has_recursion, 0
	.set _ZN2at6native12_GLOBAL__N_128vectorized_layer_norm_kernelIN3c108BFloat16EfLb0EEEviT0_PKT_S8_S8_PS5_S9_PS6_.has_indirect_call, 0
	.section	.AMDGPU.csdata,"",@progbits
; Kernel info:
; codeLenInByte = 3664
; TotalNumSgprs: 35
; NumVgprs: 24
; ScratchSize: 0
; MemoryBound: 0
; FloatMode: 240
; IeeeMode: 1
; LDSByteSize: 0 bytes/workgroup (compile time only)
; SGPRBlocks: 4
; VGPRBlocks: 5
; NumSGPRsForWavesPerEU: 35
; NumVGPRsForWavesPerEU: 24
; Occupancy: 10
; WaveLimiterHint : 0
; COMPUTE_PGM_RSRC2:SCRATCH_EN: 0
; COMPUTE_PGM_RSRC2:USER_SGPR: 6
; COMPUTE_PGM_RSRC2:TRAP_HANDLER: 0
; COMPUTE_PGM_RSRC2:TGID_X_EN: 1
; COMPUTE_PGM_RSRC2:TGID_Y_EN: 0
; COMPUTE_PGM_RSRC2:TGID_Z_EN: 0
; COMPUTE_PGM_RSRC2:TIDIG_COMP_CNT: 1
	.section	.text._ZN2at6native12_GLOBAL__N_124RowwiseMomentsCUDAKernelIN3c108BFloat16EfLb0EEEvlT0_PKT_PS5_S9_,"axG",@progbits,_ZN2at6native12_GLOBAL__N_124RowwiseMomentsCUDAKernelIN3c108BFloat16EfLb0EEEvlT0_PKT_PS5_S9_,comdat
	.globl	_ZN2at6native12_GLOBAL__N_124RowwiseMomentsCUDAKernelIN3c108BFloat16EfLb0EEEvlT0_PKT_PS5_S9_ ; -- Begin function _ZN2at6native12_GLOBAL__N_124RowwiseMomentsCUDAKernelIN3c108BFloat16EfLb0EEEvlT0_PKT_PS5_S9_
	.p2align	8
	.type	_ZN2at6native12_GLOBAL__N_124RowwiseMomentsCUDAKernelIN3c108BFloat16EfLb0EEEvlT0_PKT_PS5_S9_,@function
_ZN2at6native12_GLOBAL__N_124RowwiseMomentsCUDAKernelIN3c108BFloat16EfLb0EEEvlT0_PKT_PS5_S9_: ; @_ZN2at6native12_GLOBAL__N_124RowwiseMomentsCUDAKernelIN3c108BFloat16EfLb0EEEvlT0_PKT_PS5_S9_
; %bb.0:
	s_load_dwordx2 s[10:11], s[4:5], 0x0
	s_load_dwordx4 s[0:3], s[4:5], 0x10
	s_load_dwordx2 s[8:9], s[4:5], 0x20
	v_mov_b32_e32 v1, 0
	v_mov_b32_e32 v2, 0
	s_waitcnt lgkmcnt(0)
	v_cmp_gt_i64_e32 vcc, s[10:11], v[0:1]
	s_mov_b32 s7, 0
	v_mov_b32_e32 v3, 0
	v_mov_b32_e32 v8, v1
	;; [unrolled: 1-line block ×3, first 2 shown]
	s_and_saveexec_b64 s[12:13], vcc
	s_cbranch_execz .LBB10_4
; %bb.1:
	s_load_dword s16, s[4:5], 0x34
	s_mul_i32 s15, s11, s6
	s_mul_hi_u32 s17, s10, s6
	s_mul_i32 s14, s10, s6
	s_add_i32 s15, s17, s15
	s_waitcnt lgkmcnt(0)
	s_and_b32 s16, s16, 0xffff
	s_lshl_b64 s[14:15], s[14:15], 1
	s_add_u32 s0, s0, s14
	v_lshlrev_b32_e32 v2, 1, v0
	s_addc_u32 s1, s1, s15
	v_mov_b32_e32 v3, s1
	v_add_co_u32_e32 v4, vcc, s0, v2
	v_mov_b32_e32 v7, v1
	v_mov_b32_e32 v8, 0
	v_addc_co_u32_e32 v5, vcc, 0, v3, vcc
	s_lshl_b32 s17, s16, 1
	s_mov_b64 s[0:1], 0
	v_mov_b32_e32 v6, v0
	s_mov_b64 s[14:15], 0
	v_mov_b32_e32 v9, 0
.LBB10_2:                               ; =>This Inner Loop Header: Depth=1
	global_load_ushort v2, v[4:5], off
	s_add_u32 s14, s14, 1
	s_addc_u32 s15, s15, 0
	s_flbit_i32_b32 s18, s15
	s_min_u32 s20, s18, 32
	s_lshl_b64 s[18:19], s[14:15], s20
	s_min_u32 s18, s18, 1
	s_or_b32 s18, s19, s18
	v_cvt_f32_u32_e32 v1, s18
	s_sub_i32 s20, 32, s20
	v_ldexp_f32 v1, v1, s20
	s_waitcnt vmcnt(0)
	v_lshlrev_b32_e32 v10, 16, v2
	v_sub_f32_e32 v11, v10, v9
	v_div_scale_f32 v2, s[18:19], v1, v1, v11
	v_div_scale_f32 v3, vcc, v11, v1, v11
	v_rcp_f32_e32 v12, v2
	v_fma_f32 v13, -v2, v12, 1.0
	v_fmac_f32_e32 v12, v13, v12
	v_mul_f32_e32 v13, v3, v12
	v_fma_f32 v14, -v2, v13, v3
	v_fmac_f32_e32 v13, v14, v12
	v_fma_f32 v2, -v2, v13, v3
	v_div_fmas_f32 v12, v2, v12, v13
	v_add_co_u32_e32 v6, vcc, s16, v6
	v_addc_co_u32_e32 v7, vcc, 0, v7, vcc
	v_add_co_u32_e32 v4, vcc, s17, v4
	v_addc_co_u32_e32 v5, vcc, 0, v5, vcc
	v_cmp_le_i64_e32 vcc, s[10:11], v[6:7]
	v_mov_b32_e32 v2, s14
	v_mov_b32_e32 v3, s15
	s_or_b64 s[0:1], vcc, s[0:1]
	v_div_fixup_f32 v12, v12, v1, v11
	v_add_f32_e32 v9, v9, v12
	v_sub_f32_e32 v10, v10, v9
	v_fmac_f32_e32 v8, v11, v10
	s_andn2_b64 exec, exec, s[0:1]
	s_cbranch_execnz .LBB10_2
; %bb.3:
	s_or_b64 exec, exec, s[0:1]
.LBB10_4:
	s_or_b64 exec, exec, s[12:13]
	v_mbcnt_lo_u32_b32 v4, -1, 0
	v_mbcnt_hi_u32_b32 v6, -1, v4
	v_mov_b32_e32 v4, 0x80
	v_lshl_or_b32 v7, v6, 2, v4
	ds_bpermute_b32 v13, v7, v9
	ds_bpermute_b32 v10, v7, v8
	;; [unrolled: 1-line block ×5, first 2 shown]
	v_cmp_neq_f32_e32 vcc, 0, v1
	s_and_saveexec_b64 s[0:1], vcc
	s_cbranch_execz .LBB10_8
; %bb.5:
	s_waitcnt lgkmcnt(0)
	v_cmp_neq_f32_e32 vcc, 0, v14
	s_and_saveexec_b64 s[10:11], vcc
	s_cbranch_execz .LBB10_7
; %bb.6:
	v_add_f32_e32 v4, v1, v14
	v_div_scale_f32 v2, s[12:13], v4, v4, v14
	v_div_scale_f32 v3, vcc, v14, v4, v14
	v_add_f32_e32 v8, v8, v10
	v_rcp_f32_e32 v5, v2
	v_fma_f32 v11, -v2, v5, 1.0
	v_fmac_f32_e32 v5, v11, v5
	v_mul_f32_e32 v11, v3, v5
	v_fma_f32 v12, -v2, v11, v3
	v_fmac_f32_e32 v11, v12, v5
	v_fma_f32 v2, -v2, v11, v3
	v_div_fmas_f32 v5, v2, v5, v11
	v_sub_f32_e32 v11, v13, v9
	v_mul_f32_e32 v10, v11, v11
	v_mov_b32_e32 v2, -1
	v_mul_f32_e32 v1, v1, v10
	v_mov_b32_e32 v3, -1
	v_div_fixup_f32 v5, v5, v4, v14
	v_fmac_f32_e32 v9, v11, v5
	v_fmac_f32_e32 v8, v1, v5
	v_mov_b32_e32 v1, v4
.LBB10_7:
	s_or_b64 exec, exec, s[10:11]
	v_mov_b32_e32 v5, v3
	v_mov_b32_e32 v14, v1
	;; [unrolled: 1-line block ×5, first 2 shown]
.LBB10_8:
	s_or_b64 exec, exec, s[0:1]
	v_and_b32_e32 v12, 63, v6
	v_cmp_gt_u32_e32 vcc, 48, v12
	v_cndmask_b32_e64 v1, 0, 16, vcc
	v_add_lshl_u32 v8, v1, v6, 2
	s_waitcnt lgkmcnt(4)
	ds_bpermute_b32 v15, v8, v13
	s_waitcnt lgkmcnt(4)
	ds_bpermute_b32 v11, v8, v10
	s_waitcnt lgkmcnt(4)
	ds_bpermute_b32 v1, v8, v4
	s_waitcnt lgkmcnt(4)
	ds_bpermute_b32 v2, v8, v5
	s_waitcnt lgkmcnt(4)
	ds_bpermute_b32 v16, v8, v14
	v_cmp_neq_f32_e32 vcc, 0, v14
	s_and_saveexec_b64 s[0:1], vcc
	s_cbranch_execz .LBB10_12
; %bb.9:
	s_waitcnt lgkmcnt(0)
	v_cmp_neq_f32_e32 vcc, 0, v16
	s_and_saveexec_b64 s[10:11], vcc
	s_cbranch_execz .LBB10_11
; %bb.10:
	v_add_f32_e32 v1, v14, v16
	v_div_scale_f32 v2, s[12:13], v1, v1, v16
	v_div_scale_f32 v3, vcc, v16, v1, v16
	v_add_f32_e32 v10, v10, v11
	v_rcp_f32_e32 v4, v2
	v_fma_f32 v5, -v2, v4, 1.0
	v_fmac_f32_e32 v4, v5, v4
	v_mul_f32_e32 v5, v3, v4
	v_fma_f32 v9, -v2, v5, v3
	v_fmac_f32_e32 v5, v9, v4
	v_fma_f32 v2, -v2, v5, v3
	v_div_fmas_f32 v2, v2, v4, v5
	v_sub_f32_e32 v3, v15, v13
	v_mul_f32_e32 v9, v3, v3
	v_mov_b32_e32 v4, -1
	v_mul_f32_e32 v9, v14, v9
	v_mov_b32_e32 v5, -1
	v_mov_b32_e32 v14, v1
	v_div_fixup_f32 v2, v2, v1, v16
	v_fmac_f32_e32 v13, v3, v2
	v_fmac_f32_e32 v10, v9, v2
.LBB10_11:
	s_or_b64 exec, exec, s[10:11]
	v_mov_b32_e32 v1, v4
	v_mov_b32_e32 v16, v14
	v_mov_b32_e32 v2, v5
	v_mov_b32_e32 v11, v10
	v_mov_b32_e32 v15, v13
.LBB10_12:
	s_or_b64 exec, exec, s[0:1]
	v_cmp_gt_u32_e32 vcc, 56, v12
	v_cndmask_b32_e64 v3, 0, 8, vcc
	v_add_lshl_u32 v9, v3, v6, 2
	s_waitcnt lgkmcnt(4)
	ds_bpermute_b32 v14, v9, v15
	s_waitcnt lgkmcnt(4)
	ds_bpermute_b32 v5, v9, v11
	s_waitcnt lgkmcnt(4)
	ds_bpermute_b32 v3, v9, v1
	s_waitcnt lgkmcnt(4)
	ds_bpermute_b32 v4, v9, v2
	s_waitcnt lgkmcnt(4)
	ds_bpermute_b32 v17, v9, v16
	v_cmp_neq_f32_e32 vcc, 0, v16
	s_and_saveexec_b64 s[0:1], vcc
	s_cbranch_execz .LBB10_16
; %bb.13:
	s_waitcnt lgkmcnt(0)
	v_cmp_neq_f32_e32 vcc, 0, v17
	s_and_saveexec_b64 s[10:11], vcc
	s_cbranch_execz .LBB10_15
; %bb.14:
	v_add_f32_e32 v3, v16, v17
	v_div_scale_f32 v1, s[12:13], v3, v3, v17
	v_div_scale_f32 v2, vcc, v17, v3, v17
	v_add_f32_e32 v11, v11, v5
	v_rcp_f32_e32 v4, v1
	v_fma_f32 v10, -v1, v4, 1.0
	v_fmac_f32_e32 v4, v10, v4
	v_mul_f32_e32 v10, v2, v4
	v_fma_f32 v13, -v1, v10, v2
	v_fmac_f32_e32 v10, v13, v4
	v_fma_f32 v1, -v1, v10, v2
	v_div_fmas_f32 v4, v1, v4, v10
	v_sub_f32_e32 v10, v14, v15
	v_mul_f32_e32 v5, v10, v10
	v_mov_b32_e32 v1, -1
	v_mul_f32_e32 v5, v16, v5
	v_mov_b32_e32 v2, -1
	v_mov_b32_e32 v16, v3
	v_div_fixup_f32 v4, v4, v3, v17
	v_fmac_f32_e32 v15, v10, v4
	v_fmac_f32_e32 v11, v5, v4
.LBB10_15:
	s_or_b64 exec, exec, s[10:11]
	v_mov_b32_e32 v4, v2
	v_mov_b32_e32 v17, v16
	v_mov_b32_e32 v3, v1
	v_mov_b32_e32 v5, v11
	v_mov_b32_e32 v14, v15
.LBB10_16:
	s_or_b64 exec, exec, s[0:1]
	;; [unrolled: 52-line block ×4, first 2 shown]
	v_cmp_ne_u32_e32 vcc, 63, v12
	v_addc_co_u32_e32 v1, vcc, 0, v6, vcc
	v_lshlrev_b32_e32 v12, 2, v1
	s_waitcnt lgkmcnt(4)
	ds_bpermute_b32 v1, v12, v16
	s_waitcnt lgkmcnt(4)
	ds_bpermute_b32 v2, v12, v14
	;; [unrolled: 2-line block ×5, first 2 shown]
	v_cmp_neq_f32_e32 vcc, 0, v17
	s_and_saveexec_b64 s[0:1], vcc
	s_cbranch_execz .LBB10_28
; %bb.25:
	s_waitcnt lgkmcnt(0)
	v_cmp_neq_f32_e32 vcc, 0, v13
	s_and_saveexec_b64 s[10:11], vcc
	s_cbranch_execz .LBB10_27
; %bb.26:
	v_add_f32_e32 v5, v17, v13
	v_div_scale_f32 v3, s[12:13], v5, v5, v13
	v_div_scale_f32 v4, vcc, v13, v5, v13
	v_sub_f32_e32 v1, v1, v16
	v_add_f32_e32 v14, v14, v2
	v_mul_f32_e32 v2, v1, v1
	v_mul_f32_e32 v2, v17, v2
	v_mov_b32_e32 v17, v5
	v_rcp_f32_e32 v6, v3
	v_fma_f32 v15, -v3, v6, 1.0
	v_fmac_f32_e32 v6, v15, v6
	v_mul_f32_e32 v15, v4, v6
	v_fma_f32 v18, -v3, v15, v4
	v_fmac_f32_e32 v15, v18, v6
	v_fma_f32 v3, -v3, v15, v4
	v_div_fmas_f32 v6, v3, v6, v15
	v_mov_b32_e32 v3, -1
	v_mov_b32_e32 v4, -1
	v_div_fixup_f32 v6, v6, v5, v13
	v_fmac_f32_e32 v16, v1, v6
	v_fmac_f32_e32 v14, v2, v6
.LBB10_27:
	s_or_b64 exec, exec, s[10:11]
	v_mov_b32_e32 v6, v4
	v_mov_b32_e32 v13, v17
	;; [unrolled: 1-line block ×5, first 2 shown]
.LBB10_28:
	s_or_b64 exec, exec, s[0:1]
	v_and_b32_e32 v3, 63, v0
	v_cmp_eq_u32_e32 vcc, 0, v3
	s_waitcnt lgkmcnt(0)
	s_barrier
	s_and_saveexec_b64 s[0:1], vcc
	s_cbranch_execz .LBB10_30
; %bb.29:
	v_lshrrev_b32_e32 v4, 6, v0
	v_mul_u32_u24_e32 v4, 24, v4
	ds_write2_b64 v4, v[1:2], v[5:6] offset1:1
	ds_write_b32 v4, v13 offset:16
.LBB10_30:
	s_or_b64 exec, exec, s[0:1]
	s_waitcnt lgkmcnt(0)
	s_barrier
	s_load_dword s0, s[4:5], 0x34
	v_mul_u32_u24_e32 v4, 24, v3
	v_mov_b32_e32 v2, 0
	v_mov_b32_e32 v1, 0
	s_waitcnt lgkmcnt(0)
	s_bfe_u32 s0, s0, 0xa0006
	v_cmp_gt_u32_e32 vcc, s0, v0
	s_and_saveexec_b64 s[0:1], vcc
	s_cbranch_execnz .LBB10_36
; %bb.31:
	s_or_b64 exec, exec, s[0:1]
	s_and_saveexec_b64 s[0:1], vcc
	s_cbranch_execnz .LBB10_37
.LBB10_32:
	s_or_b64 exec, exec, s[0:1]
	v_mov_b32_e32 v3, 0
	s_and_saveexec_b64 s[0:1], vcc
	s_cbranch_execnz .LBB10_38
.LBB10_33:
	s_or_b64 exec, exec, s[0:1]
	v_cmp_gt_u32_e32 vcc, 64, v0
	s_and_saveexec_b64 s[0:1], vcc
	s_cbranch_execnz .LBB10_39
.LBB10_34:
	s_or_b64 exec, exec, s[0:1]
	v_cmp_eq_u32_e32 vcc, 0, v0
	s_and_saveexec_b64 s[0:1], vcc
	s_cbranch_execnz .LBB10_64
.LBB10_35:
	s_endpgm
.LBB10_36:
	ds_read_b32 v1, v4
	s_or_b64 exec, exec, s[0:1]
	s_and_saveexec_b64 s[0:1], vcc
	s_cbranch_execz .LBB10_32
.LBB10_37:
	ds_read_b32 v2, v4 offset:4
	s_or_b64 exec, exec, s[0:1]
	v_mov_b32_e32 v3, 0
	s_and_saveexec_b64 s[0:1], vcc
	s_cbranch_execz .LBB10_33
.LBB10_38:
	ds_read_b32 v3, v4 offset:16
	s_or_b64 exec, exec, s[0:1]
	v_cmp_gt_u32_e32 vcc, 64, v0
	s_and_saveexec_b64 s[0:1], vcc
	s_cbranch_execz .LBB10_34
.LBB10_39:
	s_waitcnt lgkmcnt(0)
	ds_bpermute_b32 v5, v7, v1
	ds_bpermute_b32 v4, v7, v2
	;; [unrolled: 1-line block ×3, first 2 shown]
	v_cmp_neq_f32_e32 vcc, 0, v3
	s_and_saveexec_b64 s[10:11], vcc
	s_cbranch_execz .LBB10_43
; %bb.40:
	s_waitcnt lgkmcnt(0)
	v_cmp_neq_f32_e32 vcc, 0, v6
	s_and_saveexec_b64 s[12:13], vcc
	s_cbranch_execz .LBB10_42
; %bb.41:
	v_add_f32_e32 v7, v3, v6
	v_div_scale_f32 v13, s[14:15], v7, v7, v6
	v_div_scale_f32 v14, vcc, v6, v7, v6
	v_sub_f32_e32 v5, v5, v1
	v_add_f32_e32 v2, v2, v4
	v_mul_f32_e32 v4, v5, v5
	v_mul_f32_e32 v3, v3, v4
	v_rcp_f32_e32 v15, v13
	v_fma_f32 v16, -v13, v15, 1.0
	v_fmac_f32_e32 v15, v16, v15
	v_mul_f32_e32 v16, v14, v15
	v_fma_f32 v17, -v13, v16, v14
	v_fmac_f32_e32 v16, v17, v15
	v_fma_f32 v13, -v13, v16, v14
	v_div_fmas_f32 v13, v13, v15, v16
	v_div_fixup_f32 v4, v13, v7, v6
	v_fmac_f32_e32 v1, v5, v4
	v_fmac_f32_e32 v2, v3, v4
	v_mov_b32_e32 v3, v7
.LBB10_42:
	s_or_b64 exec, exec, s[12:13]
	v_mov_b32_e32 v6, v3
	v_mov_b32_e32 v4, v2
	;; [unrolled: 1-line block ×3, first 2 shown]
.LBB10_43:
	s_or_b64 exec, exec, s[10:11]
	s_waitcnt lgkmcnt(2)
	ds_bpermute_b32 v3, v8, v5
	s_waitcnt lgkmcnt(2)
	ds_bpermute_b32 v1, v8, v4
	s_waitcnt lgkmcnt(2)
	ds_bpermute_b32 v7, v8, v6
	v_cmp_neq_f32_e32 vcc, 0, v6
	s_and_saveexec_b64 s[10:11], vcc
	s_cbranch_execz .LBB10_47
; %bb.44:
	s_waitcnt lgkmcnt(0)
	v_cmp_neq_f32_e32 vcc, 0, v7
	s_and_saveexec_b64 s[12:13], vcc
	s_cbranch_execz .LBB10_46
; %bb.45:
	v_add_f32_e32 v2, v6, v7
	v_div_scale_f32 v8, s[14:15], v2, v2, v7
	v_div_scale_f32 v13, vcc, v7, v2, v7
	v_sub_f32_e32 v3, v3, v5
	v_add_f32_e32 v4, v4, v1
	v_mul_f32_e32 v1, v3, v3
	v_mul_f32_e32 v1, v6, v1
	v_rcp_f32_e32 v14, v8
	v_fma_f32 v15, -v8, v14, 1.0
	v_fmac_f32_e32 v14, v15, v14
	v_mul_f32_e32 v15, v13, v14
	v_fma_f32 v16, -v8, v15, v13
	v_fmac_f32_e32 v15, v16, v14
	v_fma_f32 v8, -v8, v15, v13
	v_div_fmas_f32 v8, v8, v14, v15
	v_div_fixup_f32 v6, v8, v2, v7
	v_fmac_f32_e32 v5, v3, v6
	v_fmac_f32_e32 v4, v1, v6
	v_mov_b32_e32 v6, v2
.LBB10_46:
	s_or_b64 exec, exec, s[12:13]
	v_mov_b32_e32 v7, v6
	v_mov_b32_e32 v1, v4
	;; [unrolled: 1-line block ×3, first 2 shown]
.LBB10_47:
	s_or_b64 exec, exec, s[10:11]
	s_waitcnt lgkmcnt(2)
	ds_bpermute_b32 v4, v9, v3
	s_waitcnt lgkmcnt(2)
	ds_bpermute_b32 v2, v9, v1
	;; [unrolled: 2-line block ×3, first 2 shown]
	v_cmp_neq_f32_e32 vcc, 0, v7
	s_and_saveexec_b64 s[10:11], vcc
	s_cbranch_execz .LBB10_51
; %bb.48:
	s_waitcnt lgkmcnt(0)
	v_cmp_neq_f32_e32 vcc, 0, v5
	s_and_saveexec_b64 s[12:13], vcc
	s_cbranch_execz .LBB10_50
; %bb.49:
	v_add_f32_e32 v6, v7, v5
	v_div_scale_f32 v8, s[14:15], v6, v6, v5
	v_div_scale_f32 v9, vcc, v5, v6, v5
	v_sub_f32_e32 v4, v4, v3
	v_add_f32_e32 v1, v1, v2
	v_mul_f32_e32 v2, v4, v4
	v_mul_f32_e32 v2, v7, v2
	v_mov_b32_e32 v7, v6
	v_rcp_f32_e32 v13, v8
	v_fma_f32 v14, -v8, v13, 1.0
	v_fmac_f32_e32 v13, v14, v13
	v_mul_f32_e32 v14, v9, v13
	v_fma_f32 v15, -v8, v14, v9
	v_fmac_f32_e32 v14, v15, v13
	v_fma_f32 v8, -v8, v14, v9
	v_div_fmas_f32 v8, v8, v13, v14
	v_div_fixup_f32 v5, v8, v6, v5
	v_fmac_f32_e32 v3, v4, v5
	v_fmac_f32_e32 v1, v2, v5
.LBB10_50:
	s_or_b64 exec, exec, s[12:13]
	v_mov_b32_e32 v5, v7
	v_mov_b32_e32 v2, v1
	;; [unrolled: 1-line block ×3, first 2 shown]
.LBB10_51:
	s_or_b64 exec, exec, s[10:11]
	s_waitcnt lgkmcnt(2)
	ds_bpermute_b32 v3, v10, v4
	s_waitcnt lgkmcnt(2)
	ds_bpermute_b32 v1, v10, v2
	;; [unrolled: 2-line block ×3, first 2 shown]
	v_cmp_neq_f32_e32 vcc, 0, v5
	s_and_saveexec_b64 s[10:11], vcc
	s_cbranch_execz .LBB10_55
; %bb.52:
	s_waitcnt lgkmcnt(0)
	v_cmp_neq_f32_e32 vcc, 0, v7
	s_and_saveexec_b64 s[12:13], vcc
	s_cbranch_execz .LBB10_54
; %bb.53:
	v_add_f32_e32 v6, v5, v7
	v_div_scale_f32 v8, s[14:15], v6, v6, v7
	v_div_scale_f32 v9, vcc, v7, v6, v7
	v_sub_f32_e32 v3, v3, v4
	v_add_f32_e32 v2, v2, v1
	v_mul_f32_e32 v1, v3, v3
	v_mul_f32_e32 v1, v5, v1
	v_rcp_f32_e32 v10, v8
	v_fma_f32 v13, -v8, v10, 1.0
	v_fmac_f32_e32 v10, v13, v10
	v_mul_f32_e32 v13, v9, v10
	v_fma_f32 v14, -v8, v13, v9
	v_fmac_f32_e32 v13, v14, v10
	v_fma_f32 v8, -v8, v13, v9
	v_div_fmas_f32 v8, v8, v10, v13
	v_div_fixup_f32 v5, v8, v6, v7
	v_fmac_f32_e32 v4, v3, v5
	v_fmac_f32_e32 v2, v1, v5
	v_mov_b32_e32 v5, v6
.LBB10_54:
	s_or_b64 exec, exec, s[12:13]
	v_mov_b32_e32 v7, v5
	v_mov_b32_e32 v1, v2
	;; [unrolled: 1-line block ×3, first 2 shown]
.LBB10_55:
	s_or_b64 exec, exec, s[10:11]
	s_waitcnt lgkmcnt(2)
	ds_bpermute_b32 v6, v11, v3
	s_waitcnt lgkmcnt(2)
	ds_bpermute_b32 v4, v11, v1
	;; [unrolled: 2-line block ×3, first 2 shown]
	v_cmp_neq_f32_e32 vcc, 0, v7
	s_and_saveexec_b64 s[10:11], vcc
	s_cbranch_execz .LBB10_59
; %bb.56:
	s_waitcnt lgkmcnt(0)
	v_cmp_neq_f32_e32 vcc, 0, v5
	s_and_saveexec_b64 s[12:13], vcc
	s_cbranch_execz .LBB10_58
; %bb.57:
	v_add_f32_e32 v2, v7, v5
	v_div_scale_f32 v8, s[14:15], v2, v2, v5
	v_div_scale_f32 v9, vcc, v5, v2, v5
	v_sub_f32_e32 v6, v6, v3
	v_add_f32_e32 v1, v1, v4
	v_mul_f32_e32 v4, v6, v6
	v_mul_f32_e32 v4, v7, v4
	v_mov_b32_e32 v7, v2
	v_rcp_f32_e32 v10, v8
	v_fma_f32 v11, -v8, v10, 1.0
	v_fmac_f32_e32 v10, v11, v10
	v_mul_f32_e32 v11, v9, v10
	v_fma_f32 v13, -v8, v11, v9
	v_fmac_f32_e32 v11, v13, v10
	v_fma_f32 v8, -v8, v11, v9
	v_div_fmas_f32 v8, v8, v10, v11
	v_div_fixup_f32 v5, v8, v2, v5
	v_fmac_f32_e32 v3, v6, v5
	v_fmac_f32_e32 v1, v4, v5
.LBB10_58:
	s_or_b64 exec, exec, s[12:13]
	v_mov_b32_e32 v5, v7
	v_mov_b32_e32 v4, v1
	;; [unrolled: 1-line block ×3, first 2 shown]
.LBB10_59:
	s_or_b64 exec, exec, s[10:11]
	s_waitcnt lgkmcnt(2)
	ds_bpermute_b32 v1, v12, v6
	s_waitcnt lgkmcnt(2)
	ds_bpermute_b32 v2, v12, v4
	;; [unrolled: 2-line block ×3, first 2 shown]
	v_cmp_neq_f32_e32 vcc, 0, v5
	s_and_saveexec_b64 s[10:11], vcc
	s_cbranch_execz .LBB10_63
; %bb.60:
	s_waitcnt lgkmcnt(0)
	v_cmp_neq_f32_e32 vcc, 0, v3
	s_and_saveexec_b64 s[12:13], vcc
	s_cbranch_execz .LBB10_62
; %bb.61:
	v_add_f32_e32 v7, v5, v3
	v_div_scale_f32 v8, s[14:15], v7, v7, v3
	v_div_scale_f32 v9, vcc, v3, v7, v3
	v_sub_f32_e32 v1, v1, v6
	v_add_f32_e32 v4, v4, v2
	v_mul_f32_e32 v2, v1, v1
	v_mul_f32_e32 v2, v5, v2
	v_mov_b32_e32 v5, v7
	v_rcp_f32_e32 v10, v8
	v_fma_f32 v11, -v8, v10, 1.0
	v_fmac_f32_e32 v10, v11, v10
	v_mul_f32_e32 v11, v9, v10
	v_fma_f32 v12, -v8, v11, v9
	v_fmac_f32_e32 v11, v12, v10
	v_fma_f32 v8, -v8, v11, v9
	v_div_fmas_f32 v8, v8, v10, v11
	v_div_fixup_f32 v3, v8, v7, v3
	v_fmac_f32_e32 v6, v1, v3
	v_fmac_f32_e32 v4, v2, v3
.LBB10_62:
	s_or_b64 exec, exec, s[12:13]
	v_mov_b32_e32 v3, v5
	v_mov_b32_e32 v2, v4
	v_mov_b32_e32 v1, v6
.LBB10_63:
	s_or_b64 exec, exec, s[10:11]
	s_or_b64 exec, exec, s[0:1]
	v_cmp_eq_u32_e32 vcc, 0, v0
	s_and_saveexec_b64 s[0:1], vcc
	s_cbranch_execz .LBB10_35
.LBB10_64:
	s_waitcnt lgkmcnt(0)
	v_max_f32_e32 v0, v3, v3
	v_max_f32_e32 v0, 0, v0
	v_div_scale_f32 v3, s[0:1], v0, v0, v2
	v_div_scale_f32 v4, vcc, v2, v0, v2
	s_load_dword s4, s[4:5], 0x8
	s_mov_b32 s5, 0x800000
	s_lshl_b64 s[0:1], s[6:7], 2
	s_add_u32 s2, s2, s0
	s_addc_u32 s3, s3, s1
	s_add_u32 s0, s8, s0
	s_addc_u32 s1, s9, s1
	v_rcp_f32_e32 v5, v3
	v_fma_f32 v6, -v3, v5, 1.0
	v_fmac_f32_e32 v5, v6, v5
	v_mul_f32_e32 v6, v4, v5
	v_fma_f32 v7, -v3, v6, v4
	v_fmac_f32_e32 v6, v7, v5
	v_fma_f32 v3, -v3, v6, v4
	v_div_fmas_f32 v3, v3, v5, v6
	v_mov_b32_e32 v4, 0
	global_store_dword v4, v1, s[2:3]
	v_div_fixup_f32 v0, v3, v0, v2
	s_waitcnt lgkmcnt(0)
	v_add_f32_e32 v0, s4, v0
	v_mul_f32_e32 v2, 0x4b800000, v0
	v_cmp_gt_f32_e32 vcc, s5, v0
	v_cndmask_b32_e32 v0, v0, v2, vcc
	v_rsq_f32_e32 v0, v0
	v_mul_f32_e32 v1, 0x45800000, v0
	v_cndmask_b32_e32 v0, v0, v1, vcc
	global_store_dword v4, v0, s[0:1]
	s_endpgm
	.section	.rodata,"a",@progbits
	.p2align	6, 0x0
	.amdhsa_kernel _ZN2at6native12_GLOBAL__N_124RowwiseMomentsCUDAKernelIN3c108BFloat16EfLb0EEEvlT0_PKT_PS5_S9_
		.amdhsa_group_segment_fixed_size 1536
		.amdhsa_private_segment_fixed_size 0
		.amdhsa_kernarg_size 296
		.amdhsa_user_sgpr_count 6
		.amdhsa_user_sgpr_private_segment_buffer 1
		.amdhsa_user_sgpr_dispatch_ptr 0
		.amdhsa_user_sgpr_queue_ptr 0
		.amdhsa_user_sgpr_kernarg_segment_ptr 1
		.amdhsa_user_sgpr_dispatch_id 0
		.amdhsa_user_sgpr_flat_scratch_init 0
		.amdhsa_user_sgpr_private_segment_size 0
		.amdhsa_uses_dynamic_stack 0
		.amdhsa_system_sgpr_private_segment_wavefront_offset 0
		.amdhsa_system_sgpr_workgroup_id_x 1
		.amdhsa_system_sgpr_workgroup_id_y 0
		.amdhsa_system_sgpr_workgroup_id_z 0
		.amdhsa_system_sgpr_workgroup_info 0
		.amdhsa_system_vgpr_workitem_id 0
		.amdhsa_next_free_vgpr 20
		.amdhsa_next_free_sgpr 21
		.amdhsa_reserve_vcc 1
		.amdhsa_reserve_flat_scratch 0
		.amdhsa_float_round_mode_32 0
		.amdhsa_float_round_mode_16_64 0
		.amdhsa_float_denorm_mode_32 3
		.amdhsa_float_denorm_mode_16_64 3
		.amdhsa_dx10_clamp 1
		.amdhsa_ieee_mode 1
		.amdhsa_fp16_overflow 0
		.amdhsa_exception_fp_ieee_invalid_op 0
		.amdhsa_exception_fp_denorm_src 0
		.amdhsa_exception_fp_ieee_div_zero 0
		.amdhsa_exception_fp_ieee_overflow 0
		.amdhsa_exception_fp_ieee_underflow 0
		.amdhsa_exception_fp_ieee_inexact 0
		.amdhsa_exception_int_div_zero 0
	.end_amdhsa_kernel
	.section	.text._ZN2at6native12_GLOBAL__N_124RowwiseMomentsCUDAKernelIN3c108BFloat16EfLb0EEEvlT0_PKT_PS5_S9_,"axG",@progbits,_ZN2at6native12_GLOBAL__N_124RowwiseMomentsCUDAKernelIN3c108BFloat16EfLb0EEEvlT0_PKT_PS5_S9_,comdat
.Lfunc_end10:
	.size	_ZN2at6native12_GLOBAL__N_124RowwiseMomentsCUDAKernelIN3c108BFloat16EfLb0EEEvlT0_PKT_PS5_S9_, .Lfunc_end10-_ZN2at6native12_GLOBAL__N_124RowwiseMomentsCUDAKernelIN3c108BFloat16EfLb0EEEvlT0_PKT_PS5_S9_
                                        ; -- End function
	.set _ZN2at6native12_GLOBAL__N_124RowwiseMomentsCUDAKernelIN3c108BFloat16EfLb0EEEvlT0_PKT_PS5_S9_.num_vgpr, 20
	.set _ZN2at6native12_GLOBAL__N_124RowwiseMomentsCUDAKernelIN3c108BFloat16EfLb0EEEvlT0_PKT_PS5_S9_.num_agpr, 0
	.set _ZN2at6native12_GLOBAL__N_124RowwiseMomentsCUDAKernelIN3c108BFloat16EfLb0EEEvlT0_PKT_PS5_S9_.numbered_sgpr, 21
	.set _ZN2at6native12_GLOBAL__N_124RowwiseMomentsCUDAKernelIN3c108BFloat16EfLb0EEEvlT0_PKT_PS5_S9_.num_named_barrier, 0
	.set _ZN2at6native12_GLOBAL__N_124RowwiseMomentsCUDAKernelIN3c108BFloat16EfLb0EEEvlT0_PKT_PS5_S9_.private_seg_size, 0
	.set _ZN2at6native12_GLOBAL__N_124RowwiseMomentsCUDAKernelIN3c108BFloat16EfLb0EEEvlT0_PKT_PS5_S9_.uses_vcc, 1
	.set _ZN2at6native12_GLOBAL__N_124RowwiseMomentsCUDAKernelIN3c108BFloat16EfLb0EEEvlT0_PKT_PS5_S9_.uses_flat_scratch, 0
	.set _ZN2at6native12_GLOBAL__N_124RowwiseMomentsCUDAKernelIN3c108BFloat16EfLb0EEEvlT0_PKT_PS5_S9_.has_dyn_sized_stack, 0
	.set _ZN2at6native12_GLOBAL__N_124RowwiseMomentsCUDAKernelIN3c108BFloat16EfLb0EEEvlT0_PKT_PS5_S9_.has_recursion, 0
	.set _ZN2at6native12_GLOBAL__N_124RowwiseMomentsCUDAKernelIN3c108BFloat16EfLb0EEEvlT0_PKT_PS5_S9_.has_indirect_call, 0
	.section	.AMDGPU.csdata,"",@progbits
; Kernel info:
; codeLenInByte = 3384
; TotalNumSgprs: 25
; NumVgprs: 20
; ScratchSize: 0
; MemoryBound: 0
; FloatMode: 240
; IeeeMode: 1
; LDSByteSize: 1536 bytes/workgroup (compile time only)
; SGPRBlocks: 3
; VGPRBlocks: 4
; NumSGPRsForWavesPerEU: 25
; NumVGPRsForWavesPerEU: 20
; Occupancy: 10
; WaveLimiterHint : 0
; COMPUTE_PGM_RSRC2:SCRATCH_EN: 0
; COMPUTE_PGM_RSRC2:USER_SGPR: 6
; COMPUTE_PGM_RSRC2:TRAP_HANDLER: 0
; COMPUTE_PGM_RSRC2:TGID_X_EN: 1
; COMPUTE_PGM_RSRC2:TGID_Y_EN: 0
; COMPUTE_PGM_RSRC2:TGID_Z_EN: 0
; COMPUTE_PGM_RSRC2:TIDIG_COMP_CNT: 0
	.section	.text._ZN2at6native12_GLOBAL__N_126LayerNormForwardCUDAKernelIN3c108BFloat16EfLb0EEEvlPKT_PKT0_SA_S7_S7_PS5_,"axG",@progbits,_ZN2at6native12_GLOBAL__N_126LayerNormForwardCUDAKernelIN3c108BFloat16EfLb0EEEvlPKT_PKT0_SA_S7_S7_PS5_,comdat
	.globl	_ZN2at6native12_GLOBAL__N_126LayerNormForwardCUDAKernelIN3c108BFloat16EfLb0EEEvlPKT_PKT0_SA_S7_S7_PS5_ ; -- Begin function _ZN2at6native12_GLOBAL__N_126LayerNormForwardCUDAKernelIN3c108BFloat16EfLb0EEEvlPKT_PKT0_SA_S7_S7_PS5_
	.p2align	8
	.type	_ZN2at6native12_GLOBAL__N_126LayerNormForwardCUDAKernelIN3c108BFloat16EfLb0EEEvlPKT_PKT0_SA_S7_S7_PS5_,@function
_ZN2at6native12_GLOBAL__N_126LayerNormForwardCUDAKernelIN3c108BFloat16EfLb0EEEvlPKT_PKT0_SA_S7_S7_PS5_: ; @_ZN2at6native12_GLOBAL__N_126LayerNormForwardCUDAKernelIN3c108BFloat16EfLb0EEEvlPKT_PKT0_SA_S7_S7_PS5_
; %bb.0:
	s_load_dwordx8 s[8:15], s[4:5], 0x0
	v_mov_b32_e32 v1, 0
	s_waitcnt lgkmcnt(0)
	v_cmp_gt_i64_e32 vcc, s[8:9], v[0:1]
	s_and_saveexec_b64 s[0:1], vcc
	s_cbranch_execz .LBB11_8
; %bb.1:
	s_load_dwordx8 s[16:23], s[4:5], 0x20
	s_mov_b32 s7, 0
	s_waitcnt lgkmcnt(0)
	s_mov_b64 s[22:23], 0
	v_lshlrev_b32_e32 v2, 1, v0
	v_mov_b32_e32 v3, v1
	s_cmp_lg_u64 s[16:17], 0
	s_cselect_b64 s[0:1], -1, 0
	s_cmp_lg_u64 s[18:19], 0
	s_cselect_b64 s[2:3], -1, 0
	s_lshl_b64 s[24:25], s[6:7], 2
	s_add_u32 s12, s12, s24
	s_addc_u32 s13, s13, s25
	s_load_dword s26, s[4:5], 0x44
	s_load_dword s7, s[12:13], 0x0
	s_add_u32 s4, s14, s24
	s_addc_u32 s5, s15, s25
	s_load_dword s12, s[4:5], 0x0
	s_mul_i32 s4, s9, s6
	s_mul_hi_u32 s5, s8, s6
	s_add_i32 s5, s5, s4
	s_mul_i32 s4, s8, s6
	s_waitcnt lgkmcnt(0)
	s_and_b32 s13, s26, 0xffff
	s_lshl_b64 s[4:5], s[4:5], 1
	s_add_u32 s6, s10, s4
	s_addc_u32 s14, s11, s5
	s_lshl_b32 s10, s13, 1
	s_add_u32 s11, s20, s4
	s_addc_u32 s4, s21, s5
	v_cndmask_b32_e64 v7, 0, 1, s[0:1]
	v_cndmask_b32_e64 v8, 0, 1, s[2:3]
	v_mov_b32_e32 v4, s14
	s_movk_i32 s14, 0x7fff
	v_mov_b32_e32 v5, 0x7fc0
	v_mov_b32_e32 v6, s4
	v_cmp_ne_u32_e64 s[0:1], 1, v7
	v_cmp_ne_u32_e64 s[2:3], 1, v8
	s_branch .LBB11_4
.LBB11_2:                               ;   in Loop: Header=BB11_4 Depth=1
	v_mov_b32_e32 v9, s19
	v_add_co_u32_e32 v8, vcc, s18, v2
	v_addc_co_u32_e32 v9, vcc, v9, v3, vcc
	global_load_ushort v8, v[8:9], off
	s_waitcnt vmcnt(0)
	v_lshlrev_b32_e32 v8, 16, v8
.LBB11_3:                               ;   in Loop: Header=BB11_4 Depth=1
	v_add_co_u32_e32 v9, vcc, s6, v2
	v_addc_co_u32_e32 v10, vcc, v4, v3, vcc
	global_load_ushort v11, v[9:10], off
	v_add_co_u32_e32 v0, vcc, s13, v0
	v_addc_co_u32_e32 v1, vcc, 0, v1, vcc
	v_cmp_le_i64_e32 vcc, s[8:9], v[0:1]
	v_add_co_u32_e64 v9, s[4:5], s11, v2
	s_or_b64 s[22:23], vcc, s[22:23]
	v_addc_co_u32_e64 v10, s[4:5], v6, v3, s[4:5]
	s_waitcnt vmcnt(0)
	v_lshlrev_b32_e32 v11, 16, v11
	v_subrev_f32_e32 v11, s7, v11
	v_mul_f32_e32 v11, s12, v11
	v_fmac_f32_e32 v8, v7, v11
	v_bfe_u32 v7, v8, 16, 1
	v_add3_u32 v7, v8, v7, s14
	v_lshrrev_b32_e32 v7, 16, v7
	v_cmp_o_f32_e32 vcc, v8, v8
	v_cndmask_b32_e32 v7, v5, v7, vcc
	v_add_co_u32_e32 v2, vcc, s10, v2
	v_addc_co_u32_e32 v3, vcc, 0, v3, vcc
	global_store_short v[9:10], v7, off
	s_andn2_b64 exec, exec, s[22:23]
	s_cbranch_execz .LBB11_8
.LBB11_4:                               ; =>This Inner Loop Header: Depth=1
	s_and_b64 vcc, exec, s[0:1]
	s_cbranch_vccnz .LBB11_6
; %bb.5:                                ;   in Loop: Header=BB11_4 Depth=1
	v_mov_b32_e32 v8, s17
	v_add_co_u32_e32 v7, vcc, s16, v2
	v_addc_co_u32_e32 v8, vcc, v8, v3, vcc
	global_load_ushort v7, v[7:8], off
	s_waitcnt vmcnt(0)
	v_lshlrev_b32_e32 v7, 16, v7
	s_and_b64 vcc, exec, s[2:3]
	s_cbranch_vccz .LBB11_2
	s_branch .LBB11_7
.LBB11_6:                               ;   in Loop: Header=BB11_4 Depth=1
	v_mov_b32_e32 v7, 1.0
	s_and_b64 vcc, exec, s[2:3]
	s_cbranch_vccz .LBB11_2
.LBB11_7:                               ;   in Loop: Header=BB11_4 Depth=1
	v_mov_b32_e32 v8, 0
	s_branch .LBB11_3
.LBB11_8:
	s_endpgm
	.section	.rodata,"a",@progbits
	.p2align	6, 0x0
	.amdhsa_kernel _ZN2at6native12_GLOBAL__N_126LayerNormForwardCUDAKernelIN3c108BFloat16EfLb0EEEvlPKT_PKT0_SA_S7_S7_PS5_
		.amdhsa_group_segment_fixed_size 0
		.amdhsa_private_segment_fixed_size 0
		.amdhsa_kernarg_size 312
		.amdhsa_user_sgpr_count 6
		.amdhsa_user_sgpr_private_segment_buffer 1
		.amdhsa_user_sgpr_dispatch_ptr 0
		.amdhsa_user_sgpr_queue_ptr 0
		.amdhsa_user_sgpr_kernarg_segment_ptr 1
		.amdhsa_user_sgpr_dispatch_id 0
		.amdhsa_user_sgpr_flat_scratch_init 0
		.amdhsa_user_sgpr_private_segment_size 0
		.amdhsa_uses_dynamic_stack 0
		.amdhsa_system_sgpr_private_segment_wavefront_offset 0
		.amdhsa_system_sgpr_workgroup_id_x 1
		.amdhsa_system_sgpr_workgroup_id_y 0
		.amdhsa_system_sgpr_workgroup_id_z 0
		.amdhsa_system_sgpr_workgroup_info 0
		.amdhsa_system_vgpr_workitem_id 0
		.amdhsa_next_free_vgpr 12
		.amdhsa_next_free_sgpr 27
		.amdhsa_reserve_vcc 1
		.amdhsa_reserve_flat_scratch 0
		.amdhsa_float_round_mode_32 0
		.amdhsa_float_round_mode_16_64 0
		.amdhsa_float_denorm_mode_32 3
		.amdhsa_float_denorm_mode_16_64 3
		.amdhsa_dx10_clamp 1
		.amdhsa_ieee_mode 1
		.amdhsa_fp16_overflow 0
		.amdhsa_exception_fp_ieee_invalid_op 0
		.amdhsa_exception_fp_denorm_src 0
		.amdhsa_exception_fp_ieee_div_zero 0
		.amdhsa_exception_fp_ieee_overflow 0
		.amdhsa_exception_fp_ieee_underflow 0
		.amdhsa_exception_fp_ieee_inexact 0
		.amdhsa_exception_int_div_zero 0
	.end_amdhsa_kernel
	.section	.text._ZN2at6native12_GLOBAL__N_126LayerNormForwardCUDAKernelIN3c108BFloat16EfLb0EEEvlPKT_PKT0_SA_S7_S7_PS5_,"axG",@progbits,_ZN2at6native12_GLOBAL__N_126LayerNormForwardCUDAKernelIN3c108BFloat16EfLb0EEEvlPKT_PKT0_SA_S7_S7_PS5_,comdat
.Lfunc_end11:
	.size	_ZN2at6native12_GLOBAL__N_126LayerNormForwardCUDAKernelIN3c108BFloat16EfLb0EEEvlPKT_PKT0_SA_S7_S7_PS5_, .Lfunc_end11-_ZN2at6native12_GLOBAL__N_126LayerNormForwardCUDAKernelIN3c108BFloat16EfLb0EEEvlPKT_PKT0_SA_S7_S7_PS5_
                                        ; -- End function
	.set _ZN2at6native12_GLOBAL__N_126LayerNormForwardCUDAKernelIN3c108BFloat16EfLb0EEEvlPKT_PKT0_SA_S7_S7_PS5_.num_vgpr, 12
	.set _ZN2at6native12_GLOBAL__N_126LayerNormForwardCUDAKernelIN3c108BFloat16EfLb0EEEvlPKT_PKT0_SA_S7_S7_PS5_.num_agpr, 0
	.set _ZN2at6native12_GLOBAL__N_126LayerNormForwardCUDAKernelIN3c108BFloat16EfLb0EEEvlPKT_PKT0_SA_S7_S7_PS5_.numbered_sgpr, 27
	.set _ZN2at6native12_GLOBAL__N_126LayerNormForwardCUDAKernelIN3c108BFloat16EfLb0EEEvlPKT_PKT0_SA_S7_S7_PS5_.num_named_barrier, 0
	.set _ZN2at6native12_GLOBAL__N_126LayerNormForwardCUDAKernelIN3c108BFloat16EfLb0EEEvlPKT_PKT0_SA_S7_S7_PS5_.private_seg_size, 0
	.set _ZN2at6native12_GLOBAL__N_126LayerNormForwardCUDAKernelIN3c108BFloat16EfLb0EEEvlPKT_PKT0_SA_S7_S7_PS5_.uses_vcc, 1
	.set _ZN2at6native12_GLOBAL__N_126LayerNormForwardCUDAKernelIN3c108BFloat16EfLb0EEEvlPKT_PKT0_SA_S7_S7_PS5_.uses_flat_scratch, 0
	.set _ZN2at6native12_GLOBAL__N_126LayerNormForwardCUDAKernelIN3c108BFloat16EfLb0EEEvlPKT_PKT0_SA_S7_S7_PS5_.has_dyn_sized_stack, 0
	.set _ZN2at6native12_GLOBAL__N_126LayerNormForwardCUDAKernelIN3c108BFloat16EfLb0EEEvlPKT_PKT0_SA_S7_S7_PS5_.has_recursion, 0
	.set _ZN2at6native12_GLOBAL__N_126LayerNormForwardCUDAKernelIN3c108BFloat16EfLb0EEEvlPKT_PKT0_SA_S7_S7_PS5_.has_indirect_call, 0
	.section	.AMDGPU.csdata,"",@progbits
; Kernel info:
; codeLenInByte = 444
; TotalNumSgprs: 31
; NumVgprs: 12
; ScratchSize: 0
; MemoryBound: 0
; FloatMode: 240
; IeeeMode: 1
; LDSByteSize: 0 bytes/workgroup (compile time only)
; SGPRBlocks: 3
; VGPRBlocks: 2
; NumSGPRsForWavesPerEU: 31
; NumVGPRsForWavesPerEU: 12
; Occupancy: 10
; WaveLimiterHint : 0
; COMPUTE_PGM_RSRC2:SCRATCH_EN: 0
; COMPUTE_PGM_RSRC2:USER_SGPR: 6
; COMPUTE_PGM_RSRC2:TRAP_HANDLER: 0
; COMPUTE_PGM_RSRC2:TGID_X_EN: 1
; COMPUTE_PGM_RSRC2:TGID_Y_EN: 0
; COMPUTE_PGM_RSRC2:TGID_Z_EN: 0
; COMPUTE_PGM_RSRC2:TIDIG_COMP_CNT: 0
	.section	.text.unlikely._ZN2at6native12_GLOBAL__N_128vectorized_layer_norm_kernelIddLb1EEEviT0_PKT_S6_S6_PS3_S7_PS4_,"axG",@progbits,_ZN2at6native12_GLOBAL__N_128vectorized_layer_norm_kernelIddLb1EEEviT0_PKT_S6_S6_PS3_S7_PS4_,comdat
	.globl	_ZN2at6native12_GLOBAL__N_128vectorized_layer_norm_kernelIddLb1EEEviT0_PKT_S6_S6_PS3_S7_PS4_ ; -- Begin function _ZN2at6native12_GLOBAL__N_128vectorized_layer_norm_kernelIddLb1EEEviT0_PKT_S6_S6_PS3_S7_PS4_
	.p2align	8
	.type	_ZN2at6native12_GLOBAL__N_128vectorized_layer_norm_kernelIddLb1EEEviT0_PKT_S6_S6_PS3_S7_PS4_,@function
_ZN2at6native12_GLOBAL__N_128vectorized_layer_norm_kernelIddLb1EEEviT0_PKT_S6_S6_PS3_S7_PS4_: ; @_ZN2at6native12_GLOBAL__N_128vectorized_layer_norm_kernelIddLb1EEEviT0_PKT_S6_S6_PS3_S7_PS4_
; %bb.0:
	s_trap 2
	.section	.rodata,"a",@progbits
	.p2align	6, 0x0
	.amdhsa_kernel _ZN2at6native12_GLOBAL__N_128vectorized_layer_norm_kernelIddLb1EEEviT0_PKT_S6_S6_PS3_S7_PS4_
		.amdhsa_group_segment_fixed_size 0
		.amdhsa_private_segment_fixed_size 0
		.amdhsa_kernarg_size 64
		.amdhsa_user_sgpr_count 6
		.amdhsa_user_sgpr_private_segment_buffer 1
		.amdhsa_user_sgpr_dispatch_ptr 0
		.amdhsa_user_sgpr_queue_ptr 0
		.amdhsa_user_sgpr_kernarg_segment_ptr 1
		.amdhsa_user_sgpr_dispatch_id 0
		.amdhsa_user_sgpr_flat_scratch_init 0
		.amdhsa_user_sgpr_private_segment_size 0
		.amdhsa_uses_dynamic_stack 0
		.amdhsa_system_sgpr_private_segment_wavefront_offset 0
		.amdhsa_system_sgpr_workgroup_id_x 1
		.amdhsa_system_sgpr_workgroup_id_y 0
		.amdhsa_system_sgpr_workgroup_id_z 0
		.amdhsa_system_sgpr_workgroup_info 0
		.amdhsa_system_vgpr_workitem_id 0
		.amdhsa_next_free_vgpr 1
		.amdhsa_next_free_sgpr 0
		.amdhsa_reserve_vcc 0
		.amdhsa_reserve_flat_scratch 0
		.amdhsa_float_round_mode_32 0
		.amdhsa_float_round_mode_16_64 0
		.amdhsa_float_denorm_mode_32 3
		.amdhsa_float_denorm_mode_16_64 3
		.amdhsa_dx10_clamp 1
		.amdhsa_ieee_mode 1
		.amdhsa_fp16_overflow 0
		.amdhsa_exception_fp_ieee_invalid_op 0
		.amdhsa_exception_fp_denorm_src 0
		.amdhsa_exception_fp_ieee_div_zero 0
		.amdhsa_exception_fp_ieee_overflow 0
		.amdhsa_exception_fp_ieee_underflow 0
		.amdhsa_exception_fp_ieee_inexact 0
		.amdhsa_exception_int_div_zero 0
	.end_amdhsa_kernel
	.section	.text.unlikely._ZN2at6native12_GLOBAL__N_128vectorized_layer_norm_kernelIddLb1EEEviT0_PKT_S6_S6_PS3_S7_PS4_,"axG",@progbits,_ZN2at6native12_GLOBAL__N_128vectorized_layer_norm_kernelIddLb1EEEviT0_PKT_S6_S6_PS3_S7_PS4_,comdat
.Lfunc_end12:
	.size	_ZN2at6native12_GLOBAL__N_128vectorized_layer_norm_kernelIddLb1EEEviT0_PKT_S6_S6_PS3_S7_PS4_, .Lfunc_end12-_ZN2at6native12_GLOBAL__N_128vectorized_layer_norm_kernelIddLb1EEEviT0_PKT_S6_S6_PS3_S7_PS4_
                                        ; -- End function
	.set _ZN2at6native12_GLOBAL__N_128vectorized_layer_norm_kernelIddLb1EEEviT0_PKT_S6_S6_PS3_S7_PS4_.num_vgpr, 0
	.set _ZN2at6native12_GLOBAL__N_128vectorized_layer_norm_kernelIddLb1EEEviT0_PKT_S6_S6_PS3_S7_PS4_.num_agpr, 0
	.set _ZN2at6native12_GLOBAL__N_128vectorized_layer_norm_kernelIddLb1EEEviT0_PKT_S6_S6_PS3_S7_PS4_.numbered_sgpr, 0
	.set _ZN2at6native12_GLOBAL__N_128vectorized_layer_norm_kernelIddLb1EEEviT0_PKT_S6_S6_PS3_S7_PS4_.num_named_barrier, 0
	.set _ZN2at6native12_GLOBAL__N_128vectorized_layer_norm_kernelIddLb1EEEviT0_PKT_S6_S6_PS3_S7_PS4_.private_seg_size, 0
	.set _ZN2at6native12_GLOBAL__N_128vectorized_layer_norm_kernelIddLb1EEEviT0_PKT_S6_S6_PS3_S7_PS4_.uses_vcc, 0
	.set _ZN2at6native12_GLOBAL__N_128vectorized_layer_norm_kernelIddLb1EEEviT0_PKT_S6_S6_PS3_S7_PS4_.uses_flat_scratch, 0
	.set _ZN2at6native12_GLOBAL__N_128vectorized_layer_norm_kernelIddLb1EEEviT0_PKT_S6_S6_PS3_S7_PS4_.has_dyn_sized_stack, 0
	.set _ZN2at6native12_GLOBAL__N_128vectorized_layer_norm_kernelIddLb1EEEviT0_PKT_S6_S6_PS3_S7_PS4_.has_recursion, 0
	.set _ZN2at6native12_GLOBAL__N_128vectorized_layer_norm_kernelIddLb1EEEviT0_PKT_S6_S6_PS3_S7_PS4_.has_indirect_call, 0
	.section	.AMDGPU.csdata,"",@progbits
; Kernel info:
; codeLenInByte = 4
; TotalNumSgprs: 4
; NumVgprs: 0
; ScratchSize: 0
; MemoryBound: 0
; FloatMode: 240
; IeeeMode: 1
; LDSByteSize: 0 bytes/workgroup (compile time only)
; SGPRBlocks: 0
; VGPRBlocks: 0
; NumSGPRsForWavesPerEU: 4
; NumVGPRsForWavesPerEU: 1
; Occupancy: 10
; WaveLimiterHint : 0
; COMPUTE_PGM_RSRC2:SCRATCH_EN: 0
; COMPUTE_PGM_RSRC2:USER_SGPR: 6
; COMPUTE_PGM_RSRC2:TRAP_HANDLER: 0
; COMPUTE_PGM_RSRC2:TGID_X_EN: 1
; COMPUTE_PGM_RSRC2:TGID_Y_EN: 0
; COMPUTE_PGM_RSRC2:TGID_Z_EN: 0
; COMPUTE_PGM_RSRC2:TIDIG_COMP_CNT: 0
	.section	.text._ZN2at6native12_GLOBAL__N_124RowwiseMomentsCUDAKernelIddLb1EEEvlT0_PKT_PS3_S7_,"axG",@progbits,_ZN2at6native12_GLOBAL__N_124RowwiseMomentsCUDAKernelIddLb1EEEvlT0_PKT_PS3_S7_,comdat
	.globl	_ZN2at6native12_GLOBAL__N_124RowwiseMomentsCUDAKernelIddLb1EEEvlT0_PKT_PS3_S7_ ; -- Begin function _ZN2at6native12_GLOBAL__N_124RowwiseMomentsCUDAKernelIddLb1EEEvlT0_PKT_PS3_S7_
	.p2align	8
	.type	_ZN2at6native12_GLOBAL__N_124RowwiseMomentsCUDAKernelIddLb1EEEvlT0_PKT_PS3_S7_,@function
_ZN2at6native12_GLOBAL__N_124RowwiseMomentsCUDAKernelIddLb1EEEvlT0_PKT_PS3_S7_: ; @_ZN2at6native12_GLOBAL__N_124RowwiseMomentsCUDAKernelIddLb1EEEvlT0_PKT_PS3_S7_
; %bb.0:
	s_load_dwordx4 s[8:11], s[4:5], 0x0
	s_load_dwordx2 s[0:1], s[4:5], 0x10
	v_mov_b32_e32 v1, 0
	v_mov_b32_e32 v14, 0
	;; [unrolled: 1-line block ×3, first 2 shown]
	s_waitcnt lgkmcnt(0)
	v_cmp_gt_i64_e32 vcc, s[8:9], v[0:1]
	v_mov_b32_e32 v2, 0
	v_mov_b32_e32 v4, 0
	v_mov_b32_e32 v15, 0
	v_mov_b32_e32 v11, 0
	v_mov_b32_e32 v3, 0
	v_mov_b32_e32 v5, 0
	s_mov_b32 s7, 0
	s_and_saveexec_b64 s[2:3], vcc
	s_cbranch_execz .LBB13_4
; %bb.1:
	s_load_dword s14, s[4:5], 0x34
	s_mul_i32 s13, s9, s6
	s_mul_hi_u32 s15, s8, s6
	s_mul_i32 s12, s8, s6
	s_add_i32 s13, s15, s13
	s_waitcnt lgkmcnt(0)
	s_and_b32 s16, s14, 0xffff
	s_lshl_b64 s[12:13], s[12:13], 3
	s_add_u32 s0, s0, s12
	v_lshlrev_b32_e32 v2, 3, v0
	s_addc_u32 s1, s1, s13
	v_mov_b32_e32 v3, s1
	v_add_co_u32_e32 v6, vcc, s0, v2
	v_addc_co_u32_e32 v7, vcc, 0, v3, vcc
	v_mov_b32_e32 v2, 0
	v_mov_b32_e32 v9, v1
	;; [unrolled: 1-line block ×3, first 2 shown]
	s_lshl_b32 s17, s16, 3
	v_mov_b32_e32 v3, 0
	s_mov_b64 s[12:13], 0
	v_mov_b32_e32 v8, v0
	v_mov_b32_e32 v5, 0
	s_mov_b64 s[14:15], 0
.LBB13_2:                               ; =>This Inner Loop Header: Depth=1
	global_load_dwordx2 v[12:13], v[6:7], off
	s_add_u32 s14, s14, 1
	s_addc_u32 s15, s15, 0
	v_cvt_f64_u32_e32 v[10:11], s15
	v_cvt_f64_u32_e32 v[14:15], s14
	v_ldexp_f64 v[10:11], v[10:11], 32
	v_add_f64 v[10:11], v[10:11], v[14:15]
	s_waitcnt vmcnt(0)
	v_add_f64 v[14:15], v[12:13], -v[4:5]
	v_div_scale_f64 v[16:17], s[0:1], v[10:11], v[10:11], v[14:15]
	v_rcp_f64_e32 v[18:19], v[16:17]
	v_fma_f64 v[20:21], -v[16:17], v[18:19], 1.0
	v_fma_f64 v[18:19], v[18:19], v[20:21], v[18:19]
	v_div_scale_f64 v[20:21], vcc, v[14:15], v[10:11], v[14:15]
	v_fma_f64 v[22:23], -v[16:17], v[18:19], 1.0
	v_fma_f64 v[18:19], v[18:19], v[22:23], v[18:19]
	v_mul_f64 v[22:23], v[20:21], v[18:19]
	v_fma_f64 v[16:17], -v[16:17], v[22:23], v[20:21]
	v_div_fmas_f64 v[16:17], v[16:17], v[18:19], v[22:23]
	v_add_co_u32_e32 v8, vcc, s16, v8
	v_addc_co_u32_e32 v9, vcc, 0, v9, vcc
	v_cmp_le_i64_e64 s[0:1], s[8:9], v[8:9]
	v_add_co_u32_e32 v6, vcc, s17, v6
	v_addc_co_u32_e32 v7, vcc, 0, v7, vcc
	s_or_b64 s[12:13], s[0:1], s[12:13]
	v_div_fixup_f64 v[16:17], v[16:17], v[10:11], v[14:15]
	v_add_f64 v[4:5], v[4:5], v[16:17]
	v_add_f64 v[12:13], v[12:13], -v[4:5]
	v_fma_f64 v[2:3], v[14:15], v[12:13], v[2:3]
	v_mov_b32_e32 v14, s14
	v_mov_b32_e32 v15, s15
	s_andn2_b64 exec, exec, s[12:13]
	s_cbranch_execnz .LBB13_2
; %bb.3:
	s_or_b64 exec, exec, s[12:13]
.LBB13_4:
	s_or_b64 exec, exec, s[2:3]
	v_mbcnt_lo_u32_b32 v1, -1, 0
	v_cmp_neq_f64_e32 vcc, 0, v[10:11]
	v_mbcnt_hi_u32_b32 v23, -1, v1
	v_mov_b32_e32 v1, 0x80
	v_lshl_or_b32 v20, v23, 2, v1
	ds_bpermute_b32 v6, v20, v4
	ds_bpermute_b32 v7, v20, v5
	ds_bpermute_b32 v8, v20, v2
	ds_bpermute_b32 v9, v20, v3
	ds_bpermute_b32 v16, v20, v14
	ds_bpermute_b32 v17, v20, v15
	ds_bpermute_b32 v12, v20, v10
	ds_bpermute_b32 v13, v20, v11
	s_and_saveexec_b64 s[0:1], vcc
	s_cbranch_execz .LBB13_8
; %bb.5:
	s_waitcnt lgkmcnt(0)
	v_cmp_neq_f64_e32 vcc, 0, v[12:13]
	s_and_saveexec_b64 s[2:3], vcc
	s_cbranch_execz .LBB13_7
; %bb.6:
	v_add_f64 v[16:17], v[10:11], v[12:13]
	v_add_f64 v[6:7], v[6:7], -v[4:5]
	v_add_f64 v[1:2], v[2:3], v[8:9]
	v_div_scale_f64 v[14:15], s[8:9], v[16:17], v[16:17], v[12:13]
	v_rcp_f64_e32 v[18:19], v[14:15]
	v_fma_f64 v[21:22], -v[14:15], v[18:19], 1.0
	v_fma_f64 v[18:19], v[18:19], v[21:22], v[18:19]
	v_div_scale_f64 v[21:22], vcc, v[12:13], v[16:17], v[12:13]
	v_fma_f64 v[24:25], -v[14:15], v[18:19], 1.0
	v_fma_f64 v[18:19], v[18:19], v[24:25], v[18:19]
	v_mul_f64 v[24:25], v[21:22], v[18:19]
	v_fma_f64 v[14:15], -v[14:15], v[24:25], v[21:22]
	v_div_fmas_f64 v[14:15], v[14:15], v[18:19], v[24:25]
	v_mul_f64 v[18:19], v[6:7], v[6:7]
	v_mul_f64 v[10:11], v[10:11], v[18:19]
	v_div_fixup_f64 v[8:9], v[14:15], v[16:17], v[12:13]
	v_mov_b32_e32 v14, -1
	v_mov_b32_e32 v15, -1
	v_fma_f64 v[4:5], v[6:7], v[8:9], v[4:5]
	v_fma_f64 v[2:3], v[10:11], v[8:9], v[1:2]
	v_mov_b32_e32 v10, v16
	v_mov_b32_e32 v11, v17
.LBB13_7:
	s_or_b64 exec, exec, s[2:3]
	v_mov_b32_e32 v13, v11
	v_mov_b32_e32 v17, v15
	;; [unrolled: 1-line block ×8, first 2 shown]
.LBB13_8:
	s_or_b64 exec, exec, s[0:1]
	v_and_b32_e32 v24, 63, v23
	v_cmp_gt_u32_e32 vcc, 48, v24
	v_cndmask_b32_e64 v1, 0, 16, vcc
	s_waitcnt lgkmcnt(0)
	v_cmp_neq_f64_e32 vcc, 0, v[12:13]
	v_add_lshl_u32 v21, v1, v23, 2
	ds_bpermute_b32 v1, v21, v6
	ds_bpermute_b32 v2, v21, v7
	;; [unrolled: 1-line block ×8, first 2 shown]
	s_and_saveexec_b64 s[0:1], vcc
	s_cbranch_execz .LBB13_12
; %bb.9:
	s_waitcnt lgkmcnt(0)
	v_cmp_neq_f64_e32 vcc, 0, v[14:15]
	s_and_saveexec_b64 s[2:3], vcc
	s_cbranch_execz .LBB13_11
; %bb.10:
	v_add_f64 v[3:4], v[12:13], v[14:15]
	v_add_f64 v[1:2], v[1:2], -v[6:7]
	v_add_f64 v[8:9], v[8:9], v[10:11]
	v_div_scale_f64 v[16:17], s[8:9], v[3:4], v[3:4], v[14:15]
	v_rcp_f64_e32 v[18:19], v[16:17]
	v_fma_f64 v[25:26], -v[16:17], v[18:19], 1.0
	v_fma_f64 v[18:19], v[18:19], v[25:26], v[18:19]
	v_div_scale_f64 v[25:26], vcc, v[14:15], v[3:4], v[14:15]
	v_fma_f64 v[27:28], -v[16:17], v[18:19], 1.0
	v_fma_f64 v[18:19], v[18:19], v[27:28], v[18:19]
	v_mul_f64 v[27:28], v[25:26], v[18:19]
	v_fma_f64 v[16:17], -v[16:17], v[27:28], v[25:26]
	v_div_fmas_f64 v[16:17], v[16:17], v[18:19], v[27:28]
	v_mul_f64 v[18:19], v[1:2], v[1:2]
	v_mul_f64 v[12:13], v[12:13], v[18:19]
	v_div_fixup_f64 v[10:11], v[16:17], v[3:4], v[14:15]
	v_mov_b32_e32 v16, -1
	v_mov_b32_e32 v17, -1
	v_fma_f64 v[6:7], v[1:2], v[10:11], v[6:7]
	v_fma_f64 v[8:9], v[12:13], v[10:11], v[8:9]
	v_mov_b32_e32 v13, v4
	v_mov_b32_e32 v12, v3
.LBB13_11:
	s_or_b64 exec, exec, s[2:3]
	v_mov_b32_e32 v15, v13
	v_mov_b32_e32 v19, v17
	;; [unrolled: 1-line block ×8, first 2 shown]
.LBB13_12:
	s_or_b64 exec, exec, s[0:1]
	v_cmp_gt_u32_e32 vcc, 56, v24
	v_cndmask_b32_e64 v3, 0, 8, vcc
	s_waitcnt lgkmcnt(0)
	v_cmp_neq_f64_e32 vcc, 0, v[14:15]
	v_add_lshl_u32 v22, v3, v23, 2
	ds_bpermute_b32 v3, v22, v1
	ds_bpermute_b32 v4, v22, v2
	;; [unrolled: 1-line block ×8, first 2 shown]
	s_and_saveexec_b64 s[0:1], vcc
	s_cbranch_execz .LBB13_16
; %bb.13:
	s_waitcnt lgkmcnt(0)
	v_cmp_neq_f64_e32 vcc, 0, v[12:13]
	s_and_saveexec_b64 s[2:3], vcc
	s_cbranch_execz .LBB13_15
; %bb.14:
	v_add_f64 v[7:8], v[14:15], v[12:13]
	v_add_f64 v[3:4], v[3:4], -v[1:2]
	v_add_f64 v[5:6], v[10:11], v[5:6]
	v_div_scale_f64 v[16:17], s[8:9], v[7:8], v[7:8], v[12:13]
	v_rcp_f64_e32 v[18:19], v[16:17]
	v_fma_f64 v[25:26], -v[16:17], v[18:19], 1.0
	v_fma_f64 v[18:19], v[18:19], v[25:26], v[18:19]
	v_div_scale_f64 v[25:26], vcc, v[12:13], v[7:8], v[12:13]
	v_fma_f64 v[27:28], -v[16:17], v[18:19], 1.0
	v_fma_f64 v[18:19], v[18:19], v[27:28], v[18:19]
	v_mul_f64 v[27:28], v[25:26], v[18:19]
	v_fma_f64 v[16:17], -v[16:17], v[27:28], v[25:26]
	v_div_fmas_f64 v[16:17], v[16:17], v[18:19], v[27:28]
	v_mul_f64 v[18:19], v[3:4], v[3:4]
	v_div_fixup_f64 v[9:10], v[16:17], v[7:8], v[12:13]
	v_mul_f64 v[11:12], v[14:15], v[18:19]
	v_mov_b32_e32 v18, -1
	v_mov_b32_e32 v15, v8
	v_mov_b32_e32 v19, -1
	v_mov_b32_e32 v14, v7
	v_fma_f64 v[1:2], v[3:4], v[9:10], v[1:2]
	v_fma_f64 v[10:11], v[11:12], v[9:10], v[5:6]
.LBB13_15:
	s_or_b64 exec, exec, s[2:3]
	v_mov_b32_e32 v12, v14
	v_mov_b32_e32 v16, v18
	;; [unrolled: 1-line block ×8, first 2 shown]
.LBB13_16:
	s_or_b64 exec, exec, s[0:1]
	v_cmp_gt_u32_e32 vcc, 60, v24
	v_cndmask_b32_e64 v1, 0, 4, vcc
	s_waitcnt lgkmcnt(0)
	v_cmp_neq_f64_e32 vcc, 0, v[12:13]
	v_add_lshl_u32 v18, v1, v23, 2
	ds_bpermute_b32 v1, v18, v3
	ds_bpermute_b32 v2, v18, v4
	;; [unrolled: 1-line block ×8, first 2 shown]
	s_and_saveexec_b64 s[0:1], vcc
	s_cbranch_execz .LBB13_20
; %bb.17:
	s_waitcnt lgkmcnt(0)
	v_cmp_neq_f64_e32 vcc, 0, v[9:10]
	s_and_saveexec_b64 s[2:3], vcc
	s_cbranch_execz .LBB13_19
; %bb.18:
	v_add_f64 v[14:15], v[12:13], v[9:10]
	v_add_f64 v[1:2], v[1:2], -v[3:4]
	v_add_f64 v[5:6], v[5:6], v[7:8]
	v_div_scale_f64 v[16:17], s[8:9], v[14:15], v[14:15], v[9:10]
	v_rcp_f64_e32 v[25:26], v[16:17]
	v_fma_f64 v[27:28], -v[16:17], v[25:26], 1.0
	v_fma_f64 v[25:26], v[25:26], v[27:28], v[25:26]
	v_div_scale_f64 v[27:28], vcc, v[9:10], v[14:15], v[9:10]
	v_fma_f64 v[29:30], -v[16:17], v[25:26], 1.0
	v_fma_f64 v[25:26], v[25:26], v[29:30], v[25:26]
	v_mul_f64 v[29:30], v[27:28], v[25:26]
	v_fma_f64 v[16:17], -v[16:17], v[29:30], v[27:28]
	v_div_fmas_f64 v[16:17], v[16:17], v[25:26], v[29:30]
	v_mul_f64 v[25:26], v[1:2], v[1:2]
	v_div_fixup_f64 v[7:8], v[16:17], v[14:15], v[9:10]
	v_mul_f64 v[9:10], v[12:13], v[25:26]
	v_mov_b32_e32 v16, -1
	v_mov_b32_e32 v12, v14
	v_mov_b32_e32 v17, -1
	v_mov_b32_e32 v13, v15
	v_fma_f64 v[3:4], v[1:2], v[7:8], v[3:4]
	v_fma_f64 v[5:6], v[9:10], v[7:8], v[5:6]
.LBB13_19:
	s_or_b64 exec, exec, s[2:3]
	v_mov_b32_e32 v9, v12
	v_mov_b32_e32 v14, v16
	;; [unrolled: 1-line block ×8, first 2 shown]
.LBB13_20:
	s_or_b64 exec, exec, s[0:1]
	v_cmp_gt_u32_e32 vcc, 62, v24
	v_cndmask_b32_e64 v3, 0, 2, vcc
	s_waitcnt lgkmcnt(0)
	v_cmp_neq_f64_e32 vcc, 0, v[9:10]
	v_add_lshl_u32 v19, v3, v23, 2
	ds_bpermute_b32 v3, v19, v1
	ds_bpermute_b32 v4, v19, v2
	;; [unrolled: 1-line block ×8, first 2 shown]
	s_and_saveexec_b64 s[0:1], vcc
	s_cbranch_execz .LBB13_24
; %bb.21:
	s_waitcnt lgkmcnt(0)
	v_cmp_neq_f64_e32 vcc, 0, v[11:12]
	s_and_saveexec_b64 s[2:3], vcc
	s_cbranch_execz .LBB13_23
; %bb.22:
	v_add_f64 v[16:17], v[9:10], v[11:12]
	v_add_f64 v[3:4], v[3:4], -v[1:2]
	v_add_f64 v[5:6], v[7:8], v[5:6]
	v_div_scale_f64 v[13:14], s[8:9], v[16:17], v[16:17], v[11:12]
	v_rcp_f64_e32 v[25:26], v[13:14]
	v_fma_f64 v[27:28], -v[13:14], v[25:26], 1.0
	v_fma_f64 v[25:26], v[25:26], v[27:28], v[25:26]
	v_div_scale_f64 v[27:28], vcc, v[11:12], v[16:17], v[11:12]
	v_fma_f64 v[29:30], -v[13:14], v[25:26], 1.0
	v_fma_f64 v[25:26], v[25:26], v[29:30], v[25:26]
	v_mul_f64 v[29:30], v[27:28], v[25:26]
	v_fma_f64 v[13:14], -v[13:14], v[29:30], v[27:28]
	v_div_fmas_f64 v[13:14], v[13:14], v[25:26], v[29:30]
	v_mul_f64 v[25:26], v[3:4], v[3:4]
	v_mul_f64 v[9:10], v[9:10], v[25:26]
	v_div_fixup_f64 v[7:8], v[13:14], v[16:17], v[11:12]
	v_mov_b32_e32 v14, -1
	v_mov_b32_e32 v15, -1
	v_fma_f64 v[1:2], v[3:4], v[7:8], v[1:2]
	v_fma_f64 v[7:8], v[9:10], v[7:8], v[5:6]
	v_mov_b32_e32 v9, v16
	v_mov_b32_e32 v10, v17
.LBB13_23:
	s_or_b64 exec, exec, s[2:3]
	v_mov_b32_e32 v12, v10
	v_mov_b32_e32 v17, v15
	;; [unrolled: 1-line block ×8, first 2 shown]
.LBB13_24:
	s_or_b64 exec, exec, s[0:1]
	v_cmp_ne_u32_e32 vcc, 63, v24
	v_addc_co_u32_e32 v1, vcc, 0, v23, vcc
	s_waitcnt lgkmcnt(0)
	v_cmp_neq_f64_e32 vcc, 0, v[11:12]
	v_lshlrev_b32_e32 v15, 2, v1
	ds_bpermute_b32 v7, v15, v3
	ds_bpermute_b32 v8, v15, v4
	;; [unrolled: 1-line block ×8, first 2 shown]
	s_and_saveexec_b64 s[0:1], vcc
	s_cbranch_execz .LBB13_28
; %bb.25:
	s_waitcnt lgkmcnt(0)
	v_cmp_neq_f64_e32 vcc, 0, v[9:10]
	s_and_saveexec_b64 s[2:3], vcc
	s_cbranch_execz .LBB13_27
; %bb.26:
	v_add_f64 v[13:14], v[11:12], v[9:10]
	v_add_f64 v[7:8], v[7:8], -v[3:4]
	v_add_f64 v[1:2], v[5:6], v[1:2]
	v_div_scale_f64 v[16:17], s[8:9], v[13:14], v[13:14], v[9:10]
	v_rcp_f64_e32 v[23:24], v[16:17]
	v_fma_f64 v[25:26], -v[16:17], v[23:24], 1.0
	v_fma_f64 v[23:24], v[23:24], v[25:26], v[23:24]
	v_div_scale_f64 v[25:26], vcc, v[9:10], v[13:14], v[9:10]
	v_fma_f64 v[27:28], -v[16:17], v[23:24], 1.0
	v_fma_f64 v[23:24], v[23:24], v[27:28], v[23:24]
	v_mul_f64 v[27:28], v[25:26], v[23:24]
	v_fma_f64 v[16:17], -v[16:17], v[27:28], v[25:26]
	v_div_fmas_f64 v[16:17], v[16:17], v[23:24], v[27:28]
	v_mul_f64 v[23:24], v[7:8], v[7:8]
	v_div_fixup_f64 v[5:6], v[16:17], v[13:14], v[9:10]
	v_mul_f64 v[9:10], v[11:12], v[23:24]
	v_mov_b32_e32 v16, -1
	v_mov_b32_e32 v11, v13
	v_mov_b32_e32 v17, -1
	v_mov_b32_e32 v12, v14
	v_fma_f64 v[3:4], v[7:8], v[5:6], v[3:4]
	v_fma_f64 v[5:6], v[9:10], v[5:6], v[1:2]
.LBB13_27:
	s_or_b64 exec, exec, s[2:3]
	v_mov_b32_e32 v9, v11
	v_mov_b32_e32 v13, v16
	v_mov_b32_e32 v1, v5
	v_mov_b32_e32 v8, v4
	v_mov_b32_e32 v10, v12
	v_mov_b32_e32 v14, v17
	v_mov_b32_e32 v2, v6
	v_mov_b32_e32 v7, v3
.LBB13_28:
	s_or_b64 exec, exec, s[0:1]
	v_and_b32_e32 v5, 63, v0
	v_cmp_eq_u32_e32 vcc, 0, v5
	s_waitcnt lgkmcnt(0)
	s_barrier
	s_and_saveexec_b64 s[0:1], vcc
	s_cbranch_execz .LBB13_30
; %bb.29:
	v_lshrrev_b32_e32 v3, 1, v0
	ds_write2_b64 v3, v[7:8], v[1:2] offset1:1
	ds_write2_b64 v3, v[13:14], v[9:10] offset0:2 offset1:3
.LBB13_30:
	s_or_b64 exec, exec, s[0:1]
	s_waitcnt lgkmcnt(0)
	s_barrier
	s_load_dword s0, s[4:5], 0x34
	v_mov_b32_e32 v3, 0
	v_mov_b32_e32 v1, 0
	v_mov_b32_e32 v4, 0
	v_mov_b32_e32 v2, 0
	s_waitcnt lgkmcnt(0)
	s_bfe_u32 s0, s0, 0xa0006
	v_cmp_gt_u32_e32 vcc, s0, v0
	v_lshlrev_b32_e32 v7, 5, v5
	s_and_saveexec_b64 s[0:1], vcc
; %bb.31:
	ds_read_b64 v[1:2], v7
; %bb.32:
	s_or_b64 exec, exec, s[0:1]
	s_and_saveexec_b64 s[0:1], vcc
; %bb.33:
	ds_read_b64 v[3:4], v7 offset:8
; %bb.34:
	s_or_b64 exec, exec, s[0:1]
	v_mov_b32_e32 v5, 0
	v_mov_b32_e32 v6, 0
	s_and_saveexec_b64 s[0:1], vcc
	s_cbranch_execnz .LBB13_38
; %bb.35:
	s_or_b64 exec, exec, s[0:1]
	v_cmp_gt_u32_e32 vcc, 64, v0
	s_and_saveexec_b64 s[0:1], vcc
	s_cbranch_execnz .LBB13_39
.LBB13_36:
	s_or_b64 exec, exec, s[0:1]
	v_cmp_eq_u32_e32 vcc, 0, v0
	s_and_saveexec_b64 s[0:1], vcc
	s_cbranch_execnz .LBB13_64
.LBB13_37:
	s_endpgm
.LBB13_38:
	ds_read_b64 v[5:6], v7 offset:24
	s_or_b64 exec, exec, s[0:1]
	v_cmp_gt_u32_e32 vcc, 64, v0
	s_and_saveexec_b64 s[0:1], vcc
	s_cbranch_execz .LBB13_36
.LBB13_39:
	s_waitcnt lgkmcnt(0)
	v_cmp_neq_f64_e32 vcc, 0, v[5:6]
	ds_bpermute_b32 v7, v20, v1
	ds_bpermute_b32 v8, v20, v2
	;; [unrolled: 1-line block ×6, first 2 shown]
	s_and_saveexec_b64 s[2:3], vcc
	s_cbranch_execz .LBB13_43
; %bb.40:
	s_waitcnt lgkmcnt(0)
	v_cmp_neq_f64_e32 vcc, 0, v[11:12]
	s_and_saveexec_b64 s[8:9], vcc
	s_cbranch_execz .LBB13_42
; %bb.41:
	v_add_f64 v[13:14], v[5:6], v[11:12]
	v_add_f64 v[7:8], v[7:8], -v[1:2]
	v_add_f64 v[3:4], v[3:4], v[9:10]
	v_div_scale_f64 v[16:17], s[12:13], v[13:14], v[13:14], v[11:12]
	v_rcp_f64_e32 v[23:24], v[16:17]
	v_fma_f64 v[25:26], -v[16:17], v[23:24], 1.0
	v_fma_f64 v[23:24], v[23:24], v[25:26], v[23:24]
	v_div_scale_f64 v[25:26], vcc, v[11:12], v[13:14], v[11:12]
	v_fma_f64 v[27:28], -v[16:17], v[23:24], 1.0
	v_fma_f64 v[23:24], v[23:24], v[27:28], v[23:24]
	v_mul_f64 v[27:28], v[25:26], v[23:24]
	v_fma_f64 v[16:17], -v[16:17], v[27:28], v[25:26]
	v_div_fmas_f64 v[16:17], v[16:17], v[23:24], v[27:28]
	v_mul_f64 v[23:24], v[7:8], v[7:8]
	v_mul_f64 v[5:6], v[5:6], v[23:24]
	v_div_fixup_f64 v[9:10], v[16:17], v[13:14], v[11:12]
	v_fma_f64 v[1:2], v[7:8], v[9:10], v[1:2]
	v_fma_f64 v[3:4], v[5:6], v[9:10], v[3:4]
	v_mov_b32_e32 v5, v13
	v_mov_b32_e32 v6, v14
.LBB13_42:
	s_or_b64 exec, exec, s[8:9]
	v_mov_b32_e32 v12, v6
	v_mov_b32_e32 v10, v4
	;; [unrolled: 1-line block ×6, first 2 shown]
.LBB13_43:
	s_or_b64 exec, exec, s[2:3]
	s_waitcnt lgkmcnt(0)
	v_cmp_neq_f64_e32 vcc, 0, v[11:12]
	ds_bpermute_b32 v1, v21, v7
	ds_bpermute_b32 v2, v21, v8
	;; [unrolled: 1-line block ×6, first 2 shown]
	s_and_saveexec_b64 s[2:3], vcc
	s_cbranch_execz .LBB13_47
; %bb.44:
	s_waitcnt lgkmcnt(0)
	v_cmp_neq_f64_e32 vcc, 0, v[13:14]
	s_and_saveexec_b64 s[8:9], vcc
	s_cbranch_execz .LBB13_46
; %bb.45:
	v_add_f64 v[3:4], v[11:12], v[13:14]
	v_add_f64 v[1:2], v[1:2], -v[7:8]
	v_add_f64 v[5:6], v[9:10], v[5:6]
	v_div_scale_f64 v[16:17], s[12:13], v[3:4], v[3:4], v[13:14]
	v_rcp_f64_e32 v[20:21], v[16:17]
	v_fma_f64 v[23:24], -v[16:17], v[20:21], 1.0
	v_fma_f64 v[20:21], v[20:21], v[23:24], v[20:21]
	v_div_scale_f64 v[23:24], vcc, v[13:14], v[3:4], v[13:14]
	v_fma_f64 v[25:26], -v[16:17], v[20:21], 1.0
	v_fma_f64 v[20:21], v[20:21], v[25:26], v[20:21]
	v_mul_f64 v[25:26], v[23:24], v[20:21]
	v_fma_f64 v[16:17], -v[16:17], v[25:26], v[23:24]
	v_div_fmas_f64 v[16:17], v[16:17], v[20:21], v[25:26]
	v_mul_f64 v[20:21], v[1:2], v[1:2]
	v_mul_f64 v[11:12], v[11:12], v[20:21]
	v_div_fixup_f64 v[9:10], v[16:17], v[3:4], v[13:14]
	v_fma_f64 v[7:8], v[1:2], v[9:10], v[7:8]
	v_fma_f64 v[9:10], v[11:12], v[9:10], v[5:6]
	v_mov_b32_e32 v12, v4
	v_mov_b32_e32 v11, v3
.LBB13_46:
	s_or_b64 exec, exec, s[8:9]
	v_mov_b32_e32 v14, v12
	v_mov_b32_e32 v5, v9
	;; [unrolled: 1-line block ×6, first 2 shown]
.LBB13_47:
	s_or_b64 exec, exec, s[2:3]
	s_waitcnt lgkmcnt(0)
	v_cmp_neq_f64_e32 vcc, 0, v[13:14]
	ds_bpermute_b32 v3, v22, v1
	ds_bpermute_b32 v4, v22, v2
	ds_bpermute_b32 v7, v22, v5
	ds_bpermute_b32 v8, v22, v6
	ds_bpermute_b32 v9, v22, v13
	ds_bpermute_b32 v10, v22, v14
	s_and_saveexec_b64 s[2:3], vcc
	s_cbranch_execz .LBB13_51
; %bb.48:
	s_waitcnt lgkmcnt(0)
	v_cmp_neq_f64_e32 vcc, 0, v[9:10]
	s_and_saveexec_b64 s[8:9], vcc
	s_cbranch_execz .LBB13_50
; %bb.49:
	v_add_f64 v[11:12], v[13:14], v[9:10]
	v_add_f64 v[3:4], v[3:4], -v[1:2]
	v_add_f64 v[5:6], v[5:6], v[7:8]
	v_div_scale_f64 v[16:17], s[12:13], v[11:12], v[11:12], v[9:10]
	v_rcp_f64_e32 v[20:21], v[16:17]
	v_fma_f64 v[22:23], -v[16:17], v[20:21], 1.0
	v_fma_f64 v[20:21], v[20:21], v[22:23], v[20:21]
	v_div_scale_f64 v[22:23], vcc, v[9:10], v[11:12], v[9:10]
	v_fma_f64 v[24:25], -v[16:17], v[20:21], 1.0
	v_fma_f64 v[20:21], v[20:21], v[24:25], v[20:21]
	v_mul_f64 v[24:25], v[22:23], v[20:21]
	v_fma_f64 v[16:17], -v[16:17], v[24:25], v[22:23]
	v_div_fmas_f64 v[16:17], v[16:17], v[20:21], v[24:25]
	v_mul_f64 v[20:21], v[3:4], v[3:4]
	v_div_fixup_f64 v[7:8], v[16:17], v[11:12], v[9:10]
	v_mul_f64 v[9:10], v[13:14], v[20:21]
	v_mov_b32_e32 v14, v12
	v_mov_b32_e32 v13, v11
	v_fma_f64 v[1:2], v[3:4], v[7:8], v[1:2]
	v_fma_f64 v[5:6], v[9:10], v[7:8], v[5:6]
.LBB13_50:
	s_or_b64 exec, exec, s[8:9]
	v_mov_b32_e32 v9, v13
	v_mov_b32_e32 v8, v6
	;; [unrolled: 1-line block ×6, first 2 shown]
.LBB13_51:
	s_or_b64 exec, exec, s[2:3]
	s_waitcnt lgkmcnt(0)
	v_cmp_neq_f64_e32 vcc, 0, v[9:10]
	ds_bpermute_b32 v1, v18, v3
	ds_bpermute_b32 v2, v18, v4
	;; [unrolled: 1-line block ×6, first 2 shown]
	s_and_saveexec_b64 s[2:3], vcc
	s_cbranch_execz .LBB13_55
; %bb.52:
	s_waitcnt lgkmcnt(0)
	v_cmp_neq_f64_e32 vcc, 0, v[13:14]
	s_and_saveexec_b64 s[8:9], vcc
	s_cbranch_execz .LBB13_54
; %bb.53:
	v_add_f64 v[11:12], v[9:10], v[13:14]
	v_add_f64 v[1:2], v[1:2], -v[3:4]
	v_add_f64 v[5:6], v[7:8], v[5:6]
	v_div_scale_f64 v[16:17], s[12:13], v[11:12], v[11:12], v[13:14]
	v_rcp_f64_e32 v[20:21], v[16:17]
	v_fma_f64 v[22:23], -v[16:17], v[20:21], 1.0
	v_fma_f64 v[20:21], v[20:21], v[22:23], v[20:21]
	v_div_scale_f64 v[22:23], vcc, v[13:14], v[11:12], v[13:14]
	v_fma_f64 v[24:25], -v[16:17], v[20:21], 1.0
	v_fma_f64 v[20:21], v[20:21], v[24:25], v[20:21]
	v_mul_f64 v[24:25], v[22:23], v[20:21]
	v_fma_f64 v[16:17], -v[16:17], v[24:25], v[22:23]
	v_div_fmas_f64 v[16:17], v[16:17], v[20:21], v[24:25]
	v_mul_f64 v[20:21], v[1:2], v[1:2]
	v_mul_f64 v[9:10], v[9:10], v[20:21]
	v_div_fixup_f64 v[7:8], v[16:17], v[11:12], v[13:14]
	v_fma_f64 v[3:4], v[1:2], v[7:8], v[3:4]
	v_fma_f64 v[7:8], v[9:10], v[7:8], v[5:6]
	v_mov_b32_e32 v9, v11
	v_mov_b32_e32 v10, v12
.LBB13_54:
	s_or_b64 exec, exec, s[8:9]
	v_mov_b32_e32 v14, v10
	v_mov_b32_e32 v5, v7
	;; [unrolled: 1-line block ×6, first 2 shown]
.LBB13_55:
	s_or_b64 exec, exec, s[2:3]
	s_waitcnt lgkmcnt(0)
	v_cmp_neq_f64_e32 vcc, 0, v[13:14]
	ds_bpermute_b32 v7, v19, v1
	ds_bpermute_b32 v8, v19, v2
	;; [unrolled: 1-line block ×6, first 2 shown]
	s_and_saveexec_b64 s[2:3], vcc
	s_cbranch_execz .LBB13_59
; %bb.56:
	s_waitcnt lgkmcnt(0)
	v_cmp_neq_f64_e32 vcc, 0, v[11:12]
	s_and_saveexec_b64 s[8:9], vcc
	s_cbranch_execz .LBB13_58
; %bb.57:
	v_add_f64 v[3:4], v[13:14], v[11:12]
	v_add_f64 v[7:8], v[7:8], -v[1:2]
	v_add_f64 v[5:6], v[5:6], v[9:10]
	v_div_scale_f64 v[16:17], s[12:13], v[3:4], v[3:4], v[11:12]
	v_rcp_f64_e32 v[18:19], v[16:17]
	v_fma_f64 v[20:21], -v[16:17], v[18:19], 1.0
	v_fma_f64 v[18:19], v[18:19], v[20:21], v[18:19]
	v_div_scale_f64 v[20:21], vcc, v[11:12], v[3:4], v[11:12]
	v_fma_f64 v[22:23], -v[16:17], v[18:19], 1.0
	v_fma_f64 v[18:19], v[18:19], v[22:23], v[18:19]
	v_mul_f64 v[22:23], v[20:21], v[18:19]
	v_fma_f64 v[16:17], -v[16:17], v[22:23], v[20:21]
	v_div_fmas_f64 v[16:17], v[16:17], v[18:19], v[22:23]
	v_mul_f64 v[18:19], v[7:8], v[7:8]
	v_div_fixup_f64 v[9:10], v[16:17], v[3:4], v[11:12]
	v_mul_f64 v[11:12], v[13:14], v[18:19]
	v_mov_b32_e32 v14, v4
	v_mov_b32_e32 v13, v3
	v_fma_f64 v[1:2], v[7:8], v[9:10], v[1:2]
	v_fma_f64 v[5:6], v[11:12], v[9:10], v[5:6]
.LBB13_58:
	s_or_b64 exec, exec, s[8:9]
	v_mov_b32_e32 v11, v13
	v_mov_b32_e32 v10, v6
	;; [unrolled: 1-line block ×6, first 2 shown]
.LBB13_59:
	s_or_b64 exec, exec, s[2:3]
	s_waitcnt lgkmcnt(0)
	v_cmp_neq_f64_e32 vcc, 0, v[11:12]
	ds_bpermute_b32 v1, v15, v7
	ds_bpermute_b32 v2, v15, v8
	;; [unrolled: 1-line block ×6, first 2 shown]
	s_and_saveexec_b64 s[2:3], vcc
	s_cbranch_execz .LBB13_63
; %bb.60:
	s_waitcnt lgkmcnt(0)
	v_cmp_neq_f64_e32 vcc, 0, v[5:6]
	s_and_saveexec_b64 s[8:9], vcc
	s_cbranch_execz .LBB13_62
; %bb.61:
	v_add_f64 v[13:14], v[11:12], v[5:6]
	v_add_f64 v[1:2], v[1:2], -v[7:8]
	v_add_f64 v[3:4], v[9:10], v[3:4]
	v_div_scale_f64 v[15:16], s[12:13], v[13:14], v[13:14], v[5:6]
	v_rcp_f64_e32 v[17:18], v[15:16]
	v_fma_f64 v[19:20], -v[15:16], v[17:18], 1.0
	v_fma_f64 v[17:18], v[17:18], v[19:20], v[17:18]
	v_div_scale_f64 v[19:20], vcc, v[5:6], v[13:14], v[5:6]
	v_fma_f64 v[21:22], -v[15:16], v[17:18], 1.0
	v_fma_f64 v[17:18], v[17:18], v[21:22], v[17:18]
	v_mul_f64 v[21:22], v[19:20], v[17:18]
	v_fma_f64 v[15:16], -v[15:16], v[21:22], v[19:20]
	v_div_fmas_f64 v[15:16], v[15:16], v[17:18], v[21:22]
	v_mul_f64 v[17:18], v[1:2], v[1:2]
	v_mul_f64 v[9:10], v[11:12], v[17:18]
	v_mov_b32_e32 v11, v13
	v_mov_b32_e32 v12, v14
	v_div_fixup_f64 v[5:6], v[15:16], v[13:14], v[5:6]
	v_fma_f64 v[7:8], v[1:2], v[5:6], v[7:8]
	v_fma_f64 v[9:10], v[9:10], v[5:6], v[3:4]
.LBB13_62:
	s_or_b64 exec, exec, s[8:9]
	v_mov_b32_e32 v5, v11
	v_mov_b32_e32 v3, v9
	;; [unrolled: 1-line block ×6, first 2 shown]
.LBB13_63:
	s_or_b64 exec, exec, s[2:3]
	s_or_b64 exec, exec, s[0:1]
	v_cmp_eq_u32_e32 vcc, 0, v0
	s_and_saveexec_b64 s[0:1], vcc
	s_cbranch_execz .LBB13_37
.LBB13_64:
	s_waitcnt lgkmcnt(0)
	v_max_f64 v[5:6], v[5:6], v[5:6]
	s_lshl_b64 s[2:3], s[6:7], 3
	v_max_f64 v[5:6], v[5:6], 0
	v_div_scale_f64 v[7:8], s[0:1], v[5:6], v[5:6], v[3:4]
	s_mov_b32 s0, 0
	s_mov_b32 s1, 0x3fd80000
	v_rcp_f64_e32 v[9:10], v[7:8]
	v_fma_f64 v[11:12], -v[7:8], v[9:10], 1.0
	v_fma_f64 v[9:10], v[9:10], v[11:12], v[9:10]
	v_div_scale_f64 v[11:12], vcc, v[3:4], v[5:6], v[3:4]
	v_fma_f64 v[13:14], -v[7:8], v[9:10], 1.0
	v_fma_f64 v[9:10], v[9:10], v[13:14], v[9:10]
	v_mul_f64 v[13:14], v[11:12], v[9:10]
	v_fma_f64 v[7:8], -v[7:8], v[13:14], v[11:12]
	v_div_fmas_f64 v[7:8], v[7:8], v[9:10], v[13:14]
	v_div_fixup_f64 v[3:4], v[7:8], v[5:6], v[3:4]
	v_mov_b32_e32 v6, 0x180
	v_fma_f64 v[0:1], v[1:2], v[1:2], v[3:4]
	v_add_f64 v[0:1], s[10:11], v[0:1]
	v_rsq_f64_e32 v[2:3], v[0:1]
	v_mul_f64 v[0:1], v[2:3], -v[0:1]
	v_cmp_class_f64_e32 vcc, v[2:3], v6
	v_fma_f64 v[0:1], v[0:1], v[2:3], 1.0
	v_mul_f64 v[4:5], v[2:3], v[0:1]
	v_fma_f64 v[0:1], v[0:1], s[0:1], 0.5
	s_load_dwordx2 s[0:1], s[4:5], 0x20
	s_waitcnt lgkmcnt(0)
	s_add_u32 s0, s0, s2
	s_addc_u32 s1, s1, s3
	v_fma_f64 v[0:1], v[4:5], v[0:1], v[2:3]
	v_cndmask_b32_e32 v1, v3, v1, vcc
	v_cndmask_b32_e32 v0, v2, v0, vcc
	v_mov_b32_e32 v2, 0
	global_store_dwordx2 v2, v[0:1], s[0:1]
	s_endpgm
	.section	.rodata,"a",@progbits
	.p2align	6, 0x0
	.amdhsa_kernel _ZN2at6native12_GLOBAL__N_124RowwiseMomentsCUDAKernelIddLb1EEEvlT0_PKT_PS3_S7_
		.amdhsa_group_segment_fixed_size 2048
		.amdhsa_private_segment_fixed_size 0
		.amdhsa_kernarg_size 296
		.amdhsa_user_sgpr_count 6
		.amdhsa_user_sgpr_private_segment_buffer 1
		.amdhsa_user_sgpr_dispatch_ptr 0
		.amdhsa_user_sgpr_queue_ptr 0
		.amdhsa_user_sgpr_kernarg_segment_ptr 1
		.amdhsa_user_sgpr_dispatch_id 0
		.amdhsa_user_sgpr_flat_scratch_init 0
		.amdhsa_user_sgpr_private_segment_size 0
		.amdhsa_uses_dynamic_stack 0
		.amdhsa_system_sgpr_private_segment_wavefront_offset 0
		.amdhsa_system_sgpr_workgroup_id_x 1
		.amdhsa_system_sgpr_workgroup_id_y 0
		.amdhsa_system_sgpr_workgroup_id_z 0
		.amdhsa_system_sgpr_workgroup_info 0
		.amdhsa_system_vgpr_workitem_id 0
		.amdhsa_next_free_vgpr 31
		.amdhsa_next_free_sgpr 61
		.amdhsa_reserve_vcc 1
		.amdhsa_reserve_flat_scratch 0
		.amdhsa_float_round_mode_32 0
		.amdhsa_float_round_mode_16_64 0
		.amdhsa_float_denorm_mode_32 3
		.amdhsa_float_denorm_mode_16_64 3
		.amdhsa_dx10_clamp 1
		.amdhsa_ieee_mode 1
		.amdhsa_fp16_overflow 0
		.amdhsa_exception_fp_ieee_invalid_op 0
		.amdhsa_exception_fp_denorm_src 0
		.amdhsa_exception_fp_ieee_div_zero 0
		.amdhsa_exception_fp_ieee_overflow 0
		.amdhsa_exception_fp_ieee_underflow 0
		.amdhsa_exception_fp_ieee_inexact 0
		.amdhsa_exception_int_div_zero 0
	.end_amdhsa_kernel
	.section	.text._ZN2at6native12_GLOBAL__N_124RowwiseMomentsCUDAKernelIddLb1EEEvlT0_PKT_PS3_S7_,"axG",@progbits,_ZN2at6native12_GLOBAL__N_124RowwiseMomentsCUDAKernelIddLb1EEEvlT0_PKT_PS3_S7_,comdat
.Lfunc_end13:
	.size	_ZN2at6native12_GLOBAL__N_124RowwiseMomentsCUDAKernelIddLb1EEEvlT0_PKT_PS3_S7_, .Lfunc_end13-_ZN2at6native12_GLOBAL__N_124RowwiseMomentsCUDAKernelIddLb1EEEvlT0_PKT_PS3_S7_
                                        ; -- End function
	.set _ZN2at6native12_GLOBAL__N_124RowwiseMomentsCUDAKernelIddLb1EEEvlT0_PKT_PS3_S7_.num_vgpr, 31
	.set _ZN2at6native12_GLOBAL__N_124RowwiseMomentsCUDAKernelIddLb1EEEvlT0_PKT_PS3_S7_.num_agpr, 0
	.set _ZN2at6native12_GLOBAL__N_124RowwiseMomentsCUDAKernelIddLb1EEEvlT0_PKT_PS3_S7_.numbered_sgpr, 18
	.set _ZN2at6native12_GLOBAL__N_124RowwiseMomentsCUDAKernelIddLb1EEEvlT0_PKT_PS3_S7_.num_named_barrier, 0
	.set _ZN2at6native12_GLOBAL__N_124RowwiseMomentsCUDAKernelIddLb1EEEvlT0_PKT_PS3_S7_.private_seg_size, 0
	.set _ZN2at6native12_GLOBAL__N_124RowwiseMomentsCUDAKernelIddLb1EEEvlT0_PKT_PS3_S7_.uses_vcc, 1
	.set _ZN2at6native12_GLOBAL__N_124RowwiseMomentsCUDAKernelIddLb1EEEvlT0_PKT_PS3_S7_.uses_flat_scratch, 0
	.set _ZN2at6native12_GLOBAL__N_124RowwiseMomentsCUDAKernelIddLb1EEEvlT0_PKT_PS3_S7_.has_dyn_sized_stack, 0
	.set _ZN2at6native12_GLOBAL__N_124RowwiseMomentsCUDAKernelIddLb1EEEvlT0_PKT_PS3_S7_.has_recursion, 0
	.set _ZN2at6native12_GLOBAL__N_124RowwiseMomentsCUDAKernelIddLb1EEEvlT0_PKT_PS3_S7_.has_indirect_call, 0
	.section	.AMDGPU.csdata,"",@progbits
; Kernel info:
; codeLenInByte = 4280
; TotalNumSgprs: 22
; NumVgprs: 31
; ScratchSize: 0
; MemoryBound: 0
; FloatMode: 240
; IeeeMode: 1
; LDSByteSize: 2048 bytes/workgroup (compile time only)
; SGPRBlocks: 8
; VGPRBlocks: 7
; NumSGPRsForWavesPerEU: 65
; NumVGPRsForWavesPerEU: 31
; Occupancy: 8
; WaveLimiterHint : 0
; COMPUTE_PGM_RSRC2:SCRATCH_EN: 0
; COMPUTE_PGM_RSRC2:USER_SGPR: 6
; COMPUTE_PGM_RSRC2:TRAP_HANDLER: 0
; COMPUTE_PGM_RSRC2:TGID_X_EN: 1
; COMPUTE_PGM_RSRC2:TGID_Y_EN: 0
; COMPUTE_PGM_RSRC2:TGID_Z_EN: 0
; COMPUTE_PGM_RSRC2:TIDIG_COMP_CNT: 0
	.section	.text._ZN2at6native12_GLOBAL__N_126LayerNormForwardCUDAKernelIddLb1EEEvlPKT_PKT0_S8_S5_S5_PS3_,"axG",@progbits,_ZN2at6native12_GLOBAL__N_126LayerNormForwardCUDAKernelIddLb1EEEvlPKT_PKT0_S8_S5_S5_PS3_,comdat
	.globl	_ZN2at6native12_GLOBAL__N_126LayerNormForwardCUDAKernelIddLb1EEEvlPKT_PKT0_S8_S5_S5_PS3_ ; -- Begin function _ZN2at6native12_GLOBAL__N_126LayerNormForwardCUDAKernelIddLb1EEEvlPKT_PKT0_S8_S5_S5_PS3_
	.p2align	8
	.type	_ZN2at6native12_GLOBAL__N_126LayerNormForwardCUDAKernelIddLb1EEEvlPKT_PKT0_S8_S5_S5_PS3_,@function
_ZN2at6native12_GLOBAL__N_126LayerNormForwardCUDAKernelIddLb1EEEvlPKT_PKT0_S8_S5_S5_PS3_: ; @_ZN2at6native12_GLOBAL__N_126LayerNormForwardCUDAKernelIddLb1EEEvlPKT_PKT0_S8_S5_S5_PS3_
; %bb.0:
	s_load_dwordx4 s[8:11], s[4:5], 0x0
	v_mov_b32_e32 v1, 0
	s_waitcnt lgkmcnt(0)
	v_cmp_gt_i64_e32 vcc, s[8:9], v[0:1]
	s_and_saveexec_b64 s[0:1], vcc
	s_cbranch_execz .LBB14_6
; %bb.1:
	s_load_dwordx4 s[12:15], s[4:5], 0x18
	s_load_dwordx2 s[0:1], s[4:5], 0x30
	s_mov_b32 s7, 0
	s_load_dword s18, s[4:5], 0x44
	s_mov_b64 s[16:17], 0
	s_waitcnt lgkmcnt(0)
	s_cmp_lg_u64 s[14:15], 0
	s_cselect_b64 s[2:3], -1, 0
	s_lshl_b64 s[4:5], s[6:7], 3
	s_add_u32 s4, s12, s4
	s_addc_u32 s5, s13, s5
	s_mul_i32 s12, s9, s6
	s_mul_hi_u32 s13, s8, s6
	s_add_i32 s13, s13, s12
	s_mul_i32 s12, s8, s6
	s_and_b32 s7, s18, 0xffff
	s_lshl_b64 s[12:13], s[12:13], 3
	s_add_u32 s6, s10, s12
	s_addc_u32 s18, s11, s13
	s_lshl_b32 s10, s7, 3
	s_add_u32 s11, s0, s12
	v_cndmask_b32_e64 v2, 0, 1, s[2:3]
	s_addc_u32 s12, s1, s13
	v_cmp_ne_u32_e64 s[0:1], 1, v2
	v_mov_b32_e32 v3, v1
	v_lshlrev_b32_e32 v6, 3, v0
	v_mov_b32_e32 v7, v1
	v_mov_b32_e32 v8, s18
	;; [unrolled: 1-line block ×4, first 2 shown]
	s_branch .LBB14_4
.LBB14_2:                               ;   in Loop: Header=BB14_4 Depth=1
	v_mov_b32_e32 v0, s15
	v_add_co_u32_e32 v4, vcc, s14, v6
	v_addc_co_u32_e32 v5, vcc, v0, v7, vcc
	global_load_dwordx2 v[4:5], v[4:5], off
.LBB14_3:                               ;   in Loop: Header=BB14_4 Depth=1
	v_add_co_u32_e32 v10, vcc, s6, v6
	v_addc_co_u32_e32 v11, vcc, v8, v7, vcc
	global_load_dwordx2 v[12:13], v1, s[4:5]
	global_load_dwordx2 v[14:15], v[10:11], off
	v_add_co_u32_e32 v2, vcc, s7, v2
	v_addc_co_u32_e32 v3, vcc, 0, v3, vcc
	v_cmp_le_i64_e32 vcc, s[8:9], v[2:3]
	s_or_b64 s[16:17], vcc, s[16:17]
	s_waitcnt vmcnt(0)
	v_mul_f64 v[10:11], v[14:15], v[12:13]
	v_mul_f64 v[4:5], v[4:5], v[10:11]
	v_add_co_u32_e64 v10, s[2:3], s11, v6
	v_add_co_u32_e32 v6, vcc, s10, v6
	v_addc_co_u32_e64 v11, s[2:3], v9, v7, s[2:3]
	v_addc_co_u32_e32 v7, vcc, 0, v7, vcc
	global_store_dwordx2 v[10:11], v[4:5], off
	s_andn2_b64 exec, exec, s[16:17]
	s_cbranch_execz .LBB14_6
.LBB14_4:                               ; =>This Inner Loop Header: Depth=1
	s_and_b64 vcc, exec, s[0:1]
	s_cbranch_vccz .LBB14_2
; %bb.5:                                ;   in Loop: Header=BB14_4 Depth=1
	v_mov_b32_e32 v4, 0
	v_mov_b32_e32 v5, 0x3ff00000
	s_branch .LBB14_3
.LBB14_6:
	s_endpgm
	.section	.rodata,"a",@progbits
	.p2align	6, 0x0
	.amdhsa_kernel _ZN2at6native12_GLOBAL__N_126LayerNormForwardCUDAKernelIddLb1EEEvlPKT_PKT0_S8_S5_S5_PS3_
		.amdhsa_group_segment_fixed_size 0
		.amdhsa_private_segment_fixed_size 0
		.amdhsa_kernarg_size 312
		.amdhsa_user_sgpr_count 6
		.amdhsa_user_sgpr_private_segment_buffer 1
		.amdhsa_user_sgpr_dispatch_ptr 0
		.amdhsa_user_sgpr_queue_ptr 0
		.amdhsa_user_sgpr_kernarg_segment_ptr 1
		.amdhsa_user_sgpr_dispatch_id 0
		.amdhsa_user_sgpr_flat_scratch_init 0
		.amdhsa_user_sgpr_private_segment_size 0
		.amdhsa_uses_dynamic_stack 0
		.amdhsa_system_sgpr_private_segment_wavefront_offset 0
		.amdhsa_system_sgpr_workgroup_id_x 1
		.amdhsa_system_sgpr_workgroup_id_y 0
		.amdhsa_system_sgpr_workgroup_id_z 0
		.amdhsa_system_sgpr_workgroup_info 0
		.amdhsa_system_vgpr_workitem_id 0
		.amdhsa_next_free_vgpr 16
		.amdhsa_next_free_sgpr 19
		.amdhsa_reserve_vcc 1
		.amdhsa_reserve_flat_scratch 0
		.amdhsa_float_round_mode_32 0
		.amdhsa_float_round_mode_16_64 0
		.amdhsa_float_denorm_mode_32 3
		.amdhsa_float_denorm_mode_16_64 3
		.amdhsa_dx10_clamp 1
		.amdhsa_ieee_mode 1
		.amdhsa_fp16_overflow 0
		.amdhsa_exception_fp_ieee_invalid_op 0
		.amdhsa_exception_fp_denorm_src 0
		.amdhsa_exception_fp_ieee_div_zero 0
		.amdhsa_exception_fp_ieee_overflow 0
		.amdhsa_exception_fp_ieee_underflow 0
		.amdhsa_exception_fp_ieee_inexact 0
		.amdhsa_exception_int_div_zero 0
	.end_amdhsa_kernel
	.section	.text._ZN2at6native12_GLOBAL__N_126LayerNormForwardCUDAKernelIddLb1EEEvlPKT_PKT0_S8_S5_S5_PS3_,"axG",@progbits,_ZN2at6native12_GLOBAL__N_126LayerNormForwardCUDAKernelIddLb1EEEvlPKT_PKT0_S8_S5_S5_PS3_,comdat
.Lfunc_end14:
	.size	_ZN2at6native12_GLOBAL__N_126LayerNormForwardCUDAKernelIddLb1EEEvlPKT_PKT0_S8_S5_S5_PS3_, .Lfunc_end14-_ZN2at6native12_GLOBAL__N_126LayerNormForwardCUDAKernelIddLb1EEEvlPKT_PKT0_S8_S5_S5_PS3_
                                        ; -- End function
	.set _ZN2at6native12_GLOBAL__N_126LayerNormForwardCUDAKernelIddLb1EEEvlPKT_PKT0_S8_S5_S5_PS3_.num_vgpr, 16
	.set _ZN2at6native12_GLOBAL__N_126LayerNormForwardCUDAKernelIddLb1EEEvlPKT_PKT0_S8_S5_S5_PS3_.num_agpr, 0
	.set _ZN2at6native12_GLOBAL__N_126LayerNormForwardCUDAKernelIddLb1EEEvlPKT_PKT0_S8_S5_S5_PS3_.numbered_sgpr, 19
	.set _ZN2at6native12_GLOBAL__N_126LayerNormForwardCUDAKernelIddLb1EEEvlPKT_PKT0_S8_S5_S5_PS3_.num_named_barrier, 0
	.set _ZN2at6native12_GLOBAL__N_126LayerNormForwardCUDAKernelIddLb1EEEvlPKT_PKT0_S8_S5_S5_PS3_.private_seg_size, 0
	.set _ZN2at6native12_GLOBAL__N_126LayerNormForwardCUDAKernelIddLb1EEEvlPKT_PKT0_S8_S5_S5_PS3_.uses_vcc, 1
	.set _ZN2at6native12_GLOBAL__N_126LayerNormForwardCUDAKernelIddLb1EEEvlPKT_PKT0_S8_S5_S5_PS3_.uses_flat_scratch, 0
	.set _ZN2at6native12_GLOBAL__N_126LayerNormForwardCUDAKernelIddLb1EEEvlPKT_PKT0_S8_S5_S5_PS3_.has_dyn_sized_stack, 0
	.set _ZN2at6native12_GLOBAL__N_126LayerNormForwardCUDAKernelIddLb1EEEvlPKT_PKT0_S8_S5_S5_PS3_.has_recursion, 0
	.set _ZN2at6native12_GLOBAL__N_126LayerNormForwardCUDAKernelIddLb1EEEvlPKT_PKT0_S8_S5_S5_PS3_.has_indirect_call, 0
	.section	.AMDGPU.csdata,"",@progbits
; Kernel info:
; codeLenInByte = 324
; TotalNumSgprs: 23
; NumVgprs: 16
; ScratchSize: 0
; MemoryBound: 0
; FloatMode: 240
; IeeeMode: 1
; LDSByteSize: 0 bytes/workgroup (compile time only)
; SGPRBlocks: 2
; VGPRBlocks: 3
; NumSGPRsForWavesPerEU: 23
; NumVGPRsForWavesPerEU: 16
; Occupancy: 10
; WaveLimiterHint : 0
; COMPUTE_PGM_RSRC2:SCRATCH_EN: 0
; COMPUTE_PGM_RSRC2:USER_SGPR: 6
; COMPUTE_PGM_RSRC2:TRAP_HANDLER: 0
; COMPUTE_PGM_RSRC2:TGID_X_EN: 1
; COMPUTE_PGM_RSRC2:TGID_Y_EN: 0
; COMPUTE_PGM_RSRC2:TGID_Z_EN: 0
; COMPUTE_PGM_RSRC2:TIDIG_COMP_CNT: 0
	.section	.text._ZN2at6native12_GLOBAL__N_128vectorized_layer_norm_kernelIffLb1EEEviT0_PKT_S6_S6_PS3_S7_PS4_,"axG",@progbits,_ZN2at6native12_GLOBAL__N_128vectorized_layer_norm_kernelIffLb1EEEviT0_PKT_S6_S6_PS3_S7_PS4_,comdat
	.globl	_ZN2at6native12_GLOBAL__N_128vectorized_layer_norm_kernelIffLb1EEEviT0_PKT_S6_S6_PS3_S7_PS4_ ; -- Begin function _ZN2at6native12_GLOBAL__N_128vectorized_layer_norm_kernelIffLb1EEEviT0_PKT_S6_S6_PS3_S7_PS4_
	.p2align	8
	.type	_ZN2at6native12_GLOBAL__N_128vectorized_layer_norm_kernelIffLb1EEEviT0_PKT_S6_S6_PS3_S7_PS4_,@function
_ZN2at6native12_GLOBAL__N_128vectorized_layer_norm_kernelIffLb1EEEviT0_PKT_S6_S6_PS3_S7_PS4_: ; @_ZN2at6native12_GLOBAL__N_128vectorized_layer_norm_kernelIffLb1EEEviT0_PKT_S6_S6_PS3_S7_PS4_
; %bb.0:
	s_load_dwordx4 s[8:11], s[4:5], 0x0
	s_load_dword s0, s[4:5], 0x44
	s_mov_b32 s7, 0
	v_mov_b32_e32 v4, 0
	s_waitcnt lgkmcnt(0)
	s_ashr_i32 s1, s8, 31
	s_lshr_b32 s16, s0, 16
	s_and_b32 s0, s0, 0xffff
	s_mul_i32 s20, s16, s0
	v_mul_u32_u24_e32 v2, s0, v1
	v_mad_u32_u24 v10, v1, s0, v0
	s_lshr_b32 s0, s1, 30
	s_add_i32 s0, s8, s0
	s_mul_hi_u32 s2, s8, s6
	s_mul_i32 s3, s1, s6
	s_ashr_i32 s24, s0, 2
	s_add_i32 s23, s2, s3
	s_mul_i32 s22, s8, s6
	v_cmp_gt_i32_e64 s[0:1], s24, v10
	v_add_lshl_u32 v11, v2, v0, 4
	s_and_saveexec_b64 s[2:3], s[0:1]
	s_cbranch_execz .LBB15_4
; %bb.1:
	s_lshl_b64 s[12:13], s[22:23], 2
	s_add_u32 s12, s10, s12
	s_addc_u32 s13, s11, s13
	v_mov_b32_e32 v2, s13
	v_add_co_u32_e32 v3, vcc, s12, v11
	v_addc_co_u32_e32 v5, vcc, 0, v2, vcc
	s_ashr_i32 s21, s20, 31
	v_add_co_u32_e32 v2, vcc, 8, v3
	s_lshl_b64 s[14:15], s[20:21], 4
	v_mov_b32_e32 v4, 0
	v_addc_co_u32_e32 v3, vcc, 0, v5, vcc
	s_mov_b64 s[12:13], 0
	v_mov_b32_e32 v5, s15
	v_mov_b32_e32 v6, v10
.LBB15_2:                               ; =>This Inner Loop Header: Depth=1
	global_load_dwordx4 v[12:15], v[2:3], off offset:-8
	v_add_co_u32_e32 v2, vcc, s14, v2
	v_add_u32_e32 v6, s20, v6
	v_addc_co_u32_e32 v3, vcc, v3, v5, vcc
	v_cmp_le_i32_e32 vcc, s24, v6
	s_or_b64 s[12:13], vcc, s[12:13]
	s_waitcnt vmcnt(0)
	v_fmac_f32_e32 v4, v12, v12
	v_fmac_f32_e32 v4, v13, v13
	;; [unrolled: 1-line block ×4, first 2 shown]
	s_andn2_b64 exec, exec, s[12:13]
	s_cbranch_execnz .LBB15_2
; %bb.3:
	s_or_b64 exec, exec, s[12:13]
.LBB15_4:
	s_or_b64 exec, exec, s[2:3]
	v_mbcnt_lo_u32_b32 v2, -1, 0
	v_mbcnt_hi_u32_b32 v2, -1, v2
	v_lshlrev_b32_e32 v3, 2, v2
	v_or_b32_e32 v5, 0x80, v3
	ds_bpermute_b32 v5, v5, v4
	v_and_b32_e32 v6, 63, v2
	v_cmp_gt_u32_e32 vcc, 48, v6
	v_cndmask_b32_e64 v7, 0, 16, vcc
	v_add_lshl_u32 v7, v7, v2, 2
	s_waitcnt lgkmcnt(0)
	v_add_f32_e32 v4, v4, v5
	ds_bpermute_b32 v5, v7, v4
	v_cmp_gt_u32_e32 vcc, 56, v6
	v_cndmask_b32_e64 v7, 0, 8, vcc
	v_add_lshl_u32 v7, v7, v2, 2
	v_cmp_gt_u32_e32 vcc, 60, v6
	s_waitcnt lgkmcnt(0)
	v_add_f32_e32 v4, v4, v5
	ds_bpermute_b32 v5, v7, v4
	v_cndmask_b32_e64 v7, 0, 4, vcc
	v_add_lshl_u32 v7, v7, v2, 2
	v_cmp_gt_u32_e32 vcc, 62, v6
	s_cmp_lt_u32 s16, 2
	s_waitcnt lgkmcnt(0)
	v_add_f32_e32 v4, v4, v5
	ds_bpermute_b32 v5, v7, v4
	v_cndmask_b32_e64 v7, 0, 2, vcc
	v_add_lshl_u32 v7, v7, v2, 2
	v_cmp_ne_u32_e32 vcc, 63, v6
	v_addc_co_u32_e32 v2, vcc, 0, v2, vcc
	s_waitcnt lgkmcnt(0)
	v_add_f32_e32 v4, v4, v5
	ds_bpermute_b32 v5, v7, v4
	v_lshlrev_b32_e32 v2, 2, v2
	s_waitcnt lgkmcnt(0)
	v_add_f32_e32 v4, v4, v5
	ds_bpermute_b32 v2, v2, v4
	s_waitcnt lgkmcnt(0)
	v_add_f32_e32 v2, v4, v2
	s_cbranch_scc0 .LBB15_6
; %bb.5:
	v_and_b32_e32 v3, 0x100, v3
	ds_bpermute_b32 v3, v3, v2
	v_cvt_f32_i32_e32 v4, s8
	s_waitcnt lgkmcnt(0)
	v_div_scale_f32 v5, s[2:3], v4, v4, v3
	v_div_scale_f32 v6, vcc, v3, v4, v3
	v_rcp_f32_e32 v7, v5
	v_fma_f32 v8, -v5, v7, 1.0
	v_fmac_f32_e32 v7, v8, v7
	v_mul_f32_e32 v8, v6, v7
	v_fma_f32 v9, -v5, v8, v6
	v_fmac_f32_e32 v8, v9, v7
	v_fma_f32 v5, -v5, v8, v6
	v_div_fmas_f32 v5, v5, v7, v8
	v_div_fixup_f32 v9, v5, v4, v3
	v_mov_b32_e32 v8, 0
	s_cbranch_execz .LBB15_7
	s_branch .LBB15_17
.LBB15_6:
                                        ; implicit-def: $vgpr9
	v_mov_b32_e32 v8, 0
.LBB15_7:
	s_lshl_b32 s2, s16, 2
	v_lshlrev_b32_e32 v3, 3, v1
	s_add_i32 s12, s2, 0
	v_cmp_eq_u32_e32 vcc, 0, v0
	v_add_u32_e32 v3, 0, v3
	v_mov_b32_e32 v4, 0
.LBB15_8:                               ; =>This Inner Loop Header: Depth=1
	s_lshr_b32 s13, s16, 1
	v_cmp_le_u32_e64 s[2:3], s13, v1
	s_and_b64 s[14:15], vcc, s[2:3]
	s_and_b32 s2, s16, 0xfffe
	v_cmp_gt_u32_e64 s[2:3], s2, v1
	s_and_b64 s[14:15], s[14:15], s[2:3]
	s_and_saveexec_b64 s[2:3], s[14:15]
	s_cbranch_execz .LBB15_10
; %bb.9:                                ;   in Loop: Header=BB15_8 Depth=1
	v_subrev_u32_e32 v5, s13, v1
	v_lshl_add_u32 v6, v5, 2, s12
	v_lshl_add_u32 v5, v5, 3, 0
	ds_write2_b32 v5, v4, v2 offset1:1
	ds_write_b32 v6, v4
.LBB15_10:                              ;   in Loop: Header=BB15_8 Depth=1
	s_or_b64 exec, exec, s[2:3]
	v_cmp_gt_u32_e64 s[2:3], s13, v1
	s_and_b64 s[14:15], vcc, s[2:3]
	s_waitcnt lgkmcnt(0)
	s_barrier
	s_and_saveexec_b64 s[2:3], s[14:15]
	s_cbranch_execz .LBB15_12
; %bb.11:                               ;   in Loop: Header=BB15_8 Depth=1
	ds_read_b32 v5, v3 offset:4
	s_waitcnt lgkmcnt(0)
	v_add_f32_e32 v2, v2, v5
.LBB15_12:                              ;   in Loop: Header=BB15_8 Depth=1
	s_or_b64 exec, exec, s[2:3]
	s_cmp_lt_u32 s16, 4
	s_barrier
	s_cbranch_scc1 .LBB15_14
; %bb.13:                               ;   in Loop: Header=BB15_8 Depth=1
	s_mov_b32 s16, s13
	s_branch .LBB15_8
.LBB15_14:
	v_or_b32_e32 v0, v0, v1
	v_cmp_eq_u32_e32 vcc, 0, v0
	s_and_saveexec_b64 s[2:3], vcc
	s_cbranch_execz .LBB15_16
; %bb.15:
	v_cvt_f32_i32_e32 v0, s8
	v_div_scale_f32 v1, s[12:13], v0, v0, v2
	v_div_scale_f32 v3, vcc, v2, v0, v2
	v_rcp_f32_e32 v4, v1
	v_fma_f32 v5, -v1, v4, 1.0
	v_fmac_f32_e32 v4, v5, v4
	v_mul_f32_e32 v5, v3, v4
	v_fma_f32 v6, -v1, v5, v3
	v_fmac_f32_e32 v5, v6, v4
	v_fma_f32 v1, -v1, v5, v3
	v_div_fmas_f32 v1, v1, v4, v5
	v_div_fixup_f32 v0, v1, v0, v2
	v_mov_b32_e32 v1, 0
	ds_write2_b32 v1, v1, v0 offset1:1
.LBB15_16:
	s_or_b64 exec, exec, s[2:3]
	v_mov_b32_e32 v0, 0
	s_waitcnt lgkmcnt(0)
	s_barrier
	ds_read2_b32 v[8:9], v0 offset1:1
.LBB15_17:
	s_waitcnt lgkmcnt(0)
	v_add_f32_e32 v0, s9, v9
	s_mov_b32 s2, 0x800000
	v_mul_f32_e32 v1, 0x4b800000, v0
	v_cmp_gt_f32_e32 vcc, s2, v0
	v_cndmask_b32_e32 v0, v0, v1, vcc
	v_rsq_f32_e32 v0, v0
	s_load_dwordx4 s[12:15], s[4:5], 0x28
	v_mul_f32_e32 v1, 0x45800000, v0
	v_cndmask_b32_e32 v9, v0, v1, vcc
	s_and_saveexec_b64 s[2:3], s[0:1]
	s_cbranch_execz .LBB15_32
; %bb.18:
	s_load_dwordx4 s[16:19], s[4:5], 0x10
	s_mov_b64 s[4:5], 0
	v_mov_b32_e32 v12, v10
	s_waitcnt lgkmcnt(0)
	s_cmp_eq_u64 s[16:17], 0
	s_cselect_b64 s[8:9], -1, 0
	s_cmp_eq_u64 s[18:19], 0
	s_cselect_b64 s[0:1], -1, 0
	s_lshl_b64 s[22:23], s[22:23], 2
	s_add_u32 s25, s14, s22
	s_addc_u32 s26, s15, s23
	s_add_u32 s27, s10, s22
	v_cndmask_b32_e64 v0, 0, 1, s[0:1]
	s_addc_u32 s28, s11, s23
	s_ashr_i32 s21, s20, 31
	s_or_b64 s[10:11], s[8:9], s[0:1]
	s_lshl_b64 s[14:15], s[20:21], 4
	v_cmp_ne_u32_e64 s[0:1], 1, v0
	s_branch .LBB15_20
.LBB15_19:                              ;   in Loop: Header=BB15_20 Depth=1
	s_waitcnt vmcnt(0)
	v_add_co_u32_e32 v0, vcc, s25, v11
	s_add_u32 s25, s25, s14
	v_mov_b32_e32 v1, s26
	s_addc_u32 s26, s26, s15
	s_add_u32 s27, s27, s14
	s_addc_u32 s28, s28, s15
	s_add_u32 s18, s18, s14
	s_addc_u32 s19, s19, s15
	v_addc_co_u32_e32 v1, vcc, 0, v1, vcc
	v_add_u32_e32 v12, s20, v12
	s_add_u32 s16, s16, s14
	s_addc_u32 s17, s17, s15
	v_cmp_le_i32_e32 vcc, s24, v12
	s_or_b64 s[4:5], vcc, s[4:5]
	global_store_dwordx4 v[0:1], v[4:7], off
	s_andn2_b64 exec, exec, s[4:5]
	s_cbranch_execz .LBB15_32
.LBB15_20:                              ; =>This Inner Loop Header: Depth=1
	v_mov_b32_e32 v1, s28
	v_add_co_u32_e32 v0, vcc, s27, v11
	v_addc_co_u32_e32 v1, vcc, 0, v1, vcc
	global_load_dwordx4 v[0:3], v[0:1], off
	s_mov_b64 s[22:23], -1
	s_and_b64 vcc, exec, s[10:11]
                                        ; implicit-def: $vgpr4
	s_cbranch_vccz .LBB15_30
; %bb.21:                               ;   in Loop: Header=BB15_20 Depth=1
	s_and_b64 vcc, exec, s[8:9]
                                        ; implicit-def: $vgpr4
	s_cbranch_vccz .LBB15_27
; %bb.22:                               ;   in Loop: Header=BB15_20 Depth=1
	s_and_b64 vcc, exec, s[0:1]
                                        ; implicit-def: $vgpr4
	s_cbranch_vccnz .LBB15_24
; %bb.23:                               ;   in Loop: Header=BB15_20 Depth=1
	s_waitcnt vmcnt(0)
	v_mul_f32_e32 v4, v9, v0
	v_mul_f32_e32 v5, v9, v1
	;; [unrolled: 1-line block ×4, first 2 shown]
	s_mov_b64 s[22:23], 0
.LBB15_24:                              ;   in Loop: Header=BB15_20 Depth=1
	s_andn2_b64 vcc, exec, s[22:23]
	s_cbranch_vccnz .LBB15_26
; %bb.25:                               ;   in Loop: Header=BB15_20 Depth=1
	v_mov_b32_e32 v5, s19
	v_add_co_u32_e32 v4, vcc, s18, v11
	v_addc_co_u32_e32 v5, vcc, 0, v5, vcc
	global_load_dwordx4 v[4:7], v[4:5], off
	s_waitcnt vmcnt(1)
	v_sub_f32_e32 v13, v0, v8
	v_sub_f32_e32 v14, v1, v8
	;; [unrolled: 1-line block ×4, first 2 shown]
	s_waitcnt vmcnt(0)
	v_fma_f32 v4, v9, v13, v4
	v_fma_f32 v5, v9, v14, v5
	;; [unrolled: 1-line block ×3, first 2 shown]
	v_fmac_f32_e32 v7, v9, v16
.LBB15_26:                              ;   in Loop: Header=BB15_20 Depth=1
	s_mov_b64 s[22:23], 0
.LBB15_27:                              ;   in Loop: Header=BB15_20 Depth=1
	s_andn2_b64 vcc, exec, s[22:23]
	s_cbranch_vccnz .LBB15_29
; %bb.28:                               ;   in Loop: Header=BB15_20 Depth=1
	v_mov_b32_e32 v5, s17
	v_add_co_u32_e32 v4, vcc, s16, v11
	v_addc_co_u32_e32 v5, vcc, 0, v5, vcc
	global_load_dwordx4 v[4:7], v[4:5], off
	s_waitcnt vmcnt(1)
	v_mul_f32_e32 v13, v9, v0
	v_mul_f32_e32 v14, v9, v1
	;; [unrolled: 1-line block ×4, first 2 shown]
	s_waitcnt vmcnt(0)
	v_mul_f32_e32 v4, v13, v4
	v_mul_f32_e32 v5, v14, v5
	;; [unrolled: 1-line block ×4, first 2 shown]
.LBB15_29:                              ;   in Loop: Header=BB15_20 Depth=1
	s_mov_b64 s[22:23], 0
.LBB15_30:                              ;   in Loop: Header=BB15_20 Depth=1
	s_andn2_b64 vcc, exec, s[22:23]
	s_cbranch_vccnz .LBB15_19
; %bb.31:                               ;   in Loop: Header=BB15_20 Depth=1
	v_mov_b32_e32 v5, s17
	v_add_co_u32_e32 v4, vcc, s16, v11
	v_addc_co_u32_e32 v5, vcc, 0, v5, vcc
	global_load_dwordx4 v[4:7], v[4:5], off
	s_waitcnt vmcnt(1)
	v_mul_f32_e32 v0, v9, v0
	v_mul_f32_e32 v1, v9, v1
	;; [unrolled: 1-line block ×4, first 2 shown]
	s_waitcnt vmcnt(0)
	v_mul_f32_e32 v4, v0, v4
	v_mul_f32_e32 v5, v1, v5
	;; [unrolled: 1-line block ×4, first 2 shown]
	s_branch .LBB15_19
.LBB15_32:
	s_or_b64 exec, exec, s[2:3]
	v_cmp_eq_u32_e32 vcc, 0, v10
	s_and_saveexec_b64 s[0:1], vcc
	s_cbranch_execz .LBB15_34
; %bb.33:
	s_lshl_b64 s[0:1], s[6:7], 2
	s_waitcnt lgkmcnt(0)
	s_add_u32 s0, s12, s0
	s_addc_u32 s1, s13, s1
	v_mov_b32_e32 v0, 0
	global_store_dword v0, v9, s[0:1]
.LBB15_34:
	s_endpgm
	.section	.rodata,"a",@progbits
	.p2align	6, 0x0
	.amdhsa_kernel _ZN2at6native12_GLOBAL__N_128vectorized_layer_norm_kernelIffLb1EEEviT0_PKT_S6_S6_PS3_S7_PS4_
		.amdhsa_group_segment_fixed_size 0
		.amdhsa_private_segment_fixed_size 0
		.amdhsa_kernarg_size 312
		.amdhsa_user_sgpr_count 6
		.amdhsa_user_sgpr_private_segment_buffer 1
		.amdhsa_user_sgpr_dispatch_ptr 0
		.amdhsa_user_sgpr_queue_ptr 0
		.amdhsa_user_sgpr_kernarg_segment_ptr 1
		.amdhsa_user_sgpr_dispatch_id 0
		.amdhsa_user_sgpr_flat_scratch_init 0
		.amdhsa_user_sgpr_private_segment_size 0
		.amdhsa_uses_dynamic_stack 0
		.amdhsa_system_sgpr_private_segment_wavefront_offset 0
		.amdhsa_system_sgpr_workgroup_id_x 1
		.amdhsa_system_sgpr_workgroup_id_y 0
		.amdhsa_system_sgpr_workgroup_id_z 0
		.amdhsa_system_sgpr_workgroup_info 0
		.amdhsa_system_vgpr_workitem_id 1
		.amdhsa_next_free_vgpr 17
		.amdhsa_next_free_sgpr 29
		.amdhsa_reserve_vcc 1
		.amdhsa_reserve_flat_scratch 0
		.amdhsa_float_round_mode_32 0
		.amdhsa_float_round_mode_16_64 0
		.amdhsa_float_denorm_mode_32 3
		.amdhsa_float_denorm_mode_16_64 3
		.amdhsa_dx10_clamp 1
		.amdhsa_ieee_mode 1
		.amdhsa_fp16_overflow 0
		.amdhsa_exception_fp_ieee_invalid_op 0
		.amdhsa_exception_fp_denorm_src 0
		.amdhsa_exception_fp_ieee_div_zero 0
		.amdhsa_exception_fp_ieee_overflow 0
		.amdhsa_exception_fp_ieee_underflow 0
		.amdhsa_exception_fp_ieee_inexact 0
		.amdhsa_exception_int_div_zero 0
	.end_amdhsa_kernel
	.section	.text._ZN2at6native12_GLOBAL__N_128vectorized_layer_norm_kernelIffLb1EEEviT0_PKT_S6_S6_PS3_S7_PS4_,"axG",@progbits,_ZN2at6native12_GLOBAL__N_128vectorized_layer_norm_kernelIffLb1EEEviT0_PKT_S6_S6_PS3_S7_PS4_,comdat
.Lfunc_end15:
	.size	_ZN2at6native12_GLOBAL__N_128vectorized_layer_norm_kernelIffLb1EEEviT0_PKT_S6_S6_PS3_S7_PS4_, .Lfunc_end15-_ZN2at6native12_GLOBAL__N_128vectorized_layer_norm_kernelIffLb1EEEviT0_PKT_S6_S6_PS3_S7_PS4_
                                        ; -- End function
	.set _ZN2at6native12_GLOBAL__N_128vectorized_layer_norm_kernelIffLb1EEEviT0_PKT_S6_S6_PS3_S7_PS4_.num_vgpr, 17
	.set _ZN2at6native12_GLOBAL__N_128vectorized_layer_norm_kernelIffLb1EEEviT0_PKT_S6_S6_PS3_S7_PS4_.num_agpr, 0
	.set _ZN2at6native12_GLOBAL__N_128vectorized_layer_norm_kernelIffLb1EEEviT0_PKT_S6_S6_PS3_S7_PS4_.numbered_sgpr, 29
	.set _ZN2at6native12_GLOBAL__N_128vectorized_layer_norm_kernelIffLb1EEEviT0_PKT_S6_S6_PS3_S7_PS4_.num_named_barrier, 0
	.set _ZN2at6native12_GLOBAL__N_128vectorized_layer_norm_kernelIffLb1EEEviT0_PKT_S6_S6_PS3_S7_PS4_.private_seg_size, 0
	.set _ZN2at6native12_GLOBAL__N_128vectorized_layer_norm_kernelIffLb1EEEviT0_PKT_S6_S6_PS3_S7_PS4_.uses_vcc, 1
	.set _ZN2at6native12_GLOBAL__N_128vectorized_layer_norm_kernelIffLb1EEEviT0_PKT_S6_S6_PS3_S7_PS4_.uses_flat_scratch, 0
	.set _ZN2at6native12_GLOBAL__N_128vectorized_layer_norm_kernelIffLb1EEEviT0_PKT_S6_S6_PS3_S7_PS4_.has_dyn_sized_stack, 0
	.set _ZN2at6native12_GLOBAL__N_128vectorized_layer_norm_kernelIffLb1EEEviT0_PKT_S6_S6_PS3_S7_PS4_.has_recursion, 0
	.set _ZN2at6native12_GLOBAL__N_128vectorized_layer_norm_kernelIffLb1EEEviT0_PKT_S6_S6_PS3_S7_PS4_.has_indirect_call, 0
	.section	.AMDGPU.csdata,"",@progbits
; Kernel info:
; codeLenInByte = 1452
; TotalNumSgprs: 33
; NumVgprs: 17
; ScratchSize: 0
; MemoryBound: 0
; FloatMode: 240
; IeeeMode: 1
; LDSByteSize: 0 bytes/workgroup (compile time only)
; SGPRBlocks: 4
; VGPRBlocks: 4
; NumSGPRsForWavesPerEU: 33
; NumVGPRsForWavesPerEU: 17
; Occupancy: 10
; WaveLimiterHint : 0
; COMPUTE_PGM_RSRC2:SCRATCH_EN: 0
; COMPUTE_PGM_RSRC2:USER_SGPR: 6
; COMPUTE_PGM_RSRC2:TRAP_HANDLER: 0
; COMPUTE_PGM_RSRC2:TGID_X_EN: 1
; COMPUTE_PGM_RSRC2:TGID_Y_EN: 0
; COMPUTE_PGM_RSRC2:TGID_Z_EN: 0
; COMPUTE_PGM_RSRC2:TIDIG_COMP_CNT: 1
	.section	.text._ZN2at6native12_GLOBAL__N_124RowwiseMomentsCUDAKernelIffLb1EEEvlT0_PKT_PS3_S7_,"axG",@progbits,_ZN2at6native12_GLOBAL__N_124RowwiseMomentsCUDAKernelIffLb1EEEvlT0_PKT_PS3_S7_,comdat
	.globl	_ZN2at6native12_GLOBAL__N_124RowwiseMomentsCUDAKernelIffLb1EEEvlT0_PKT_PS3_S7_ ; -- Begin function _ZN2at6native12_GLOBAL__N_124RowwiseMomentsCUDAKernelIffLb1EEEvlT0_PKT_PS3_S7_
	.p2align	8
	.type	_ZN2at6native12_GLOBAL__N_124RowwiseMomentsCUDAKernelIffLb1EEEvlT0_PKT_PS3_S7_,@function
_ZN2at6native12_GLOBAL__N_124RowwiseMomentsCUDAKernelIffLb1EEEvlT0_PKT_PS3_S7_: ; @_ZN2at6native12_GLOBAL__N_124RowwiseMomentsCUDAKernelIffLb1EEEvlT0_PKT_PS3_S7_
; %bb.0:
	s_load_dwordx2 s[0:1], s[4:5], 0x0
	v_mov_b32_e32 v1, 0
	v_mov_b32_e32 v2, 0
	s_mov_b32 s7, 0
	v_mov_b32_e32 v3, 0
	s_waitcnt lgkmcnt(0)
	v_cmp_gt_i64_e32 vcc, s[0:1], v[0:1]
	v_mov_b32_e32 v8, v1
	v_mov_b32_e32 v9, v1
	s_and_saveexec_b64 s[2:3], vcc
	s_cbranch_execz .LBB16_4
; %bb.1:
	s_load_dword s10, s[4:5], 0x34
	s_load_dwordx2 s[8:9], s[4:5], 0x10
	s_mul_i32 s11, s1, s6
	s_mul_hi_u32 s12, s0, s6
	s_add_i32 s11, s12, s11
	s_waitcnt lgkmcnt(0)
	s_and_b32 s12, s10, 0xffff
	s_mul_i32 s10, s0, s6
	s_lshl_b64 s[10:11], s[10:11], 2
	s_add_u32 s8, s8, s10
	v_lshlrev_b32_e32 v2, 2, v0
	s_addc_u32 s9, s9, s11
	v_mov_b32_e32 v3, s9
	v_add_co_u32_e32 v4, vcc, s8, v2
	v_mov_b32_e32 v7, v1
	v_mov_b32_e32 v8, 0
	v_addc_co_u32_e32 v5, vcc, 0, v3, vcc
	s_lshl_b32 s13, s12, 2
	s_mov_b64 s[8:9], 0
	v_mov_b32_e32 v6, v0
	s_mov_b64 s[10:11], 0
	v_mov_b32_e32 v9, 0
.LBB16_2:                               ; =>This Inner Loop Header: Depth=1
	global_load_dword v10, v[4:5], off
	s_add_u32 s10, s10, 1
	s_addc_u32 s11, s11, 0
	s_flbit_i32_b32 s14, s11
	s_min_u32 s16, s14, 32
	s_lshl_b64 s[14:15], s[10:11], s16
	s_min_u32 s14, s14, 1
	s_or_b32 s14, s15, s14
	v_cvt_f32_u32_e32 v1, s14
	s_sub_i32 s16, 32, s16
	v_ldexp_f32 v1, v1, s16
	s_waitcnt vmcnt(0)
	v_sub_f32_e32 v11, v10, v9
	v_div_scale_f32 v2, s[14:15], v1, v1, v11
	v_div_scale_f32 v3, vcc, v11, v1, v11
	v_rcp_f32_e32 v12, v2
	v_fma_f32 v13, -v2, v12, 1.0
	v_fmac_f32_e32 v12, v13, v12
	v_mul_f32_e32 v13, v3, v12
	v_fma_f32 v14, -v2, v13, v3
	v_fmac_f32_e32 v13, v14, v12
	v_fma_f32 v2, -v2, v13, v3
	v_div_fmas_f32 v12, v2, v12, v13
	v_add_co_u32_e32 v6, vcc, s12, v6
	v_addc_co_u32_e32 v7, vcc, 0, v7, vcc
	v_add_co_u32_e32 v4, vcc, s13, v4
	v_addc_co_u32_e32 v5, vcc, 0, v5, vcc
	v_cmp_le_i64_e32 vcc, s[0:1], v[6:7]
	v_mov_b32_e32 v2, s10
	v_mov_b32_e32 v3, s11
	s_or_b64 s[8:9], vcc, s[8:9]
	v_div_fixup_f32 v12, v12, v1, v11
	v_add_f32_e32 v9, v9, v12
	v_sub_f32_e32 v10, v10, v9
	v_fmac_f32_e32 v8, v11, v10
	s_andn2_b64 exec, exec, s[8:9]
	s_cbranch_execnz .LBB16_2
; %bb.3:
	s_or_b64 exec, exec, s[8:9]
.LBB16_4:
	s_or_b64 exec, exec, s[2:3]
	v_mbcnt_lo_u32_b32 v4, -1, 0
	v_mbcnt_hi_u32_b32 v6, -1, v4
	v_mov_b32_e32 v4, 0x80
	v_lshl_or_b32 v7, v6, 2, v4
	ds_bpermute_b32 v13, v7, v9
	ds_bpermute_b32 v10, v7, v8
	;; [unrolled: 1-line block ×5, first 2 shown]
	v_cmp_neq_f32_e32 vcc, 0, v1
	s_and_saveexec_b64 s[0:1], vcc
	s_cbranch_execz .LBB16_8
; %bb.5:
	s_waitcnt lgkmcnt(0)
	v_cmp_neq_f32_e32 vcc, 0, v14
	s_and_saveexec_b64 s[2:3], vcc
	s_cbranch_execz .LBB16_7
; %bb.6:
	v_add_f32_e32 v4, v1, v14
	v_div_scale_f32 v2, s[8:9], v4, v4, v14
	v_div_scale_f32 v3, vcc, v14, v4, v14
	v_add_f32_e32 v8, v8, v10
	v_rcp_f32_e32 v5, v2
	v_fma_f32 v11, -v2, v5, 1.0
	v_fmac_f32_e32 v5, v11, v5
	v_mul_f32_e32 v11, v3, v5
	v_fma_f32 v12, -v2, v11, v3
	v_fmac_f32_e32 v11, v12, v5
	v_fma_f32 v2, -v2, v11, v3
	v_div_fmas_f32 v5, v2, v5, v11
	v_sub_f32_e32 v11, v13, v9
	v_mul_f32_e32 v10, v11, v11
	v_mov_b32_e32 v2, -1
	v_mul_f32_e32 v1, v1, v10
	v_mov_b32_e32 v3, -1
	v_div_fixup_f32 v5, v5, v4, v14
	v_fmac_f32_e32 v9, v11, v5
	v_fmac_f32_e32 v8, v1, v5
	v_mov_b32_e32 v1, v4
.LBB16_7:
	s_or_b64 exec, exec, s[2:3]
	v_mov_b32_e32 v5, v3
	v_mov_b32_e32 v14, v1
	;; [unrolled: 1-line block ×5, first 2 shown]
.LBB16_8:
	s_or_b64 exec, exec, s[0:1]
	v_and_b32_e32 v12, 63, v6
	v_cmp_gt_u32_e32 vcc, 48, v12
	v_cndmask_b32_e64 v1, 0, 16, vcc
	v_add_lshl_u32 v8, v1, v6, 2
	s_waitcnt lgkmcnt(4)
	ds_bpermute_b32 v15, v8, v13
	s_waitcnt lgkmcnt(4)
	ds_bpermute_b32 v11, v8, v10
	s_waitcnt lgkmcnt(4)
	ds_bpermute_b32 v1, v8, v4
	s_waitcnt lgkmcnt(4)
	ds_bpermute_b32 v2, v8, v5
	s_waitcnt lgkmcnt(4)
	ds_bpermute_b32 v16, v8, v14
	v_cmp_neq_f32_e32 vcc, 0, v14
	s_and_saveexec_b64 s[0:1], vcc
	s_cbranch_execz .LBB16_12
; %bb.9:
	s_waitcnt lgkmcnt(0)
	v_cmp_neq_f32_e32 vcc, 0, v16
	s_and_saveexec_b64 s[2:3], vcc
	s_cbranch_execz .LBB16_11
; %bb.10:
	v_add_f32_e32 v1, v14, v16
	v_div_scale_f32 v2, s[8:9], v1, v1, v16
	v_div_scale_f32 v3, vcc, v16, v1, v16
	v_add_f32_e32 v10, v10, v11
	v_rcp_f32_e32 v4, v2
	v_fma_f32 v5, -v2, v4, 1.0
	v_fmac_f32_e32 v4, v5, v4
	v_mul_f32_e32 v5, v3, v4
	v_fma_f32 v9, -v2, v5, v3
	v_fmac_f32_e32 v5, v9, v4
	v_fma_f32 v2, -v2, v5, v3
	v_div_fmas_f32 v2, v2, v4, v5
	v_sub_f32_e32 v3, v15, v13
	v_mul_f32_e32 v9, v3, v3
	v_mov_b32_e32 v4, -1
	v_mul_f32_e32 v9, v14, v9
	v_mov_b32_e32 v5, -1
	v_mov_b32_e32 v14, v1
	v_div_fixup_f32 v2, v2, v1, v16
	v_fmac_f32_e32 v13, v3, v2
	v_fmac_f32_e32 v10, v9, v2
.LBB16_11:
	s_or_b64 exec, exec, s[2:3]
	v_mov_b32_e32 v1, v4
	v_mov_b32_e32 v16, v14
	v_mov_b32_e32 v2, v5
	v_mov_b32_e32 v11, v10
	v_mov_b32_e32 v15, v13
.LBB16_12:
	s_or_b64 exec, exec, s[0:1]
	v_cmp_gt_u32_e32 vcc, 56, v12
	v_cndmask_b32_e64 v3, 0, 8, vcc
	v_add_lshl_u32 v9, v3, v6, 2
	s_waitcnt lgkmcnt(4)
	ds_bpermute_b32 v14, v9, v15
	s_waitcnt lgkmcnt(4)
	ds_bpermute_b32 v5, v9, v11
	s_waitcnt lgkmcnt(4)
	ds_bpermute_b32 v3, v9, v1
	s_waitcnt lgkmcnt(4)
	ds_bpermute_b32 v4, v9, v2
	s_waitcnt lgkmcnt(4)
	ds_bpermute_b32 v17, v9, v16
	v_cmp_neq_f32_e32 vcc, 0, v16
	s_and_saveexec_b64 s[0:1], vcc
	s_cbranch_execz .LBB16_16
; %bb.13:
	s_waitcnt lgkmcnt(0)
	v_cmp_neq_f32_e32 vcc, 0, v17
	s_and_saveexec_b64 s[2:3], vcc
	s_cbranch_execz .LBB16_15
; %bb.14:
	v_add_f32_e32 v3, v16, v17
	v_div_scale_f32 v1, s[8:9], v3, v3, v17
	v_div_scale_f32 v2, vcc, v17, v3, v17
	v_add_f32_e32 v11, v11, v5
	v_rcp_f32_e32 v4, v1
	v_fma_f32 v10, -v1, v4, 1.0
	v_fmac_f32_e32 v4, v10, v4
	v_mul_f32_e32 v10, v2, v4
	v_fma_f32 v13, -v1, v10, v2
	v_fmac_f32_e32 v10, v13, v4
	v_fma_f32 v1, -v1, v10, v2
	v_div_fmas_f32 v4, v1, v4, v10
	v_sub_f32_e32 v10, v14, v15
	v_mul_f32_e32 v5, v10, v10
	v_mov_b32_e32 v1, -1
	v_mul_f32_e32 v5, v16, v5
	v_mov_b32_e32 v2, -1
	v_mov_b32_e32 v16, v3
	v_div_fixup_f32 v4, v4, v3, v17
	v_fmac_f32_e32 v15, v10, v4
	v_fmac_f32_e32 v11, v5, v4
.LBB16_15:
	s_or_b64 exec, exec, s[2:3]
	v_mov_b32_e32 v4, v2
	v_mov_b32_e32 v17, v16
	v_mov_b32_e32 v3, v1
	v_mov_b32_e32 v5, v11
	v_mov_b32_e32 v14, v15
.LBB16_16:
	s_or_b64 exec, exec, s[0:1]
	;; [unrolled: 52-line block ×4, first 2 shown]
	v_cmp_ne_u32_e32 vcc, 63, v12
	v_addc_co_u32_e32 v1, vcc, 0, v6, vcc
	v_lshlrev_b32_e32 v12, 2, v1
	s_waitcnt lgkmcnt(4)
	ds_bpermute_b32 v1, v12, v16
	s_waitcnt lgkmcnt(4)
	ds_bpermute_b32 v2, v12, v14
	;; [unrolled: 2-line block ×5, first 2 shown]
	v_cmp_neq_f32_e32 vcc, 0, v17
	s_and_saveexec_b64 s[0:1], vcc
	s_cbranch_execz .LBB16_28
; %bb.25:
	s_waitcnt lgkmcnt(0)
	v_cmp_neq_f32_e32 vcc, 0, v13
	s_and_saveexec_b64 s[2:3], vcc
	s_cbranch_execz .LBB16_27
; %bb.26:
	v_add_f32_e32 v5, v17, v13
	v_div_scale_f32 v3, s[8:9], v5, v5, v13
	v_div_scale_f32 v4, vcc, v13, v5, v13
	v_sub_f32_e32 v1, v1, v16
	v_add_f32_e32 v14, v14, v2
	v_mul_f32_e32 v2, v1, v1
	v_mul_f32_e32 v2, v17, v2
	v_mov_b32_e32 v17, v5
	v_rcp_f32_e32 v6, v3
	v_fma_f32 v15, -v3, v6, 1.0
	v_fmac_f32_e32 v6, v15, v6
	v_mul_f32_e32 v15, v4, v6
	v_fma_f32 v18, -v3, v15, v4
	v_fmac_f32_e32 v15, v18, v6
	v_fma_f32 v3, -v3, v15, v4
	v_div_fmas_f32 v6, v3, v6, v15
	v_mov_b32_e32 v3, -1
	v_mov_b32_e32 v4, -1
	v_div_fixup_f32 v6, v6, v5, v13
	v_fmac_f32_e32 v16, v1, v6
	v_fmac_f32_e32 v14, v2, v6
.LBB16_27:
	s_or_b64 exec, exec, s[2:3]
	v_mov_b32_e32 v6, v4
	v_mov_b32_e32 v13, v17
	;; [unrolled: 1-line block ×5, first 2 shown]
.LBB16_28:
	s_or_b64 exec, exec, s[0:1]
	v_and_b32_e32 v3, 63, v0
	v_cmp_eq_u32_e32 vcc, 0, v3
	s_waitcnt lgkmcnt(0)
	s_barrier
	s_and_saveexec_b64 s[0:1], vcc
	s_cbranch_execz .LBB16_30
; %bb.29:
	v_lshrrev_b32_e32 v4, 6, v0
	v_mul_u32_u24_e32 v4, 24, v4
	ds_write2_b64 v4, v[1:2], v[5:6] offset1:1
	ds_write_b32 v4, v13 offset:16
.LBB16_30:
	s_or_b64 exec, exec, s[0:1]
	s_waitcnt lgkmcnt(0)
	s_barrier
	s_load_dword s0, s[4:5], 0x34
	v_mul_u32_u24_e32 v4, 24, v3
	v_mov_b32_e32 v1, 0
	v_mov_b32_e32 v2, 0
	s_waitcnt lgkmcnt(0)
	s_bfe_u32 s0, s0, 0xa0006
	v_cmp_gt_u32_e32 vcc, s0, v0
	s_and_saveexec_b64 s[0:1], vcc
	s_cbranch_execnz .LBB16_36
; %bb.31:
	s_or_b64 exec, exec, s[0:1]
	s_and_saveexec_b64 s[0:1], vcc
	s_cbranch_execnz .LBB16_37
.LBB16_32:
	s_or_b64 exec, exec, s[0:1]
	v_mov_b32_e32 v3, 0
	s_and_saveexec_b64 s[0:1], vcc
	s_cbranch_execnz .LBB16_38
.LBB16_33:
	s_or_b64 exec, exec, s[0:1]
	v_cmp_gt_u32_e32 vcc, 64, v0
	s_and_saveexec_b64 s[0:1], vcc
	s_cbranch_execnz .LBB16_39
.LBB16_34:
	s_or_b64 exec, exec, s[0:1]
	v_cmp_eq_u32_e32 vcc, 0, v0
	s_and_saveexec_b64 s[0:1], vcc
	s_cbranch_execnz .LBB16_64
.LBB16_35:
	s_endpgm
.LBB16_36:
	ds_read_b32 v2, v4
	s_or_b64 exec, exec, s[0:1]
	s_and_saveexec_b64 s[0:1], vcc
	s_cbranch_execz .LBB16_32
.LBB16_37:
	ds_read_b32 v1, v4 offset:4
	s_or_b64 exec, exec, s[0:1]
	v_mov_b32_e32 v3, 0
	s_and_saveexec_b64 s[0:1], vcc
	s_cbranch_execz .LBB16_33
.LBB16_38:
	ds_read_b32 v3, v4 offset:16
	s_or_b64 exec, exec, s[0:1]
	v_cmp_gt_u32_e32 vcc, 64, v0
	s_and_saveexec_b64 s[0:1], vcc
	s_cbranch_execz .LBB16_34
.LBB16_39:
	s_waitcnt lgkmcnt(0)
	ds_bpermute_b32 v5, v7, v2
	ds_bpermute_b32 v4, v7, v1
	;; [unrolled: 1-line block ×3, first 2 shown]
	v_cmp_neq_f32_e32 vcc, 0, v3
	s_and_saveexec_b64 s[2:3], vcc
	s_cbranch_execz .LBB16_43
; %bb.40:
	s_waitcnt lgkmcnt(0)
	v_cmp_neq_f32_e32 vcc, 0, v6
	s_and_saveexec_b64 s[8:9], vcc
	s_cbranch_execz .LBB16_42
; %bb.41:
	v_add_f32_e32 v7, v3, v6
	v_div_scale_f32 v13, s[10:11], v7, v7, v6
	v_div_scale_f32 v14, vcc, v6, v7, v6
	v_sub_f32_e32 v5, v5, v2
	v_add_f32_e32 v1, v1, v4
	v_mul_f32_e32 v4, v5, v5
	v_mul_f32_e32 v3, v3, v4
	v_rcp_f32_e32 v15, v13
	v_fma_f32 v16, -v13, v15, 1.0
	v_fmac_f32_e32 v15, v16, v15
	v_mul_f32_e32 v16, v14, v15
	v_fma_f32 v17, -v13, v16, v14
	v_fmac_f32_e32 v16, v17, v15
	v_fma_f32 v13, -v13, v16, v14
	v_div_fmas_f32 v13, v13, v15, v16
	v_div_fixup_f32 v4, v13, v7, v6
	v_fmac_f32_e32 v2, v5, v4
	v_fmac_f32_e32 v1, v3, v4
	v_mov_b32_e32 v3, v7
.LBB16_42:
	s_or_b64 exec, exec, s[8:9]
	v_mov_b32_e32 v6, v3
	v_mov_b32_e32 v4, v1
	;; [unrolled: 1-line block ×3, first 2 shown]
.LBB16_43:
	s_or_b64 exec, exec, s[2:3]
	s_waitcnt lgkmcnt(2)
	ds_bpermute_b32 v3, v8, v5
	s_waitcnt lgkmcnt(2)
	ds_bpermute_b32 v1, v8, v4
	;; [unrolled: 2-line block ×3, first 2 shown]
	v_cmp_neq_f32_e32 vcc, 0, v6
	s_and_saveexec_b64 s[2:3], vcc
	s_cbranch_execz .LBB16_47
; %bb.44:
	s_waitcnt lgkmcnt(0)
	v_cmp_neq_f32_e32 vcc, 0, v7
	s_and_saveexec_b64 s[8:9], vcc
	s_cbranch_execz .LBB16_46
; %bb.45:
	v_add_f32_e32 v2, v6, v7
	v_div_scale_f32 v8, s[10:11], v2, v2, v7
	v_div_scale_f32 v13, vcc, v7, v2, v7
	v_sub_f32_e32 v3, v3, v5
	v_add_f32_e32 v4, v4, v1
	v_mul_f32_e32 v1, v3, v3
	v_mul_f32_e32 v1, v6, v1
	v_rcp_f32_e32 v14, v8
	v_fma_f32 v15, -v8, v14, 1.0
	v_fmac_f32_e32 v14, v15, v14
	v_mul_f32_e32 v15, v13, v14
	v_fma_f32 v16, -v8, v15, v13
	v_fmac_f32_e32 v15, v16, v14
	v_fma_f32 v8, -v8, v15, v13
	v_div_fmas_f32 v8, v8, v14, v15
	v_div_fixup_f32 v6, v8, v2, v7
	v_fmac_f32_e32 v5, v3, v6
	v_fmac_f32_e32 v4, v1, v6
	v_mov_b32_e32 v6, v2
.LBB16_46:
	s_or_b64 exec, exec, s[8:9]
	v_mov_b32_e32 v7, v6
	v_mov_b32_e32 v1, v4
	;; [unrolled: 1-line block ×3, first 2 shown]
.LBB16_47:
	s_or_b64 exec, exec, s[2:3]
	s_waitcnt lgkmcnt(2)
	ds_bpermute_b32 v4, v9, v3
	s_waitcnt lgkmcnt(2)
	ds_bpermute_b32 v2, v9, v1
	;; [unrolled: 2-line block ×3, first 2 shown]
	v_cmp_neq_f32_e32 vcc, 0, v7
	s_and_saveexec_b64 s[2:3], vcc
	s_cbranch_execz .LBB16_51
; %bb.48:
	s_waitcnt lgkmcnt(0)
	v_cmp_neq_f32_e32 vcc, 0, v5
	s_and_saveexec_b64 s[8:9], vcc
	s_cbranch_execz .LBB16_50
; %bb.49:
	v_add_f32_e32 v6, v7, v5
	v_div_scale_f32 v8, s[10:11], v6, v6, v5
	v_div_scale_f32 v9, vcc, v5, v6, v5
	v_sub_f32_e32 v4, v4, v3
	v_add_f32_e32 v1, v1, v2
	v_mul_f32_e32 v2, v4, v4
	v_mul_f32_e32 v2, v7, v2
	v_mov_b32_e32 v7, v6
	v_rcp_f32_e32 v13, v8
	v_fma_f32 v14, -v8, v13, 1.0
	v_fmac_f32_e32 v13, v14, v13
	v_mul_f32_e32 v14, v9, v13
	v_fma_f32 v15, -v8, v14, v9
	v_fmac_f32_e32 v14, v15, v13
	v_fma_f32 v8, -v8, v14, v9
	v_div_fmas_f32 v8, v8, v13, v14
	v_div_fixup_f32 v5, v8, v6, v5
	v_fmac_f32_e32 v3, v4, v5
	v_fmac_f32_e32 v1, v2, v5
.LBB16_50:
	s_or_b64 exec, exec, s[8:9]
	v_mov_b32_e32 v5, v7
	v_mov_b32_e32 v2, v1
	;; [unrolled: 1-line block ×3, first 2 shown]
.LBB16_51:
	s_or_b64 exec, exec, s[2:3]
	s_waitcnt lgkmcnt(2)
	ds_bpermute_b32 v3, v10, v4
	s_waitcnt lgkmcnt(2)
	ds_bpermute_b32 v1, v10, v2
	;; [unrolled: 2-line block ×3, first 2 shown]
	v_cmp_neq_f32_e32 vcc, 0, v5
	s_and_saveexec_b64 s[2:3], vcc
	s_cbranch_execz .LBB16_55
; %bb.52:
	s_waitcnt lgkmcnt(0)
	v_cmp_neq_f32_e32 vcc, 0, v7
	s_and_saveexec_b64 s[8:9], vcc
	s_cbranch_execz .LBB16_54
; %bb.53:
	v_add_f32_e32 v6, v5, v7
	v_div_scale_f32 v8, s[10:11], v6, v6, v7
	v_div_scale_f32 v9, vcc, v7, v6, v7
	v_sub_f32_e32 v3, v3, v4
	v_add_f32_e32 v2, v2, v1
	v_mul_f32_e32 v1, v3, v3
	v_mul_f32_e32 v1, v5, v1
	v_rcp_f32_e32 v10, v8
	v_fma_f32 v13, -v8, v10, 1.0
	v_fmac_f32_e32 v10, v13, v10
	v_mul_f32_e32 v13, v9, v10
	v_fma_f32 v14, -v8, v13, v9
	v_fmac_f32_e32 v13, v14, v10
	v_fma_f32 v8, -v8, v13, v9
	v_div_fmas_f32 v8, v8, v10, v13
	v_div_fixup_f32 v5, v8, v6, v7
	v_fmac_f32_e32 v4, v3, v5
	v_fmac_f32_e32 v2, v1, v5
	v_mov_b32_e32 v5, v6
.LBB16_54:
	s_or_b64 exec, exec, s[8:9]
	v_mov_b32_e32 v7, v5
	v_mov_b32_e32 v1, v2
	;; [unrolled: 1-line block ×3, first 2 shown]
.LBB16_55:
	s_or_b64 exec, exec, s[2:3]
	s_waitcnt lgkmcnt(2)
	ds_bpermute_b32 v6, v11, v3
	s_waitcnt lgkmcnt(2)
	ds_bpermute_b32 v4, v11, v1
	;; [unrolled: 2-line block ×3, first 2 shown]
	v_cmp_neq_f32_e32 vcc, 0, v7
	s_and_saveexec_b64 s[2:3], vcc
	s_cbranch_execz .LBB16_59
; %bb.56:
	s_waitcnt lgkmcnt(0)
	v_cmp_neq_f32_e32 vcc, 0, v5
	s_and_saveexec_b64 s[8:9], vcc
	s_cbranch_execz .LBB16_58
; %bb.57:
	v_add_f32_e32 v2, v7, v5
	v_div_scale_f32 v8, s[10:11], v2, v2, v5
	v_div_scale_f32 v9, vcc, v5, v2, v5
	v_sub_f32_e32 v6, v6, v3
	v_add_f32_e32 v1, v1, v4
	v_mul_f32_e32 v4, v6, v6
	v_mul_f32_e32 v4, v7, v4
	v_mov_b32_e32 v7, v2
	v_rcp_f32_e32 v10, v8
	v_fma_f32 v11, -v8, v10, 1.0
	v_fmac_f32_e32 v10, v11, v10
	v_mul_f32_e32 v11, v9, v10
	v_fma_f32 v13, -v8, v11, v9
	v_fmac_f32_e32 v11, v13, v10
	v_fma_f32 v8, -v8, v11, v9
	v_div_fmas_f32 v8, v8, v10, v11
	v_div_fixup_f32 v5, v8, v2, v5
	v_fmac_f32_e32 v3, v6, v5
	v_fmac_f32_e32 v1, v4, v5
.LBB16_58:
	s_or_b64 exec, exec, s[8:9]
	v_mov_b32_e32 v5, v7
	v_mov_b32_e32 v4, v1
	;; [unrolled: 1-line block ×3, first 2 shown]
.LBB16_59:
	s_or_b64 exec, exec, s[2:3]
	s_waitcnt lgkmcnt(2)
	ds_bpermute_b32 v2, v12, v6
	s_waitcnt lgkmcnt(2)
	ds_bpermute_b32 v1, v12, v4
	;; [unrolled: 2-line block ×3, first 2 shown]
	v_cmp_neq_f32_e32 vcc, 0, v5
	s_and_saveexec_b64 s[2:3], vcc
	s_cbranch_execz .LBB16_63
; %bb.60:
	s_waitcnt lgkmcnt(0)
	v_cmp_neq_f32_e32 vcc, 0, v3
	s_and_saveexec_b64 s[8:9], vcc
	s_cbranch_execz .LBB16_62
; %bb.61:
	v_add_f32_e32 v7, v5, v3
	v_div_scale_f32 v8, s[10:11], v7, v7, v3
	v_div_scale_f32 v9, vcc, v3, v7, v3
	v_sub_f32_e32 v2, v2, v6
	v_add_f32_e32 v4, v4, v1
	v_mul_f32_e32 v1, v2, v2
	v_mul_f32_e32 v1, v5, v1
	v_mov_b32_e32 v5, v7
	v_rcp_f32_e32 v10, v8
	v_fma_f32 v11, -v8, v10, 1.0
	v_fmac_f32_e32 v10, v11, v10
	v_mul_f32_e32 v11, v9, v10
	v_fma_f32 v12, -v8, v11, v9
	v_fmac_f32_e32 v11, v12, v10
	v_fma_f32 v8, -v8, v11, v9
	v_div_fmas_f32 v8, v8, v10, v11
	v_div_fixup_f32 v3, v8, v7, v3
	v_fmac_f32_e32 v6, v2, v3
	v_fmac_f32_e32 v4, v1, v3
.LBB16_62:
	s_or_b64 exec, exec, s[8:9]
	v_mov_b32_e32 v3, v5
	v_mov_b32_e32 v1, v4
	v_mov_b32_e32 v2, v6
.LBB16_63:
	s_or_b64 exec, exec, s[2:3]
	s_or_b64 exec, exec, s[0:1]
	v_cmp_eq_u32_e32 vcc, 0, v0
	s_and_saveexec_b64 s[0:1], vcc
	s_cbranch_execz .LBB16_35
.LBB16_64:
	s_waitcnt lgkmcnt(0)
	v_max_f32_e32 v0, v3, v3
	v_max_f32_e32 v0, 0, v0
	v_div_scale_f32 v3, s[0:1], v0, v0, v1
	v_div_scale_f32 v4, vcc, v1, v0, v1
	s_load_dword s2, s[4:5], 0x8
	s_load_dwordx2 s[0:1], s[4:5], 0x20
	s_mov_b32 s3, 0x800000
	v_rcp_f32_e32 v5, v3
	v_fma_f32 v6, -v3, v5, 1.0
	v_fmac_f32_e32 v5, v6, v5
	v_mul_f32_e32 v6, v4, v5
	v_fma_f32 v7, -v3, v6, v4
	v_fmac_f32_e32 v6, v7, v5
	v_fma_f32 v3, -v3, v6, v4
	v_div_fmas_f32 v3, v3, v5, v6
	v_div_fixup_f32 v0, v3, v0, v1
	v_fmac_f32_e32 v0, v2, v2
	s_waitcnt lgkmcnt(0)
	v_add_f32_e32 v0, s2, v0
	v_mul_f32_e32 v1, 0x4b800000, v0
	v_cmp_gt_f32_e32 vcc, s3, v0
	v_cndmask_b32_e32 v0, v0, v1, vcc
	v_rsq_f32_e32 v0, v0
	s_lshl_b64 s[2:3], s[6:7], 2
	s_add_u32 s0, s0, s2
	s_addc_u32 s1, s1, s3
	v_mul_f32_e32 v1, 0x45800000, v0
	v_cndmask_b32_e32 v0, v0, v1, vcc
	v_mov_b32_e32 v1, 0
	global_store_dword v1, v0, s[0:1]
	s_endpgm
	.section	.rodata,"a",@progbits
	.p2align	6, 0x0
	.amdhsa_kernel _ZN2at6native12_GLOBAL__N_124RowwiseMomentsCUDAKernelIffLb1EEEvlT0_PKT_PS3_S7_
		.amdhsa_group_segment_fixed_size 1536
		.amdhsa_private_segment_fixed_size 0
		.amdhsa_kernarg_size 296
		.amdhsa_user_sgpr_count 6
		.amdhsa_user_sgpr_private_segment_buffer 1
		.amdhsa_user_sgpr_dispatch_ptr 0
		.amdhsa_user_sgpr_queue_ptr 0
		.amdhsa_user_sgpr_kernarg_segment_ptr 1
		.amdhsa_user_sgpr_dispatch_id 0
		.amdhsa_user_sgpr_flat_scratch_init 0
		.amdhsa_user_sgpr_private_segment_size 0
		.amdhsa_uses_dynamic_stack 0
		.amdhsa_system_sgpr_private_segment_wavefront_offset 0
		.amdhsa_system_sgpr_workgroup_id_x 1
		.amdhsa_system_sgpr_workgroup_id_y 0
		.amdhsa_system_sgpr_workgroup_id_z 0
		.amdhsa_system_sgpr_workgroup_info 0
		.amdhsa_system_vgpr_workitem_id 0
		.amdhsa_next_free_vgpr 20
		.amdhsa_next_free_sgpr 17
		.amdhsa_reserve_vcc 1
		.amdhsa_reserve_flat_scratch 0
		.amdhsa_float_round_mode_32 0
		.amdhsa_float_round_mode_16_64 0
		.amdhsa_float_denorm_mode_32 3
		.amdhsa_float_denorm_mode_16_64 3
		.amdhsa_dx10_clamp 1
		.amdhsa_ieee_mode 1
		.amdhsa_fp16_overflow 0
		.amdhsa_exception_fp_ieee_invalid_op 0
		.amdhsa_exception_fp_denorm_src 0
		.amdhsa_exception_fp_ieee_div_zero 0
		.amdhsa_exception_fp_ieee_overflow 0
		.amdhsa_exception_fp_ieee_underflow 0
		.amdhsa_exception_fp_ieee_inexact 0
		.amdhsa_exception_int_div_zero 0
	.end_amdhsa_kernel
	.section	.text._ZN2at6native12_GLOBAL__N_124RowwiseMomentsCUDAKernelIffLb1EEEvlT0_PKT_PS3_S7_,"axG",@progbits,_ZN2at6native12_GLOBAL__N_124RowwiseMomentsCUDAKernelIffLb1EEEvlT0_PKT_PS3_S7_,comdat
.Lfunc_end16:
	.size	_ZN2at6native12_GLOBAL__N_124RowwiseMomentsCUDAKernelIffLb1EEEvlT0_PKT_PS3_S7_, .Lfunc_end16-_ZN2at6native12_GLOBAL__N_124RowwiseMomentsCUDAKernelIffLb1EEEvlT0_PKT_PS3_S7_
                                        ; -- End function
	.set _ZN2at6native12_GLOBAL__N_124RowwiseMomentsCUDAKernelIffLb1EEEvlT0_PKT_PS3_S7_.num_vgpr, 20
	.set _ZN2at6native12_GLOBAL__N_124RowwiseMomentsCUDAKernelIffLb1EEEvlT0_PKT_PS3_S7_.num_agpr, 0
	.set _ZN2at6native12_GLOBAL__N_124RowwiseMomentsCUDAKernelIffLb1EEEvlT0_PKT_PS3_S7_.numbered_sgpr, 17
	.set _ZN2at6native12_GLOBAL__N_124RowwiseMomentsCUDAKernelIffLb1EEEvlT0_PKT_PS3_S7_.num_named_barrier, 0
	.set _ZN2at6native12_GLOBAL__N_124RowwiseMomentsCUDAKernelIffLb1EEEvlT0_PKT_PS3_S7_.private_seg_size, 0
	.set _ZN2at6native12_GLOBAL__N_124RowwiseMomentsCUDAKernelIffLb1EEEvlT0_PKT_PS3_S7_.uses_vcc, 1
	.set _ZN2at6native12_GLOBAL__N_124RowwiseMomentsCUDAKernelIffLb1EEEvlT0_PKT_PS3_S7_.uses_flat_scratch, 0
	.set _ZN2at6native12_GLOBAL__N_124RowwiseMomentsCUDAKernelIffLb1EEEvlT0_PKT_PS3_S7_.has_dyn_sized_stack, 0
	.set _ZN2at6native12_GLOBAL__N_124RowwiseMomentsCUDAKernelIffLb1EEEvlT0_PKT_PS3_S7_.has_recursion, 0
	.set _ZN2at6native12_GLOBAL__N_124RowwiseMomentsCUDAKernelIffLb1EEEvlT0_PKT_PS3_S7_.has_indirect_call, 0
	.section	.AMDGPU.csdata,"",@progbits
; Kernel info:
; codeLenInByte = 3368
; TotalNumSgprs: 21
; NumVgprs: 20
; ScratchSize: 0
; MemoryBound: 0
; FloatMode: 240
; IeeeMode: 1
; LDSByteSize: 1536 bytes/workgroup (compile time only)
; SGPRBlocks: 2
; VGPRBlocks: 4
; NumSGPRsForWavesPerEU: 21
; NumVGPRsForWavesPerEU: 20
; Occupancy: 10
; WaveLimiterHint : 0
; COMPUTE_PGM_RSRC2:SCRATCH_EN: 0
; COMPUTE_PGM_RSRC2:USER_SGPR: 6
; COMPUTE_PGM_RSRC2:TRAP_HANDLER: 0
; COMPUTE_PGM_RSRC2:TGID_X_EN: 1
; COMPUTE_PGM_RSRC2:TGID_Y_EN: 0
; COMPUTE_PGM_RSRC2:TGID_Z_EN: 0
; COMPUTE_PGM_RSRC2:TIDIG_COMP_CNT: 0
	.section	.text._ZN2at6native12_GLOBAL__N_126LayerNormForwardCUDAKernelIffLb1EEEvlPKT_PKT0_S8_S5_S5_PS3_,"axG",@progbits,_ZN2at6native12_GLOBAL__N_126LayerNormForwardCUDAKernelIffLb1EEEvlPKT_PKT0_S8_S5_S5_PS3_,comdat
	.globl	_ZN2at6native12_GLOBAL__N_126LayerNormForwardCUDAKernelIffLb1EEEvlPKT_PKT0_S8_S5_S5_PS3_ ; -- Begin function _ZN2at6native12_GLOBAL__N_126LayerNormForwardCUDAKernelIffLb1EEEvlPKT_PKT0_S8_S5_S5_PS3_
	.p2align	8
	.type	_ZN2at6native12_GLOBAL__N_126LayerNormForwardCUDAKernelIffLb1EEEvlPKT_PKT0_S8_S5_S5_PS3_,@function
_ZN2at6native12_GLOBAL__N_126LayerNormForwardCUDAKernelIffLb1EEEvlPKT_PKT0_S8_S5_S5_PS3_: ; @_ZN2at6native12_GLOBAL__N_126LayerNormForwardCUDAKernelIffLb1EEEvlPKT_PKT0_S8_S5_S5_PS3_
; %bb.0:
	s_load_dwordx4 s[8:11], s[4:5], 0x0
	v_mov_b32_e32 v1, 0
	s_waitcnt lgkmcnt(0)
	v_cmp_gt_i64_e32 vcc, s[8:9], v[0:1]
	s_and_saveexec_b64 s[0:1], vcc
	s_cbranch_execz .LBB17_6
; %bb.1:
	s_load_dwordx4 s[12:15], s[4:5], 0x18
	s_load_dwordx2 s[0:1], s[4:5], 0x30
	s_mov_b32 s7, 0
	s_load_dword s18, s[4:5], 0x44
	s_mov_b64 s[16:17], 0
	s_waitcnt lgkmcnt(0)
	s_cmp_lg_u64 s[14:15], 0
	s_cselect_b64 s[2:3], -1, 0
	s_lshl_b64 s[4:5], s[6:7], 2
	s_add_u32 s4, s12, s4
	s_addc_u32 s5, s13, s5
	s_mul_i32 s12, s9, s6
	s_mul_hi_u32 s13, s8, s6
	s_add_i32 s13, s13, s12
	s_mul_i32 s12, s8, s6
	s_and_b32 s7, s18, 0xffff
	s_lshl_b64 s[12:13], s[12:13], 2
	s_add_u32 s6, s10, s12
	s_addc_u32 s18, s11, s13
	s_lshl_b32 s10, s7, 2
	s_add_u32 s11, s0, s12
	v_cndmask_b32_e64 v2, 0, 1, s[2:3]
	s_addc_u32 s12, s1, s13
	v_cmp_ne_u32_e64 s[0:1], 1, v2
	v_mov_b32_e32 v3, v1
	v_lshlrev_b32_e32 v4, 2, v0
	v_mov_b32_e32 v5, v1
	v_mov_b32_e32 v6, s18
	v_mov_b32_e32 v7, s12
	v_mov_b32_e32 v2, v0
	s_branch .LBB17_4
.LBB17_2:                               ;   in Loop: Header=BB17_4 Depth=1
	v_mov_b32_e32 v0, s15
	v_add_co_u32_e32 v8, vcc, s14, v4
	v_addc_co_u32_e32 v9, vcc, v0, v5, vcc
	global_load_dword v0, v[8:9], off
.LBB17_3:                               ;   in Loop: Header=BB17_4 Depth=1
	v_add_co_u32_e32 v8, vcc, s6, v4
	v_addc_co_u32_e32 v9, vcc, v6, v5, vcc
	global_load_dword v10, v1, s[4:5]
	global_load_dword v11, v[8:9], off
	v_add_co_u32_e32 v2, vcc, s7, v2
	v_addc_co_u32_e32 v3, vcc, 0, v3, vcc
	v_cmp_le_i64_e32 vcc, s[8:9], v[2:3]
	v_add_co_u32_e64 v8, s[2:3], s11, v4
	s_or_b64 s[16:17], vcc, s[16:17]
	v_add_co_u32_e32 v4, vcc, s10, v4
	v_addc_co_u32_e64 v9, s[2:3], v7, v5, s[2:3]
	v_addc_co_u32_e32 v5, vcc, 0, v5, vcc
	s_waitcnt vmcnt(0)
	v_mul_f32_e32 v10, v11, v10
	v_mul_f32_e32 v0, v0, v10
	global_store_dword v[8:9], v0, off
	s_andn2_b64 exec, exec, s[16:17]
	s_cbranch_execz .LBB17_6
.LBB17_4:                               ; =>This Inner Loop Header: Depth=1
	s_and_b64 vcc, exec, s[0:1]
	s_cbranch_vccz .LBB17_2
; %bb.5:                                ;   in Loop: Header=BB17_4 Depth=1
	v_mov_b32_e32 v0, 1.0
	s_branch .LBB17_3
.LBB17_6:
	s_endpgm
	.section	.rodata,"a",@progbits
	.p2align	6, 0x0
	.amdhsa_kernel _ZN2at6native12_GLOBAL__N_126LayerNormForwardCUDAKernelIffLb1EEEvlPKT_PKT0_S8_S5_S5_PS3_
		.amdhsa_group_segment_fixed_size 0
		.amdhsa_private_segment_fixed_size 0
		.amdhsa_kernarg_size 312
		.amdhsa_user_sgpr_count 6
		.amdhsa_user_sgpr_private_segment_buffer 1
		.amdhsa_user_sgpr_dispatch_ptr 0
		.amdhsa_user_sgpr_queue_ptr 0
		.amdhsa_user_sgpr_kernarg_segment_ptr 1
		.amdhsa_user_sgpr_dispatch_id 0
		.amdhsa_user_sgpr_flat_scratch_init 0
		.amdhsa_user_sgpr_private_segment_size 0
		.amdhsa_uses_dynamic_stack 0
		.amdhsa_system_sgpr_private_segment_wavefront_offset 0
		.amdhsa_system_sgpr_workgroup_id_x 1
		.amdhsa_system_sgpr_workgroup_id_y 0
		.amdhsa_system_sgpr_workgroup_id_z 0
		.amdhsa_system_sgpr_workgroup_info 0
		.amdhsa_system_vgpr_workitem_id 0
		.amdhsa_next_free_vgpr 12
		.amdhsa_next_free_sgpr 19
		.amdhsa_reserve_vcc 1
		.amdhsa_reserve_flat_scratch 0
		.amdhsa_float_round_mode_32 0
		.amdhsa_float_round_mode_16_64 0
		.amdhsa_float_denorm_mode_32 3
		.amdhsa_float_denorm_mode_16_64 3
		.amdhsa_dx10_clamp 1
		.amdhsa_ieee_mode 1
		.amdhsa_fp16_overflow 0
		.amdhsa_exception_fp_ieee_invalid_op 0
		.amdhsa_exception_fp_denorm_src 0
		.amdhsa_exception_fp_ieee_div_zero 0
		.amdhsa_exception_fp_ieee_overflow 0
		.amdhsa_exception_fp_ieee_underflow 0
		.amdhsa_exception_fp_ieee_inexact 0
		.amdhsa_exception_int_div_zero 0
	.end_amdhsa_kernel
	.section	.text._ZN2at6native12_GLOBAL__N_126LayerNormForwardCUDAKernelIffLb1EEEvlPKT_PKT0_S8_S5_S5_PS3_,"axG",@progbits,_ZN2at6native12_GLOBAL__N_126LayerNormForwardCUDAKernelIffLb1EEEvlPKT_PKT0_S8_S5_S5_PS3_,comdat
.Lfunc_end17:
	.size	_ZN2at6native12_GLOBAL__N_126LayerNormForwardCUDAKernelIffLb1EEEvlPKT_PKT0_S8_S5_S5_PS3_, .Lfunc_end17-_ZN2at6native12_GLOBAL__N_126LayerNormForwardCUDAKernelIffLb1EEEvlPKT_PKT0_S8_S5_S5_PS3_
                                        ; -- End function
	.set _ZN2at6native12_GLOBAL__N_126LayerNormForwardCUDAKernelIffLb1EEEvlPKT_PKT0_S8_S5_S5_PS3_.num_vgpr, 12
	.set _ZN2at6native12_GLOBAL__N_126LayerNormForwardCUDAKernelIffLb1EEEvlPKT_PKT0_S8_S5_S5_PS3_.num_agpr, 0
	.set _ZN2at6native12_GLOBAL__N_126LayerNormForwardCUDAKernelIffLb1EEEvlPKT_PKT0_S8_S5_S5_PS3_.numbered_sgpr, 19
	.set _ZN2at6native12_GLOBAL__N_126LayerNormForwardCUDAKernelIffLb1EEEvlPKT_PKT0_S8_S5_S5_PS3_.num_named_barrier, 0
	.set _ZN2at6native12_GLOBAL__N_126LayerNormForwardCUDAKernelIffLb1EEEvlPKT_PKT0_S8_S5_S5_PS3_.private_seg_size, 0
	.set _ZN2at6native12_GLOBAL__N_126LayerNormForwardCUDAKernelIffLb1EEEvlPKT_PKT0_S8_S5_S5_PS3_.uses_vcc, 1
	.set _ZN2at6native12_GLOBAL__N_126LayerNormForwardCUDAKernelIffLb1EEEvlPKT_PKT0_S8_S5_S5_PS3_.uses_flat_scratch, 0
	.set _ZN2at6native12_GLOBAL__N_126LayerNormForwardCUDAKernelIffLb1EEEvlPKT_PKT0_S8_S5_S5_PS3_.has_dyn_sized_stack, 0
	.set _ZN2at6native12_GLOBAL__N_126LayerNormForwardCUDAKernelIffLb1EEEvlPKT_PKT0_S8_S5_S5_PS3_.has_recursion, 0
	.set _ZN2at6native12_GLOBAL__N_126LayerNormForwardCUDAKernelIffLb1EEEvlPKT_PKT0_S8_S5_S5_PS3_.has_indirect_call, 0
	.section	.AMDGPU.csdata,"",@progbits
; Kernel info:
; codeLenInByte = 308
; TotalNumSgprs: 23
; NumVgprs: 12
; ScratchSize: 0
; MemoryBound: 0
; FloatMode: 240
; IeeeMode: 1
; LDSByteSize: 0 bytes/workgroup (compile time only)
; SGPRBlocks: 2
; VGPRBlocks: 2
; NumSGPRsForWavesPerEU: 23
; NumVGPRsForWavesPerEU: 12
; Occupancy: 10
; WaveLimiterHint : 0
; COMPUTE_PGM_RSRC2:SCRATCH_EN: 0
; COMPUTE_PGM_RSRC2:USER_SGPR: 6
; COMPUTE_PGM_RSRC2:TRAP_HANDLER: 0
; COMPUTE_PGM_RSRC2:TGID_X_EN: 1
; COMPUTE_PGM_RSRC2:TGID_Y_EN: 0
; COMPUTE_PGM_RSRC2:TGID_Z_EN: 0
; COMPUTE_PGM_RSRC2:TIDIG_COMP_CNT: 0
	.section	.text._ZN2at6native12_GLOBAL__N_128vectorized_layer_norm_kernelIN3c104HalfEfLb1EEEviT0_PKT_S8_S8_PS5_S9_PS6_,"axG",@progbits,_ZN2at6native12_GLOBAL__N_128vectorized_layer_norm_kernelIN3c104HalfEfLb1EEEviT0_PKT_S8_S8_PS5_S9_PS6_,comdat
	.globl	_ZN2at6native12_GLOBAL__N_128vectorized_layer_norm_kernelIN3c104HalfEfLb1EEEviT0_PKT_S8_S8_PS5_S9_PS6_ ; -- Begin function _ZN2at6native12_GLOBAL__N_128vectorized_layer_norm_kernelIN3c104HalfEfLb1EEEviT0_PKT_S8_S8_PS5_S9_PS6_
	.p2align	8
	.type	_ZN2at6native12_GLOBAL__N_128vectorized_layer_norm_kernelIN3c104HalfEfLb1EEEviT0_PKT_S8_S8_PS5_S9_PS6_,@function
_ZN2at6native12_GLOBAL__N_128vectorized_layer_norm_kernelIN3c104HalfEfLb1EEEviT0_PKT_S8_S8_PS5_S9_PS6_: ; @_ZN2at6native12_GLOBAL__N_128vectorized_layer_norm_kernelIN3c104HalfEfLb1EEEviT0_PKT_S8_S8_PS5_S9_PS6_
; %bb.0:
	s_load_dwordx4 s[8:11], s[4:5], 0x0
	s_load_dword s0, s[4:5], 0x44
	s_mov_b32 s7, 0
	v_mov_b32_e32 v4, 0
	s_waitcnt lgkmcnt(0)
	s_ashr_i32 s1, s8, 31
	s_lshr_b32 s18, s0, 16
	s_and_b32 s0, s0, 0xffff
	s_mul_i32 s16, s18, s0
	v_mul_u32_u24_e32 v2, s0, v1
	v_mad_u32_u24 v7, v1, s0, v0
	s_lshr_b32 s0, s1, 30
	s_add_i32 s0, s8, s0
	s_mul_hi_u32 s2, s8, s6
	s_mul_i32 s3, s1, s6
	s_ashr_i32 s22, s0, 2
	s_add_i32 s21, s2, s3
	s_mul_i32 s20, s8, s6
	v_cmp_gt_i32_e64 s[0:1], s22, v7
	v_add_lshl_u32 v8, v2, v0, 3
	s_and_saveexec_b64 s[2:3], s[0:1]
	s_cbranch_execz .LBB18_4
; %bb.1:
	s_lshl_b64 s[12:13], s[20:21], 1
	s_add_u32 s12, s10, s12
	s_addc_u32 s13, s11, s13
	v_mov_b32_e32 v2, s13
	v_add_co_u32_e32 v3, vcc, s12, v8
	v_addc_co_u32_e32 v5, vcc, 0, v2, vcc
	s_ashr_i32 s17, s16, 31
	v_add_co_u32_e32 v2, vcc, 4, v3
	s_lshl_b64 s[14:15], s[16:17], 3
	v_mov_b32_e32 v4, 0
	v_addc_co_u32_e32 v3, vcc, 0, v5, vcc
	s_mov_b64 s[12:13], 0
	v_mov_b32_e32 v5, s15
	v_mov_b32_e32 v6, v7
.LBB18_2:                               ; =>This Inner Loop Header: Depth=1
	global_load_dwordx2 v[9:10], v[2:3], off offset:-4
	v_add_co_u32_e32 v2, vcc, s14, v2
	v_add_u32_e32 v6, s16, v6
	v_addc_co_u32_e32 v3, vcc, v3, v5, vcc
	v_cmp_le_i32_e32 vcc, s22, v6
	s_or_b64 s[12:13], vcc, s[12:13]
	s_waitcnt vmcnt(0)
	v_fma_mix_f32 v4, v9, v9, v4 op_sel_hi:[1,1,0]
	v_fma_mix_f32 v4, v9, v9, v4 op_sel:[1,1,0] op_sel_hi:[1,1,0]
	v_fma_mix_f32 v4, v10, v10, v4 op_sel_hi:[1,1,0]
	v_fma_mix_f32 v4, v10, v10, v4 op_sel:[1,1,0] op_sel_hi:[1,1,0]
	s_andn2_b64 exec, exec, s[12:13]
	s_cbranch_execnz .LBB18_2
; %bb.3:
	s_or_b64 exec, exec, s[12:13]
.LBB18_4:
	s_or_b64 exec, exec, s[2:3]
	v_mbcnt_lo_u32_b32 v2, -1, 0
	v_mbcnt_hi_u32_b32 v3, -1, v2
	v_lshlrev_b32_e32 v2, 2, v3
	v_or_b32_e32 v5, 0x80, v2
	ds_bpermute_b32 v5, v5, v4
	v_and_b32_e32 v6, 63, v3
	v_cmp_gt_u32_e32 vcc, 48, v6
	v_cndmask_b32_e64 v9, 0, 16, vcc
	v_add_lshl_u32 v9, v9, v3, 2
	s_waitcnt lgkmcnt(0)
	v_add_f32_e32 v4, v4, v5
	ds_bpermute_b32 v5, v9, v4
	v_cmp_gt_u32_e32 vcc, 56, v6
	v_cndmask_b32_e64 v9, 0, 8, vcc
	v_add_lshl_u32 v9, v9, v3, 2
	v_cmp_gt_u32_e32 vcc, 60, v6
	s_waitcnt lgkmcnt(0)
	v_add_f32_e32 v4, v4, v5
	ds_bpermute_b32 v5, v9, v4
	v_cndmask_b32_e64 v9, 0, 4, vcc
	v_add_lshl_u32 v9, v9, v3, 2
	v_cmp_gt_u32_e32 vcc, 62, v6
	s_cmp_lt_u32 s18, 2
	s_waitcnt lgkmcnt(0)
	v_add_f32_e32 v4, v4, v5
	ds_bpermute_b32 v5, v9, v4
	v_cndmask_b32_e64 v9, 0, 2, vcc
	v_add_lshl_u32 v9, v9, v3, 2
	v_cmp_ne_u32_e32 vcc, 63, v6
	v_addc_co_u32_e32 v3, vcc, 0, v3, vcc
	s_waitcnt lgkmcnt(0)
	v_add_f32_e32 v4, v4, v5
	ds_bpermute_b32 v5, v9, v4
	v_lshlrev_b32_e32 v3, 2, v3
	s_waitcnt lgkmcnt(0)
	v_add_f32_e32 v4, v4, v5
	ds_bpermute_b32 v3, v3, v4
	s_waitcnt lgkmcnt(0)
	v_add_f32_e32 v4, v4, v3
	s_cbranch_scc0 .LBB18_6
; %bb.5:
	v_and_b32_e32 v2, 0x100, v2
	ds_bpermute_b32 v2, v2, v4
	v_cvt_f32_i32_e32 v3, s8
	s_waitcnt lgkmcnt(0)
	v_div_scale_f32 v5, s[2:3], v3, v3, v2
	v_div_scale_f32 v6, vcc, v2, v3, v2
	v_rcp_f32_e32 v9, v5
	v_fma_f32 v10, -v5, v9, 1.0
	v_fmac_f32_e32 v9, v10, v9
	v_mul_f32_e32 v10, v6, v9
	v_fma_f32 v11, -v5, v10, v6
	v_fmac_f32_e32 v10, v11, v9
	v_fma_f32 v5, -v5, v10, v6
	v_div_fmas_f32 v5, v5, v9, v10
	v_div_fixup_f32 v3, v5, v3, v2
	v_mov_b32_e32 v2, 0
	s_cbranch_execz .LBB18_7
	s_branch .LBB18_17
.LBB18_6:
                                        ; implicit-def: $vgpr3
	v_mov_b32_e32 v2, 0
.LBB18_7:
	s_lshl_b32 s2, s18, 2
	v_lshlrev_b32_e32 v2, 3, v1
	s_add_i32 s12, s2, 0
	v_cmp_eq_u32_e32 vcc, 0, v0
	v_add_u32_e32 v2, 0, v2
	v_mov_b32_e32 v3, 0
.LBB18_8:                               ; =>This Inner Loop Header: Depth=1
	s_lshr_b32 s13, s18, 1
	v_cmp_le_u32_e64 s[2:3], s13, v1
	s_and_b64 s[14:15], vcc, s[2:3]
	s_and_b32 s2, s18, 0xfffe
	v_cmp_gt_u32_e64 s[2:3], s2, v1
	s_and_b64 s[14:15], s[14:15], s[2:3]
	s_and_saveexec_b64 s[2:3], s[14:15]
	s_cbranch_execz .LBB18_10
; %bb.9:                                ;   in Loop: Header=BB18_8 Depth=1
	v_subrev_u32_e32 v5, s13, v1
	v_lshl_add_u32 v6, v5, 2, s12
	v_lshl_add_u32 v5, v5, 3, 0
	ds_write2_b32 v5, v3, v4 offset1:1
	ds_write_b32 v6, v3
.LBB18_10:                              ;   in Loop: Header=BB18_8 Depth=1
	s_or_b64 exec, exec, s[2:3]
	v_cmp_gt_u32_e64 s[2:3], s13, v1
	s_and_b64 s[14:15], vcc, s[2:3]
	s_waitcnt lgkmcnt(0)
	s_barrier
	s_and_saveexec_b64 s[2:3], s[14:15]
	s_cbranch_execz .LBB18_12
; %bb.11:                               ;   in Loop: Header=BB18_8 Depth=1
	ds_read_b32 v5, v2 offset:4
	s_waitcnt lgkmcnt(0)
	v_add_f32_e32 v4, v4, v5
.LBB18_12:                              ;   in Loop: Header=BB18_8 Depth=1
	s_or_b64 exec, exec, s[2:3]
	s_cmp_lt_u32 s18, 4
	s_barrier
	s_cbranch_scc1 .LBB18_14
; %bb.13:                               ;   in Loop: Header=BB18_8 Depth=1
	s_mov_b32 s18, s13
	s_branch .LBB18_8
.LBB18_14:
	v_or_b32_e32 v0, v0, v1
	v_cmp_eq_u32_e32 vcc, 0, v0
	s_and_saveexec_b64 s[2:3], vcc
	s_cbranch_execz .LBB18_16
; %bb.15:
	v_cvt_f32_i32_e32 v0, s8
	v_div_scale_f32 v1, s[12:13], v0, v0, v4
	v_div_scale_f32 v2, vcc, v4, v0, v4
	v_rcp_f32_e32 v3, v1
	v_fma_f32 v5, -v1, v3, 1.0
	v_fmac_f32_e32 v3, v5, v3
	v_mul_f32_e32 v5, v2, v3
	v_fma_f32 v6, -v1, v5, v2
	v_fmac_f32_e32 v5, v6, v3
	v_fma_f32 v1, -v1, v5, v2
	v_div_fmas_f32 v1, v1, v3, v5
	v_div_fixup_f32 v0, v1, v0, v4
	v_mov_b32_e32 v1, 0
	ds_write2_b32 v1, v1, v0 offset1:1
.LBB18_16:
	s_or_b64 exec, exec, s[2:3]
	v_mov_b32_e32 v0, 0
	s_waitcnt lgkmcnt(0)
	s_barrier
	ds_read2_b32 v[2:3], v0 offset1:1
.LBB18_17:
	s_waitcnt lgkmcnt(0)
	v_add_f32_e32 v0, s9, v3
	s_mov_b32 s2, 0x800000
	v_mul_f32_e32 v1, 0x4b800000, v0
	v_cmp_gt_f32_e32 vcc, s2, v0
	v_cndmask_b32_e32 v0, v0, v1, vcc
	v_rsq_f32_e32 v0, v0
	s_load_dwordx4 s[12:15], s[4:5], 0x28
	v_mul_f32_e32 v1, 0x45800000, v0
	v_cndmask_b32_e32 v9, v0, v1, vcc
	s_and_saveexec_b64 s[8:9], s[0:1]
	s_cbranch_execz .LBB18_32
; %bb.18:
	s_load_dwordx4 s[0:3], s[4:5], 0x10
	s_mov_b64 s[4:5], 0
	v_mov_b32_e32 v10, v9
	v_mov_b32_e32 v11, 0
	;; [unrolled: 1-line block ×3, first 2 shown]
	s_waitcnt lgkmcnt(0)
	s_cmp_eq_u64 s[0:1], 0
	s_cselect_b64 s[18:19], -1, 0
	s_cmp_eq_u64 s[2:3], 0
	s_cselect_b64 s[26:27], -1, 0
	s_lshl_b64 s[28:29], s[20:21], 1
	s_add_u32 s23, s14, s28
	s_addc_u32 s24, s15, s29
	s_ashr_i32 s17, s16, 31
	s_or_b64 s[14:15], s[18:19], s[26:27]
	s_lshl_b64 s[20:21], s[16:17], 3
	s_add_u32 s10, s10, s28
	s_addc_u32 s11, s11, s29
	s_add_u32 s17, s10, 4
	s_addc_u32 s10, s11, 0
	v_cndmask_b32_e64 v0, 0, 1, s[26:27]
	s_add_u32 s25, s0, 4
	s_addc_u32 s26, s1, 0
	v_mov_b32_e32 v12, s10
	v_cmp_ne_u32_e64 s[0:1], 1, v0
	s_branch .LBB18_20
.LBB18_19:                              ;   in Loop: Header=BB18_20 Depth=1
	v_cvt_f16_f32_e32 v14, v4
	v_cvt_f16_f32_e32 v3, v3
	;; [unrolled: 1-line block ×4, first 2 shown]
	s_waitcnt vmcnt(0)
	v_mov_b32_e32 v1, s24
	v_add_co_u32_e32 v0, vcc, s23, v8
	v_addc_co_u32_e32 v1, vcc, v1, v11, vcc
	v_add_u32_e32 v13, s16, v13
	v_pack_b32_f16 v4, v5, v4
	v_pack_b32_f16 v3, v3, v14
	v_cmp_le_i32_e32 vcc, s22, v13
	global_store_dwordx2 v[0:1], v[3:4], off
	v_mov_b32_e32 v0, s21
	s_or_b64 s[4:5], vcc, s[4:5]
	v_add_co_u32_e32 v8, vcc, s20, v8
	v_addc_co_u32_e32 v11, vcc, v11, v0, vcc
	s_andn2_b64 exec, exec, s[4:5]
	s_cbranch_execz .LBB18_32
.LBB18_20:                              ; =>This Inner Loop Header: Depth=1
	v_add_co_u32_e32 v0, vcc, s17, v8
	v_addc_co_u32_e32 v1, vcc, v12, v11, vcc
	global_load_dwordx2 v[0:1], v[0:1], off offset:-4
	s_mov_b64 s[10:11], -1
	s_and_b64 vcc, exec, s[14:15]
                                        ; implicit-def: $vgpr5_vgpr6
                                        ; implicit-def: $vgpr3_vgpr4
	s_cbranch_vccz .LBB18_30
; %bb.21:                               ;   in Loop: Header=BB18_20 Depth=1
	s_and_b64 vcc, exec, s[18:19]
                                        ; implicit-def: $vgpr5_vgpr6
                                        ; implicit-def: $vgpr3_vgpr4
	s_cbranch_vccz .LBB18_27
; %bb.22:                               ;   in Loop: Header=BB18_20 Depth=1
	s_and_b64 vcc, exec, s[0:1]
                                        ; implicit-def: $vgpr5_vgpr6
                                        ; implicit-def: $vgpr3_vgpr4
	s_cbranch_vccnz .LBB18_24
; %bb.23:                               ;   in Loop: Header=BB18_20 Depth=1
	s_waitcnt vmcnt(0)
	v_cvt_f32_f16_e32 v3, v0
	v_cvt_f32_f16_sdwa v4, v0 dst_sel:DWORD dst_unused:UNUSED_PAD src0_sel:WORD_1
	v_cvt_f32_f16_e32 v5, v1
	v_cvt_f32_f16_sdwa v6, v1 dst_sel:DWORD dst_unused:UNUSED_PAD src0_sel:WORD_1
	v_mul_f32_e32 v3, v9, v3
	v_mul_f32_e32 v4, v10, v4
	;; [unrolled: 1-line block ×4, first 2 shown]
	s_mov_b64 s[10:11], 0
.LBB18_24:                              ;   in Loop: Header=BB18_20 Depth=1
	s_andn2_b64 vcc, exec, s[10:11]
	s_cbranch_vccnz .LBB18_26
; %bb.25:                               ;   in Loop: Header=BB18_20 Depth=1
	v_mov_b32_e32 v4, s3
	v_add_co_u32_e32 v3, vcc, s2, v8
	v_addc_co_u32_e32 v4, vcc, v4, v11, vcc
	global_load_dwordx2 v[5:6], v[3:4], off
	s_waitcnt vmcnt(1)
	v_cvt_f32_f16_sdwa v3, v0 dst_sel:DWORD dst_unused:UNUSED_PAD src0_sel:WORD_1
	v_cvt_f32_f16_e32 v4, v0
	v_cvt_f32_f16_sdwa v14, v1 dst_sel:DWORD dst_unused:UNUSED_PAD src0_sel:WORD_1
	v_cvt_f32_f16_e32 v15, v1
	v_sub_f32_e32 v16, v3, v2
	v_sub_f32_e32 v3, v4, v2
	;; [unrolled: 1-line block ×4, first 2 shown]
	s_waitcnt vmcnt(0)
	v_fma_mix_f32 v3, v9, v3, v5 op_sel_hi:[0,0,1]
	v_fma_mix_f32 v4, v10, v16, v5 op_sel:[0,0,1] op_sel_hi:[0,0,1]
	v_fma_mix_f32 v5, v9, v15, v6 op_sel_hi:[0,0,1]
	v_fma_mix_f32 v6, v10, v14, v6 op_sel:[0,0,1] op_sel_hi:[0,0,1]
.LBB18_26:                              ;   in Loop: Header=BB18_20 Depth=1
	s_mov_b64 s[10:11], 0
.LBB18_27:                              ;   in Loop: Header=BB18_20 Depth=1
	s_andn2_b64 vcc, exec, s[10:11]
	s_cbranch_vccnz .LBB18_29
; %bb.28:                               ;   in Loop: Header=BB18_20 Depth=1
	v_mov_b32_e32 v4, s26
	v_add_co_u32_e32 v3, vcc, s25, v8
	v_addc_co_u32_e32 v4, vcc, v4, v11, vcc
	global_load_dwordx2 v[3:4], v[3:4], off offset:-4
	s_waitcnt vmcnt(1)
	v_cvt_f32_f16_sdwa v5, v0 dst_sel:DWORD dst_unused:UNUSED_PAD src0_sel:WORD_1
	v_cvt_f32_f16_e32 v6, v0
	v_cvt_f32_f16_sdwa v14, v1 dst_sel:DWORD dst_unused:UNUSED_PAD src0_sel:WORD_1
	v_cvt_f32_f16_e32 v15, v1
	v_mul_f32_e32 v5, v10, v5
	v_mul_f32_e32 v6, v9, v6
	;; [unrolled: 1-line block ×4, first 2 shown]
	s_waitcnt vmcnt(0)
	v_cvt_f32_f16_e32 v16, v3
	v_cvt_f32_f16_sdwa v17, v3 dst_sel:DWORD dst_unused:UNUSED_PAD src0_sel:WORD_1
	v_cvt_f32_f16_e32 v18, v4
	v_cvt_f32_f16_sdwa v19, v4 dst_sel:DWORD dst_unused:UNUSED_PAD src0_sel:WORD_1
	v_mul_f32_e32 v3, v6, v16
	v_mul_f32_e32 v4, v5, v17
	;; [unrolled: 1-line block ×4, first 2 shown]
.LBB18_29:                              ;   in Loop: Header=BB18_20 Depth=1
	s_mov_b64 s[10:11], 0
.LBB18_30:                              ;   in Loop: Header=BB18_20 Depth=1
	s_andn2_b64 vcc, exec, s[10:11]
	s_cbranch_vccnz .LBB18_19
; %bb.31:                               ;   in Loop: Header=BB18_20 Depth=1
	v_mov_b32_e32 v4, s26
	v_add_co_u32_e32 v3, vcc, s25, v8
	v_addc_co_u32_e32 v4, vcc, v4, v11, vcc
	global_load_dwordx2 v[3:4], v[3:4], off offset:-4
	s_waitcnt vmcnt(1)
	v_cvt_f32_f16_sdwa v5, v0 dst_sel:DWORD dst_unused:UNUSED_PAD src0_sel:WORD_1
	v_cvt_f32_f16_e32 v0, v0
	v_cvt_f32_f16_sdwa v6, v1 dst_sel:DWORD dst_unused:UNUSED_PAD src0_sel:WORD_1
	v_cvt_f32_f16_e32 v1, v1
	v_mul_f32_e32 v5, v10, v5
	v_mul_f32_e32 v0, v9, v0
	;; [unrolled: 1-line block ×4, first 2 shown]
	s_waitcnt vmcnt(0)
	v_cvt_f32_f16_e32 v14, v3
	v_cvt_f32_f16_sdwa v15, v3 dst_sel:DWORD dst_unused:UNUSED_PAD src0_sel:WORD_1
	v_cvt_f32_f16_e32 v16, v4
	v_cvt_f32_f16_sdwa v17, v4 dst_sel:DWORD dst_unused:UNUSED_PAD src0_sel:WORD_1
	v_mul_f32_e32 v3, v0, v14
	v_mul_f32_e32 v4, v5, v15
	;; [unrolled: 1-line block ×4, first 2 shown]
	s_branch .LBB18_19
.LBB18_32:
	s_or_b64 exec, exec, s[8:9]
	v_cmp_eq_u32_e32 vcc, 0, v7
	s_and_saveexec_b64 s[0:1], vcc
	s_cbranch_execz .LBB18_34
; %bb.33:
	s_lshl_b64 s[0:1], s[6:7], 2
	s_waitcnt lgkmcnt(0)
	s_add_u32 s0, s12, s0
	s_addc_u32 s1, s13, s1
	v_mov_b32_e32 v0, 0
	global_store_dword v0, v9, s[0:1]
.LBB18_34:
	s_endpgm
	.section	.rodata,"a",@progbits
	.p2align	6, 0x0
	.amdhsa_kernel _ZN2at6native12_GLOBAL__N_128vectorized_layer_norm_kernelIN3c104HalfEfLb1EEEviT0_PKT_S8_S8_PS5_S9_PS6_
		.amdhsa_group_segment_fixed_size 0
		.amdhsa_private_segment_fixed_size 0
		.amdhsa_kernarg_size 312
		.amdhsa_user_sgpr_count 6
		.amdhsa_user_sgpr_private_segment_buffer 1
		.amdhsa_user_sgpr_dispatch_ptr 0
		.amdhsa_user_sgpr_queue_ptr 0
		.amdhsa_user_sgpr_kernarg_segment_ptr 1
		.amdhsa_user_sgpr_dispatch_id 0
		.amdhsa_user_sgpr_flat_scratch_init 0
		.amdhsa_user_sgpr_private_segment_size 0
		.amdhsa_uses_dynamic_stack 0
		.amdhsa_system_sgpr_private_segment_wavefront_offset 0
		.amdhsa_system_sgpr_workgroup_id_x 1
		.amdhsa_system_sgpr_workgroup_id_y 0
		.amdhsa_system_sgpr_workgroup_id_z 0
		.amdhsa_system_sgpr_workgroup_info 0
		.amdhsa_system_vgpr_workitem_id 1
		.amdhsa_next_free_vgpr 20
		.amdhsa_next_free_sgpr 30
		.amdhsa_reserve_vcc 1
		.amdhsa_reserve_flat_scratch 0
		.amdhsa_float_round_mode_32 0
		.amdhsa_float_round_mode_16_64 0
		.amdhsa_float_denorm_mode_32 3
		.amdhsa_float_denorm_mode_16_64 3
		.amdhsa_dx10_clamp 1
		.amdhsa_ieee_mode 1
		.amdhsa_fp16_overflow 0
		.amdhsa_exception_fp_ieee_invalid_op 0
		.amdhsa_exception_fp_denorm_src 0
		.amdhsa_exception_fp_ieee_div_zero 0
		.amdhsa_exception_fp_ieee_overflow 0
		.amdhsa_exception_fp_ieee_underflow 0
		.amdhsa_exception_fp_ieee_inexact 0
		.amdhsa_exception_int_div_zero 0
	.end_amdhsa_kernel
	.section	.text._ZN2at6native12_GLOBAL__N_128vectorized_layer_norm_kernelIN3c104HalfEfLb1EEEviT0_PKT_S8_S8_PS5_S9_PS6_,"axG",@progbits,_ZN2at6native12_GLOBAL__N_128vectorized_layer_norm_kernelIN3c104HalfEfLb1EEEviT0_PKT_S8_S8_PS5_S9_PS6_,comdat
.Lfunc_end18:
	.size	_ZN2at6native12_GLOBAL__N_128vectorized_layer_norm_kernelIN3c104HalfEfLb1EEEviT0_PKT_S8_S8_PS5_S9_PS6_, .Lfunc_end18-_ZN2at6native12_GLOBAL__N_128vectorized_layer_norm_kernelIN3c104HalfEfLb1EEEviT0_PKT_S8_S8_PS5_S9_PS6_
                                        ; -- End function
	.set _ZN2at6native12_GLOBAL__N_128vectorized_layer_norm_kernelIN3c104HalfEfLb1EEEviT0_PKT_S8_S8_PS5_S9_PS6_.num_vgpr, 20
	.set _ZN2at6native12_GLOBAL__N_128vectorized_layer_norm_kernelIN3c104HalfEfLb1EEEviT0_PKT_S8_S8_PS5_S9_PS6_.num_agpr, 0
	.set _ZN2at6native12_GLOBAL__N_128vectorized_layer_norm_kernelIN3c104HalfEfLb1EEEviT0_PKT_S8_S8_PS5_S9_PS6_.numbered_sgpr, 30
	.set _ZN2at6native12_GLOBAL__N_128vectorized_layer_norm_kernelIN3c104HalfEfLb1EEEviT0_PKT_S8_S8_PS5_S9_PS6_.num_named_barrier, 0
	.set _ZN2at6native12_GLOBAL__N_128vectorized_layer_norm_kernelIN3c104HalfEfLb1EEEviT0_PKT_S8_S8_PS5_S9_PS6_.private_seg_size, 0
	.set _ZN2at6native12_GLOBAL__N_128vectorized_layer_norm_kernelIN3c104HalfEfLb1EEEviT0_PKT_S8_S8_PS5_S9_PS6_.uses_vcc, 1
	.set _ZN2at6native12_GLOBAL__N_128vectorized_layer_norm_kernelIN3c104HalfEfLb1EEEviT0_PKT_S8_S8_PS5_S9_PS6_.uses_flat_scratch, 0
	.set _ZN2at6native12_GLOBAL__N_128vectorized_layer_norm_kernelIN3c104HalfEfLb1EEEviT0_PKT_S8_S8_PS5_S9_PS6_.has_dyn_sized_stack, 0
	.set _ZN2at6native12_GLOBAL__N_128vectorized_layer_norm_kernelIN3c104HalfEfLb1EEEviT0_PKT_S8_S8_PS5_S9_PS6_.has_recursion, 0
	.set _ZN2at6native12_GLOBAL__N_128vectorized_layer_norm_kernelIN3c104HalfEfLb1EEEviT0_PKT_S8_S8_PS5_S9_PS6_.has_indirect_call, 0
	.section	.AMDGPU.csdata,"",@progbits
; Kernel info:
; codeLenInByte = 1652
; TotalNumSgprs: 34
; NumVgprs: 20
; ScratchSize: 0
; MemoryBound: 0
; FloatMode: 240
; IeeeMode: 1
; LDSByteSize: 0 bytes/workgroup (compile time only)
; SGPRBlocks: 4
; VGPRBlocks: 4
; NumSGPRsForWavesPerEU: 34
; NumVGPRsForWavesPerEU: 20
; Occupancy: 10
; WaveLimiterHint : 0
; COMPUTE_PGM_RSRC2:SCRATCH_EN: 0
; COMPUTE_PGM_RSRC2:USER_SGPR: 6
; COMPUTE_PGM_RSRC2:TRAP_HANDLER: 0
; COMPUTE_PGM_RSRC2:TGID_X_EN: 1
; COMPUTE_PGM_RSRC2:TGID_Y_EN: 0
; COMPUTE_PGM_RSRC2:TGID_Z_EN: 0
; COMPUTE_PGM_RSRC2:TIDIG_COMP_CNT: 1
	.section	.text._ZN2at6native12_GLOBAL__N_124RowwiseMomentsCUDAKernelIN3c104HalfEfLb1EEEvlT0_PKT_PS5_S9_,"axG",@progbits,_ZN2at6native12_GLOBAL__N_124RowwiseMomentsCUDAKernelIN3c104HalfEfLb1EEEvlT0_PKT_PS5_S9_,comdat
	.globl	_ZN2at6native12_GLOBAL__N_124RowwiseMomentsCUDAKernelIN3c104HalfEfLb1EEEvlT0_PKT_PS5_S9_ ; -- Begin function _ZN2at6native12_GLOBAL__N_124RowwiseMomentsCUDAKernelIN3c104HalfEfLb1EEEvlT0_PKT_PS5_S9_
	.p2align	8
	.type	_ZN2at6native12_GLOBAL__N_124RowwiseMomentsCUDAKernelIN3c104HalfEfLb1EEEvlT0_PKT_PS5_S9_,@function
_ZN2at6native12_GLOBAL__N_124RowwiseMomentsCUDAKernelIN3c104HalfEfLb1EEEvlT0_PKT_PS5_S9_: ; @_ZN2at6native12_GLOBAL__N_124RowwiseMomentsCUDAKernelIN3c104HalfEfLb1EEEvlT0_PKT_PS5_S9_
; %bb.0:
	s_load_dwordx2 s[0:1], s[4:5], 0x0
	v_mov_b32_e32 v1, 0
	v_mov_b32_e32 v2, 0
	s_mov_b32 s7, 0
	v_mov_b32_e32 v3, 0
	s_waitcnt lgkmcnt(0)
	v_cmp_gt_i64_e32 vcc, s[0:1], v[0:1]
	v_mov_b32_e32 v8, v1
	v_mov_b32_e32 v9, v1
	s_and_saveexec_b64 s[2:3], vcc
	s_cbranch_execz .LBB19_4
; %bb.1:
	s_load_dword s10, s[4:5], 0x34
	s_load_dwordx2 s[8:9], s[4:5], 0x10
	s_mul_i32 s11, s1, s6
	s_mul_hi_u32 s12, s0, s6
	s_add_i32 s11, s12, s11
	s_waitcnt lgkmcnt(0)
	s_and_b32 s12, s10, 0xffff
	s_mul_i32 s10, s0, s6
	s_lshl_b64 s[10:11], s[10:11], 1
	s_add_u32 s8, s8, s10
	v_lshlrev_b32_e32 v2, 1, v0
	s_addc_u32 s9, s9, s11
	v_mov_b32_e32 v3, s9
	v_add_co_u32_e32 v4, vcc, s8, v2
	v_mov_b32_e32 v7, v1
	v_mov_b32_e32 v8, 0
	v_addc_co_u32_e32 v5, vcc, 0, v3, vcc
	s_lshl_b32 s13, s12, 1
	s_mov_b64 s[8:9], 0
	v_mov_b32_e32 v6, v0
	s_mov_b64 s[10:11], 0
	v_mov_b32_e32 v9, 0
.LBB19_2:                               ; =>This Inner Loop Header: Depth=1
	global_load_ushort v1, v[4:5], off
	s_add_u32 s10, s10, 1
	s_addc_u32 s11, s11, 0
	s_flbit_i32_b32 s14, s11
	s_min_u32 s16, s14, 32
	s_lshl_b64 s[14:15], s[10:11], s16
	s_min_u32 s14, s14, 1
	s_or_b32 s14, s15, s14
	v_cvt_f32_u32_e32 v2, s14
	s_sub_i32 s16, 32, s16
	s_waitcnt vmcnt(0)
	v_cvt_f32_f16_e32 v10, v1
	v_ldexp_f32 v1, v2, s16
	v_sub_f32_e32 v11, v10, v9
	v_div_scale_f32 v2, s[14:15], v1, v1, v11
	v_div_scale_f32 v3, vcc, v11, v1, v11
	v_rcp_f32_e32 v12, v2
	v_fma_f32 v13, -v2, v12, 1.0
	v_fmac_f32_e32 v12, v13, v12
	v_mul_f32_e32 v13, v3, v12
	v_fma_f32 v14, -v2, v13, v3
	v_fmac_f32_e32 v13, v14, v12
	v_fma_f32 v2, -v2, v13, v3
	v_div_fmas_f32 v12, v2, v12, v13
	v_add_co_u32_e32 v6, vcc, s12, v6
	v_addc_co_u32_e32 v7, vcc, 0, v7, vcc
	v_add_co_u32_e32 v4, vcc, s13, v4
	v_addc_co_u32_e32 v5, vcc, 0, v5, vcc
	v_cmp_le_i64_e32 vcc, s[0:1], v[6:7]
	v_mov_b32_e32 v2, s10
	v_mov_b32_e32 v3, s11
	s_or_b64 s[8:9], vcc, s[8:9]
	v_div_fixup_f32 v12, v12, v1, v11
	v_add_f32_e32 v9, v9, v12
	v_sub_f32_e32 v10, v10, v9
	v_fmac_f32_e32 v8, v11, v10
	s_andn2_b64 exec, exec, s[8:9]
	s_cbranch_execnz .LBB19_2
; %bb.3:
	s_or_b64 exec, exec, s[8:9]
.LBB19_4:
	s_or_b64 exec, exec, s[2:3]
	v_mbcnt_lo_u32_b32 v4, -1, 0
	v_mbcnt_hi_u32_b32 v6, -1, v4
	v_mov_b32_e32 v4, 0x80
	v_lshl_or_b32 v7, v6, 2, v4
	ds_bpermute_b32 v13, v7, v9
	ds_bpermute_b32 v10, v7, v8
	;; [unrolled: 1-line block ×5, first 2 shown]
	v_cmp_neq_f32_e32 vcc, 0, v1
	s_and_saveexec_b64 s[0:1], vcc
	s_cbranch_execz .LBB19_8
; %bb.5:
	s_waitcnt lgkmcnt(0)
	v_cmp_neq_f32_e32 vcc, 0, v14
	s_and_saveexec_b64 s[2:3], vcc
	s_cbranch_execz .LBB19_7
; %bb.6:
	v_add_f32_e32 v4, v1, v14
	v_div_scale_f32 v2, s[8:9], v4, v4, v14
	v_div_scale_f32 v3, vcc, v14, v4, v14
	v_add_f32_e32 v8, v8, v10
	v_rcp_f32_e32 v5, v2
	v_fma_f32 v11, -v2, v5, 1.0
	v_fmac_f32_e32 v5, v11, v5
	v_mul_f32_e32 v11, v3, v5
	v_fma_f32 v12, -v2, v11, v3
	v_fmac_f32_e32 v11, v12, v5
	v_fma_f32 v2, -v2, v11, v3
	v_div_fmas_f32 v5, v2, v5, v11
	v_sub_f32_e32 v11, v13, v9
	v_mul_f32_e32 v10, v11, v11
	v_mov_b32_e32 v2, -1
	v_mul_f32_e32 v1, v1, v10
	v_mov_b32_e32 v3, -1
	v_div_fixup_f32 v5, v5, v4, v14
	v_fmac_f32_e32 v9, v11, v5
	v_fmac_f32_e32 v8, v1, v5
	v_mov_b32_e32 v1, v4
.LBB19_7:
	s_or_b64 exec, exec, s[2:3]
	v_mov_b32_e32 v5, v3
	v_mov_b32_e32 v14, v1
	;; [unrolled: 1-line block ×5, first 2 shown]
.LBB19_8:
	s_or_b64 exec, exec, s[0:1]
	v_and_b32_e32 v12, 63, v6
	v_cmp_gt_u32_e32 vcc, 48, v12
	v_cndmask_b32_e64 v1, 0, 16, vcc
	v_add_lshl_u32 v8, v1, v6, 2
	s_waitcnt lgkmcnt(4)
	ds_bpermute_b32 v15, v8, v13
	s_waitcnt lgkmcnt(4)
	ds_bpermute_b32 v11, v8, v10
	s_waitcnt lgkmcnt(4)
	ds_bpermute_b32 v1, v8, v4
	s_waitcnt lgkmcnt(4)
	ds_bpermute_b32 v2, v8, v5
	s_waitcnt lgkmcnt(4)
	ds_bpermute_b32 v16, v8, v14
	v_cmp_neq_f32_e32 vcc, 0, v14
	s_and_saveexec_b64 s[0:1], vcc
	s_cbranch_execz .LBB19_12
; %bb.9:
	s_waitcnt lgkmcnt(0)
	v_cmp_neq_f32_e32 vcc, 0, v16
	s_and_saveexec_b64 s[2:3], vcc
	s_cbranch_execz .LBB19_11
; %bb.10:
	v_add_f32_e32 v1, v14, v16
	v_div_scale_f32 v2, s[8:9], v1, v1, v16
	v_div_scale_f32 v3, vcc, v16, v1, v16
	v_add_f32_e32 v10, v10, v11
	v_rcp_f32_e32 v4, v2
	v_fma_f32 v5, -v2, v4, 1.0
	v_fmac_f32_e32 v4, v5, v4
	v_mul_f32_e32 v5, v3, v4
	v_fma_f32 v9, -v2, v5, v3
	v_fmac_f32_e32 v5, v9, v4
	v_fma_f32 v2, -v2, v5, v3
	v_div_fmas_f32 v2, v2, v4, v5
	v_sub_f32_e32 v3, v15, v13
	v_mul_f32_e32 v9, v3, v3
	v_mov_b32_e32 v4, -1
	v_mul_f32_e32 v9, v14, v9
	v_mov_b32_e32 v5, -1
	v_mov_b32_e32 v14, v1
	v_div_fixup_f32 v2, v2, v1, v16
	v_fmac_f32_e32 v13, v3, v2
	v_fmac_f32_e32 v10, v9, v2
.LBB19_11:
	s_or_b64 exec, exec, s[2:3]
	v_mov_b32_e32 v1, v4
	v_mov_b32_e32 v16, v14
	v_mov_b32_e32 v2, v5
	v_mov_b32_e32 v11, v10
	v_mov_b32_e32 v15, v13
.LBB19_12:
	s_or_b64 exec, exec, s[0:1]
	v_cmp_gt_u32_e32 vcc, 56, v12
	v_cndmask_b32_e64 v3, 0, 8, vcc
	v_add_lshl_u32 v9, v3, v6, 2
	s_waitcnt lgkmcnt(4)
	ds_bpermute_b32 v14, v9, v15
	s_waitcnt lgkmcnt(4)
	ds_bpermute_b32 v5, v9, v11
	s_waitcnt lgkmcnt(4)
	ds_bpermute_b32 v3, v9, v1
	s_waitcnt lgkmcnt(4)
	ds_bpermute_b32 v4, v9, v2
	s_waitcnt lgkmcnt(4)
	ds_bpermute_b32 v17, v9, v16
	v_cmp_neq_f32_e32 vcc, 0, v16
	s_and_saveexec_b64 s[0:1], vcc
	s_cbranch_execz .LBB19_16
; %bb.13:
	s_waitcnt lgkmcnt(0)
	v_cmp_neq_f32_e32 vcc, 0, v17
	s_and_saveexec_b64 s[2:3], vcc
	s_cbranch_execz .LBB19_15
; %bb.14:
	v_add_f32_e32 v3, v16, v17
	v_div_scale_f32 v1, s[8:9], v3, v3, v17
	v_div_scale_f32 v2, vcc, v17, v3, v17
	v_add_f32_e32 v11, v11, v5
	v_rcp_f32_e32 v4, v1
	v_fma_f32 v10, -v1, v4, 1.0
	v_fmac_f32_e32 v4, v10, v4
	v_mul_f32_e32 v10, v2, v4
	v_fma_f32 v13, -v1, v10, v2
	v_fmac_f32_e32 v10, v13, v4
	v_fma_f32 v1, -v1, v10, v2
	v_div_fmas_f32 v4, v1, v4, v10
	v_sub_f32_e32 v10, v14, v15
	v_mul_f32_e32 v5, v10, v10
	v_mov_b32_e32 v1, -1
	v_mul_f32_e32 v5, v16, v5
	v_mov_b32_e32 v2, -1
	v_mov_b32_e32 v16, v3
	v_div_fixup_f32 v4, v4, v3, v17
	v_fmac_f32_e32 v15, v10, v4
	v_fmac_f32_e32 v11, v5, v4
.LBB19_15:
	s_or_b64 exec, exec, s[2:3]
	v_mov_b32_e32 v4, v2
	v_mov_b32_e32 v17, v16
	v_mov_b32_e32 v3, v1
	v_mov_b32_e32 v5, v11
	v_mov_b32_e32 v14, v15
.LBB19_16:
	s_or_b64 exec, exec, s[0:1]
	v_cmp_gt_u32_e32 vcc, 60, v12
	v_cndmask_b32_e64 v1, 0, 4, vcc
	v_add_lshl_u32 v10, v1, v6, 2
	s_waitcnt lgkmcnt(4)
	ds_bpermute_b32 v15, v10, v14
	s_waitcnt lgkmcnt(4)
	ds_bpermute_b32 v13, v10, v5
	s_waitcnt lgkmcnt(4)
	ds_bpermute_b32 v1, v10, v3
	s_waitcnt lgkmcnt(4)
	ds_bpermute_b32 v2, v10, v4
	s_waitcnt lgkmcnt(4)
	ds_bpermute_b32 v18, v10, v17
	v_cmp_neq_f32_e32 vcc, 0, v17
	s_and_saveexec_b64 s[0:1], vcc
	s_cbranch_execz .LBB19_20
; %bb.17:
	s_waitcnt lgkmcnt(0)
	v_cmp_neq_f32_e32 vcc, 0, v18
	s_and_saveexec_b64 s[2:3], vcc
	s_cbranch_execz .LBB19_19
; %bb.18:
	v_add_f32_e32 v1, v17, v18
	v_div_scale_f32 v2, s[8:9], v1, v1, v18
	v_div_scale_f32 v3, vcc, v18, v1, v18
	v_add_f32_e32 v5, v5, v13
	v_rcp_f32_e32 v4, v2
	v_fma_f32 v11, -v2, v4, 1.0
	v_fmac_f32_e32 v4, v11, v4
	v_mul_f32_e32 v11, v3, v4
	v_fma_f32 v16, -v2, v11, v3
	v_fmac_f32_e32 v11, v16, v4
	v_fma_f32 v2, -v2, v11, v3
	v_div_fmas_f32 v2, v2, v4, v11
	v_sub_f32_e32 v11, v15, v14
	v_mul_f32_e32 v13, v11, v11
	v_mov_b32_e32 v3, -1
	v_mul_f32_e32 v13, v17, v13
	v_mov_b32_e32 v4, -1
	v_mov_b32_e32 v17, v1
	v_div_fixup_f32 v2, v2, v1, v18
	v_fmac_f32_e32 v14, v11, v2
	v_fmac_f32_e32 v5, v13, v2
.LBB19_19:
	s_or_b64 exec, exec, s[2:3]
	v_mov_b32_e32 v1, v3
	v_mov_b32_e32 v18, v17
	v_mov_b32_e32 v2, v4
	v_mov_b32_e32 v13, v5
	v_mov_b32_e32 v15, v14
.LBB19_20:
	s_or_b64 exec, exec, s[0:1]
	v_cmp_gt_u32_e32 vcc, 62, v12
	v_cndmask_b32_e64 v3, 0, 2, vcc
	v_add_lshl_u32 v11, v3, v6, 2
	s_waitcnt lgkmcnt(4)
	ds_bpermute_b32 v16, v11, v15
	s_waitcnt lgkmcnt(4)
	ds_bpermute_b32 v14, v11, v13
	s_waitcnt lgkmcnt(4)
	ds_bpermute_b32 v3, v11, v1
	s_waitcnt lgkmcnt(4)
	ds_bpermute_b32 v4, v11, v2
	s_waitcnt lgkmcnt(4)
	ds_bpermute_b32 v17, v11, v18
	v_cmp_neq_f32_e32 vcc, 0, v18
	s_and_saveexec_b64 s[0:1], vcc
	s_cbranch_execz .LBB19_24
; %bb.21:
	s_waitcnt lgkmcnt(0)
	v_cmp_neq_f32_e32 vcc, 0, v17
	s_and_saveexec_b64 s[2:3], vcc
	s_cbranch_execz .LBB19_23
; %bb.22:
	v_add_f32_e32 v3, v18, v17
	v_div_scale_f32 v1, s[8:9], v3, v3, v17
	v_div_scale_f32 v2, vcc, v17, v3, v17
	v_add_f32_e32 v13, v13, v14
	v_rcp_f32_e32 v4, v1
	v_fma_f32 v5, -v1, v4, 1.0
	v_fmac_f32_e32 v4, v5, v4
	v_mul_f32_e32 v5, v2, v4
	v_fma_f32 v19, -v1, v5, v2
	v_fmac_f32_e32 v5, v19, v4
	v_fma_f32 v1, -v1, v5, v2
	v_div_fmas_f32 v4, v1, v4, v5
	v_sub_f32_e32 v5, v16, v15
	v_mul_f32_e32 v14, v5, v5
	v_mov_b32_e32 v1, -1
	v_mul_f32_e32 v14, v18, v14
	v_mov_b32_e32 v2, -1
	v_mov_b32_e32 v18, v3
	v_div_fixup_f32 v4, v4, v3, v17
	v_fmac_f32_e32 v15, v5, v4
	v_fmac_f32_e32 v13, v14, v4
.LBB19_23:
	s_or_b64 exec, exec, s[2:3]
	v_mov_b32_e32 v4, v2
	v_mov_b32_e32 v17, v18
	v_mov_b32_e32 v3, v1
	v_mov_b32_e32 v14, v13
	v_mov_b32_e32 v16, v15
.LBB19_24:
	s_or_b64 exec, exec, s[0:1]
	v_cmp_ne_u32_e32 vcc, 63, v12
	v_addc_co_u32_e32 v1, vcc, 0, v6, vcc
	v_lshlrev_b32_e32 v12, 2, v1
	s_waitcnt lgkmcnt(4)
	ds_bpermute_b32 v1, v12, v16
	s_waitcnt lgkmcnt(4)
	ds_bpermute_b32 v2, v12, v14
	;; [unrolled: 2-line block ×5, first 2 shown]
	v_cmp_neq_f32_e32 vcc, 0, v17
	s_and_saveexec_b64 s[0:1], vcc
	s_cbranch_execz .LBB19_28
; %bb.25:
	s_waitcnt lgkmcnt(0)
	v_cmp_neq_f32_e32 vcc, 0, v13
	s_and_saveexec_b64 s[2:3], vcc
	s_cbranch_execz .LBB19_27
; %bb.26:
	v_add_f32_e32 v5, v17, v13
	v_div_scale_f32 v3, s[8:9], v5, v5, v13
	v_div_scale_f32 v4, vcc, v13, v5, v13
	v_sub_f32_e32 v1, v1, v16
	v_add_f32_e32 v14, v14, v2
	v_mul_f32_e32 v2, v1, v1
	v_mul_f32_e32 v2, v17, v2
	v_mov_b32_e32 v17, v5
	v_rcp_f32_e32 v6, v3
	v_fma_f32 v15, -v3, v6, 1.0
	v_fmac_f32_e32 v6, v15, v6
	v_mul_f32_e32 v15, v4, v6
	v_fma_f32 v18, -v3, v15, v4
	v_fmac_f32_e32 v15, v18, v6
	v_fma_f32 v3, -v3, v15, v4
	v_div_fmas_f32 v6, v3, v6, v15
	v_mov_b32_e32 v3, -1
	v_mov_b32_e32 v4, -1
	v_div_fixup_f32 v6, v6, v5, v13
	v_fmac_f32_e32 v16, v1, v6
	v_fmac_f32_e32 v14, v2, v6
.LBB19_27:
	s_or_b64 exec, exec, s[2:3]
	v_mov_b32_e32 v6, v4
	v_mov_b32_e32 v13, v17
	;; [unrolled: 1-line block ×5, first 2 shown]
.LBB19_28:
	s_or_b64 exec, exec, s[0:1]
	v_and_b32_e32 v3, 63, v0
	v_cmp_eq_u32_e32 vcc, 0, v3
	s_waitcnt lgkmcnt(0)
	s_barrier
	s_and_saveexec_b64 s[0:1], vcc
	s_cbranch_execz .LBB19_30
; %bb.29:
	v_lshrrev_b32_e32 v4, 6, v0
	v_mul_u32_u24_e32 v4, 24, v4
	ds_write2_b64 v4, v[1:2], v[5:6] offset1:1
	ds_write_b32 v4, v13 offset:16
.LBB19_30:
	s_or_b64 exec, exec, s[0:1]
	s_waitcnt lgkmcnt(0)
	s_barrier
	s_load_dword s0, s[4:5], 0x34
	v_mul_u32_u24_e32 v4, 24, v3
	v_mov_b32_e32 v1, 0
	v_mov_b32_e32 v2, 0
	s_waitcnt lgkmcnt(0)
	s_bfe_u32 s0, s0, 0xa0006
	v_cmp_gt_u32_e32 vcc, s0, v0
	s_and_saveexec_b64 s[0:1], vcc
	s_cbranch_execnz .LBB19_36
; %bb.31:
	s_or_b64 exec, exec, s[0:1]
	s_and_saveexec_b64 s[0:1], vcc
	s_cbranch_execnz .LBB19_37
.LBB19_32:
	s_or_b64 exec, exec, s[0:1]
	v_mov_b32_e32 v3, 0
	s_and_saveexec_b64 s[0:1], vcc
	s_cbranch_execnz .LBB19_38
.LBB19_33:
	s_or_b64 exec, exec, s[0:1]
	v_cmp_gt_u32_e32 vcc, 64, v0
	s_and_saveexec_b64 s[0:1], vcc
	s_cbranch_execnz .LBB19_39
.LBB19_34:
	s_or_b64 exec, exec, s[0:1]
	v_cmp_eq_u32_e32 vcc, 0, v0
	s_and_saveexec_b64 s[0:1], vcc
	s_cbranch_execnz .LBB19_64
.LBB19_35:
	s_endpgm
.LBB19_36:
	ds_read_b32 v2, v4
	s_or_b64 exec, exec, s[0:1]
	s_and_saveexec_b64 s[0:1], vcc
	s_cbranch_execz .LBB19_32
.LBB19_37:
	ds_read_b32 v1, v4 offset:4
	s_or_b64 exec, exec, s[0:1]
	v_mov_b32_e32 v3, 0
	s_and_saveexec_b64 s[0:1], vcc
	s_cbranch_execz .LBB19_33
.LBB19_38:
	ds_read_b32 v3, v4 offset:16
	s_or_b64 exec, exec, s[0:1]
	v_cmp_gt_u32_e32 vcc, 64, v0
	s_and_saveexec_b64 s[0:1], vcc
	s_cbranch_execz .LBB19_34
.LBB19_39:
	s_waitcnt lgkmcnt(0)
	ds_bpermute_b32 v5, v7, v2
	ds_bpermute_b32 v4, v7, v1
	;; [unrolled: 1-line block ×3, first 2 shown]
	v_cmp_neq_f32_e32 vcc, 0, v3
	s_and_saveexec_b64 s[2:3], vcc
	s_cbranch_execz .LBB19_43
; %bb.40:
	s_waitcnt lgkmcnt(0)
	v_cmp_neq_f32_e32 vcc, 0, v6
	s_and_saveexec_b64 s[8:9], vcc
	s_cbranch_execz .LBB19_42
; %bb.41:
	v_add_f32_e32 v7, v3, v6
	v_div_scale_f32 v13, s[10:11], v7, v7, v6
	v_div_scale_f32 v14, vcc, v6, v7, v6
	v_sub_f32_e32 v5, v5, v2
	v_add_f32_e32 v1, v1, v4
	v_mul_f32_e32 v4, v5, v5
	v_mul_f32_e32 v3, v3, v4
	v_rcp_f32_e32 v15, v13
	v_fma_f32 v16, -v13, v15, 1.0
	v_fmac_f32_e32 v15, v16, v15
	v_mul_f32_e32 v16, v14, v15
	v_fma_f32 v17, -v13, v16, v14
	v_fmac_f32_e32 v16, v17, v15
	v_fma_f32 v13, -v13, v16, v14
	v_div_fmas_f32 v13, v13, v15, v16
	v_div_fixup_f32 v4, v13, v7, v6
	v_fmac_f32_e32 v2, v5, v4
	v_fmac_f32_e32 v1, v3, v4
	v_mov_b32_e32 v3, v7
.LBB19_42:
	s_or_b64 exec, exec, s[8:9]
	v_mov_b32_e32 v6, v3
	v_mov_b32_e32 v4, v1
	;; [unrolled: 1-line block ×3, first 2 shown]
.LBB19_43:
	s_or_b64 exec, exec, s[2:3]
	s_waitcnt lgkmcnt(2)
	ds_bpermute_b32 v3, v8, v5
	s_waitcnt lgkmcnt(2)
	ds_bpermute_b32 v1, v8, v4
	;; [unrolled: 2-line block ×3, first 2 shown]
	v_cmp_neq_f32_e32 vcc, 0, v6
	s_and_saveexec_b64 s[2:3], vcc
	s_cbranch_execz .LBB19_47
; %bb.44:
	s_waitcnt lgkmcnt(0)
	v_cmp_neq_f32_e32 vcc, 0, v7
	s_and_saveexec_b64 s[8:9], vcc
	s_cbranch_execz .LBB19_46
; %bb.45:
	v_add_f32_e32 v2, v6, v7
	v_div_scale_f32 v8, s[10:11], v2, v2, v7
	v_div_scale_f32 v13, vcc, v7, v2, v7
	v_sub_f32_e32 v3, v3, v5
	v_add_f32_e32 v4, v4, v1
	v_mul_f32_e32 v1, v3, v3
	v_mul_f32_e32 v1, v6, v1
	v_rcp_f32_e32 v14, v8
	v_fma_f32 v15, -v8, v14, 1.0
	v_fmac_f32_e32 v14, v15, v14
	v_mul_f32_e32 v15, v13, v14
	v_fma_f32 v16, -v8, v15, v13
	v_fmac_f32_e32 v15, v16, v14
	v_fma_f32 v8, -v8, v15, v13
	v_div_fmas_f32 v8, v8, v14, v15
	v_div_fixup_f32 v6, v8, v2, v7
	v_fmac_f32_e32 v5, v3, v6
	v_fmac_f32_e32 v4, v1, v6
	v_mov_b32_e32 v6, v2
.LBB19_46:
	s_or_b64 exec, exec, s[8:9]
	v_mov_b32_e32 v7, v6
	v_mov_b32_e32 v1, v4
	;; [unrolled: 1-line block ×3, first 2 shown]
.LBB19_47:
	s_or_b64 exec, exec, s[2:3]
	s_waitcnt lgkmcnt(2)
	ds_bpermute_b32 v4, v9, v3
	s_waitcnt lgkmcnt(2)
	ds_bpermute_b32 v2, v9, v1
	s_waitcnt lgkmcnt(2)
	ds_bpermute_b32 v5, v9, v7
	v_cmp_neq_f32_e32 vcc, 0, v7
	s_and_saveexec_b64 s[2:3], vcc
	s_cbranch_execz .LBB19_51
; %bb.48:
	s_waitcnt lgkmcnt(0)
	v_cmp_neq_f32_e32 vcc, 0, v5
	s_and_saveexec_b64 s[8:9], vcc
	s_cbranch_execz .LBB19_50
; %bb.49:
	v_add_f32_e32 v6, v7, v5
	v_div_scale_f32 v8, s[10:11], v6, v6, v5
	v_div_scale_f32 v9, vcc, v5, v6, v5
	v_sub_f32_e32 v4, v4, v3
	v_add_f32_e32 v1, v1, v2
	v_mul_f32_e32 v2, v4, v4
	v_mul_f32_e32 v2, v7, v2
	v_mov_b32_e32 v7, v6
	v_rcp_f32_e32 v13, v8
	v_fma_f32 v14, -v8, v13, 1.0
	v_fmac_f32_e32 v13, v14, v13
	v_mul_f32_e32 v14, v9, v13
	v_fma_f32 v15, -v8, v14, v9
	v_fmac_f32_e32 v14, v15, v13
	v_fma_f32 v8, -v8, v14, v9
	v_div_fmas_f32 v8, v8, v13, v14
	v_div_fixup_f32 v5, v8, v6, v5
	v_fmac_f32_e32 v3, v4, v5
	v_fmac_f32_e32 v1, v2, v5
.LBB19_50:
	s_or_b64 exec, exec, s[8:9]
	v_mov_b32_e32 v5, v7
	v_mov_b32_e32 v2, v1
	;; [unrolled: 1-line block ×3, first 2 shown]
.LBB19_51:
	s_or_b64 exec, exec, s[2:3]
	s_waitcnt lgkmcnt(2)
	ds_bpermute_b32 v3, v10, v4
	s_waitcnt lgkmcnt(2)
	ds_bpermute_b32 v1, v10, v2
	s_waitcnt lgkmcnt(2)
	ds_bpermute_b32 v7, v10, v5
	v_cmp_neq_f32_e32 vcc, 0, v5
	s_and_saveexec_b64 s[2:3], vcc
	s_cbranch_execz .LBB19_55
; %bb.52:
	s_waitcnt lgkmcnt(0)
	v_cmp_neq_f32_e32 vcc, 0, v7
	s_and_saveexec_b64 s[8:9], vcc
	s_cbranch_execz .LBB19_54
; %bb.53:
	v_add_f32_e32 v6, v5, v7
	v_div_scale_f32 v8, s[10:11], v6, v6, v7
	v_div_scale_f32 v9, vcc, v7, v6, v7
	v_sub_f32_e32 v3, v3, v4
	v_add_f32_e32 v2, v2, v1
	v_mul_f32_e32 v1, v3, v3
	v_mul_f32_e32 v1, v5, v1
	v_rcp_f32_e32 v10, v8
	v_fma_f32 v13, -v8, v10, 1.0
	v_fmac_f32_e32 v10, v13, v10
	v_mul_f32_e32 v13, v9, v10
	v_fma_f32 v14, -v8, v13, v9
	v_fmac_f32_e32 v13, v14, v10
	v_fma_f32 v8, -v8, v13, v9
	v_div_fmas_f32 v8, v8, v10, v13
	v_div_fixup_f32 v5, v8, v6, v7
	v_fmac_f32_e32 v4, v3, v5
	v_fmac_f32_e32 v2, v1, v5
	v_mov_b32_e32 v5, v6
.LBB19_54:
	s_or_b64 exec, exec, s[8:9]
	v_mov_b32_e32 v7, v5
	v_mov_b32_e32 v1, v2
	;; [unrolled: 1-line block ×3, first 2 shown]
.LBB19_55:
	s_or_b64 exec, exec, s[2:3]
	s_waitcnt lgkmcnt(2)
	ds_bpermute_b32 v6, v11, v3
	s_waitcnt lgkmcnt(2)
	ds_bpermute_b32 v4, v11, v1
	;; [unrolled: 2-line block ×3, first 2 shown]
	v_cmp_neq_f32_e32 vcc, 0, v7
	s_and_saveexec_b64 s[2:3], vcc
	s_cbranch_execz .LBB19_59
; %bb.56:
	s_waitcnt lgkmcnt(0)
	v_cmp_neq_f32_e32 vcc, 0, v5
	s_and_saveexec_b64 s[8:9], vcc
	s_cbranch_execz .LBB19_58
; %bb.57:
	v_add_f32_e32 v2, v7, v5
	v_div_scale_f32 v8, s[10:11], v2, v2, v5
	v_div_scale_f32 v9, vcc, v5, v2, v5
	v_sub_f32_e32 v6, v6, v3
	v_add_f32_e32 v1, v1, v4
	v_mul_f32_e32 v4, v6, v6
	v_mul_f32_e32 v4, v7, v4
	v_mov_b32_e32 v7, v2
	v_rcp_f32_e32 v10, v8
	v_fma_f32 v11, -v8, v10, 1.0
	v_fmac_f32_e32 v10, v11, v10
	v_mul_f32_e32 v11, v9, v10
	v_fma_f32 v13, -v8, v11, v9
	v_fmac_f32_e32 v11, v13, v10
	v_fma_f32 v8, -v8, v11, v9
	v_div_fmas_f32 v8, v8, v10, v11
	v_div_fixup_f32 v5, v8, v2, v5
	v_fmac_f32_e32 v3, v6, v5
	v_fmac_f32_e32 v1, v4, v5
.LBB19_58:
	s_or_b64 exec, exec, s[8:9]
	v_mov_b32_e32 v5, v7
	v_mov_b32_e32 v4, v1
	v_mov_b32_e32 v6, v3
.LBB19_59:
	s_or_b64 exec, exec, s[2:3]
	s_waitcnt lgkmcnt(2)
	ds_bpermute_b32 v2, v12, v6
	s_waitcnt lgkmcnt(2)
	ds_bpermute_b32 v1, v12, v4
	s_waitcnt lgkmcnt(2)
	ds_bpermute_b32 v3, v12, v5
	v_cmp_neq_f32_e32 vcc, 0, v5
	s_and_saveexec_b64 s[2:3], vcc
	s_cbranch_execz .LBB19_63
; %bb.60:
	s_waitcnt lgkmcnt(0)
	v_cmp_neq_f32_e32 vcc, 0, v3
	s_and_saveexec_b64 s[8:9], vcc
	s_cbranch_execz .LBB19_62
; %bb.61:
	v_add_f32_e32 v7, v5, v3
	v_div_scale_f32 v8, s[10:11], v7, v7, v3
	v_div_scale_f32 v9, vcc, v3, v7, v3
	v_sub_f32_e32 v2, v2, v6
	v_add_f32_e32 v4, v4, v1
	v_mul_f32_e32 v1, v2, v2
	v_mul_f32_e32 v1, v5, v1
	v_mov_b32_e32 v5, v7
	v_rcp_f32_e32 v10, v8
	v_fma_f32 v11, -v8, v10, 1.0
	v_fmac_f32_e32 v10, v11, v10
	v_mul_f32_e32 v11, v9, v10
	v_fma_f32 v12, -v8, v11, v9
	v_fmac_f32_e32 v11, v12, v10
	v_fma_f32 v8, -v8, v11, v9
	v_div_fmas_f32 v8, v8, v10, v11
	v_div_fixup_f32 v3, v8, v7, v3
	v_fmac_f32_e32 v6, v2, v3
	v_fmac_f32_e32 v4, v1, v3
.LBB19_62:
	s_or_b64 exec, exec, s[8:9]
	v_mov_b32_e32 v3, v5
	v_mov_b32_e32 v1, v4
	;; [unrolled: 1-line block ×3, first 2 shown]
.LBB19_63:
	s_or_b64 exec, exec, s[2:3]
	s_or_b64 exec, exec, s[0:1]
	v_cmp_eq_u32_e32 vcc, 0, v0
	s_and_saveexec_b64 s[0:1], vcc
	s_cbranch_execz .LBB19_35
.LBB19_64:
	s_waitcnt lgkmcnt(0)
	v_max_f32_e32 v0, v3, v3
	v_max_f32_e32 v0, 0, v0
	v_div_scale_f32 v3, s[0:1], v0, v0, v1
	v_div_scale_f32 v4, vcc, v1, v0, v1
	s_load_dword s2, s[4:5], 0x8
	s_load_dwordx2 s[0:1], s[4:5], 0x20
	s_mov_b32 s3, 0x800000
	v_rcp_f32_e32 v5, v3
	v_fma_f32 v6, -v3, v5, 1.0
	v_fmac_f32_e32 v5, v6, v5
	v_mul_f32_e32 v6, v4, v5
	v_fma_f32 v7, -v3, v6, v4
	v_fmac_f32_e32 v6, v7, v5
	v_fma_f32 v3, -v3, v6, v4
	v_div_fmas_f32 v3, v3, v5, v6
	v_div_fixup_f32 v0, v3, v0, v1
	v_fmac_f32_e32 v0, v2, v2
	s_waitcnt lgkmcnt(0)
	v_add_f32_e32 v0, s2, v0
	v_mul_f32_e32 v1, 0x4b800000, v0
	v_cmp_gt_f32_e32 vcc, s3, v0
	v_cndmask_b32_e32 v0, v0, v1, vcc
	v_rsq_f32_e32 v0, v0
	s_lshl_b64 s[2:3], s[6:7], 2
	s_add_u32 s0, s0, s2
	s_addc_u32 s1, s1, s3
	v_mul_f32_e32 v1, 0x45800000, v0
	v_cndmask_b32_e32 v0, v0, v1, vcc
	v_mov_b32_e32 v1, 0
	global_store_dword v1, v0, s[0:1]
	s_endpgm
	.section	.rodata,"a",@progbits
	.p2align	6, 0x0
	.amdhsa_kernel _ZN2at6native12_GLOBAL__N_124RowwiseMomentsCUDAKernelIN3c104HalfEfLb1EEEvlT0_PKT_PS5_S9_
		.amdhsa_group_segment_fixed_size 1536
		.amdhsa_private_segment_fixed_size 0
		.amdhsa_kernarg_size 296
		.amdhsa_user_sgpr_count 6
		.amdhsa_user_sgpr_private_segment_buffer 1
		.amdhsa_user_sgpr_dispatch_ptr 0
		.amdhsa_user_sgpr_queue_ptr 0
		.amdhsa_user_sgpr_kernarg_segment_ptr 1
		.amdhsa_user_sgpr_dispatch_id 0
		.amdhsa_user_sgpr_flat_scratch_init 0
		.amdhsa_user_sgpr_private_segment_size 0
		.amdhsa_uses_dynamic_stack 0
		.amdhsa_system_sgpr_private_segment_wavefront_offset 0
		.amdhsa_system_sgpr_workgroup_id_x 1
		.amdhsa_system_sgpr_workgroup_id_y 0
		.amdhsa_system_sgpr_workgroup_id_z 0
		.amdhsa_system_sgpr_workgroup_info 0
		.amdhsa_system_vgpr_workitem_id 0
		.amdhsa_next_free_vgpr 20
		.amdhsa_next_free_sgpr 17
		.amdhsa_reserve_vcc 1
		.amdhsa_reserve_flat_scratch 0
		.amdhsa_float_round_mode_32 0
		.amdhsa_float_round_mode_16_64 0
		.amdhsa_float_denorm_mode_32 3
		.amdhsa_float_denorm_mode_16_64 3
		.amdhsa_dx10_clamp 1
		.amdhsa_ieee_mode 1
		.amdhsa_fp16_overflow 0
		.amdhsa_exception_fp_ieee_invalid_op 0
		.amdhsa_exception_fp_denorm_src 0
		.amdhsa_exception_fp_ieee_div_zero 0
		.amdhsa_exception_fp_ieee_overflow 0
		.amdhsa_exception_fp_ieee_underflow 0
		.amdhsa_exception_fp_ieee_inexact 0
		.amdhsa_exception_int_div_zero 0
	.end_amdhsa_kernel
	.section	.text._ZN2at6native12_GLOBAL__N_124RowwiseMomentsCUDAKernelIN3c104HalfEfLb1EEEvlT0_PKT_PS5_S9_,"axG",@progbits,_ZN2at6native12_GLOBAL__N_124RowwiseMomentsCUDAKernelIN3c104HalfEfLb1EEEvlT0_PKT_PS5_S9_,comdat
.Lfunc_end19:
	.size	_ZN2at6native12_GLOBAL__N_124RowwiseMomentsCUDAKernelIN3c104HalfEfLb1EEEvlT0_PKT_PS5_S9_, .Lfunc_end19-_ZN2at6native12_GLOBAL__N_124RowwiseMomentsCUDAKernelIN3c104HalfEfLb1EEEvlT0_PKT_PS5_S9_
                                        ; -- End function
	.set _ZN2at6native12_GLOBAL__N_124RowwiseMomentsCUDAKernelIN3c104HalfEfLb1EEEvlT0_PKT_PS5_S9_.num_vgpr, 20
	.set _ZN2at6native12_GLOBAL__N_124RowwiseMomentsCUDAKernelIN3c104HalfEfLb1EEEvlT0_PKT_PS5_S9_.num_agpr, 0
	.set _ZN2at6native12_GLOBAL__N_124RowwiseMomentsCUDAKernelIN3c104HalfEfLb1EEEvlT0_PKT_PS5_S9_.numbered_sgpr, 17
	.set _ZN2at6native12_GLOBAL__N_124RowwiseMomentsCUDAKernelIN3c104HalfEfLb1EEEvlT0_PKT_PS5_S9_.num_named_barrier, 0
	.set _ZN2at6native12_GLOBAL__N_124RowwiseMomentsCUDAKernelIN3c104HalfEfLb1EEEvlT0_PKT_PS5_S9_.private_seg_size, 0
	.set _ZN2at6native12_GLOBAL__N_124RowwiseMomentsCUDAKernelIN3c104HalfEfLb1EEEvlT0_PKT_PS5_S9_.uses_vcc, 1
	.set _ZN2at6native12_GLOBAL__N_124RowwiseMomentsCUDAKernelIN3c104HalfEfLb1EEEvlT0_PKT_PS5_S9_.uses_flat_scratch, 0
	.set _ZN2at6native12_GLOBAL__N_124RowwiseMomentsCUDAKernelIN3c104HalfEfLb1EEEvlT0_PKT_PS5_S9_.has_dyn_sized_stack, 0
	.set _ZN2at6native12_GLOBAL__N_124RowwiseMomentsCUDAKernelIN3c104HalfEfLb1EEEvlT0_PKT_PS5_S9_.has_recursion, 0
	.set _ZN2at6native12_GLOBAL__N_124RowwiseMomentsCUDAKernelIN3c104HalfEfLb1EEEvlT0_PKT_PS5_S9_.has_indirect_call, 0
	.section	.AMDGPU.csdata,"",@progbits
; Kernel info:
; codeLenInByte = 3372
; TotalNumSgprs: 21
; NumVgprs: 20
; ScratchSize: 0
; MemoryBound: 0
; FloatMode: 240
; IeeeMode: 1
; LDSByteSize: 1536 bytes/workgroup (compile time only)
; SGPRBlocks: 2
; VGPRBlocks: 4
; NumSGPRsForWavesPerEU: 21
; NumVGPRsForWavesPerEU: 20
; Occupancy: 10
; WaveLimiterHint : 0
; COMPUTE_PGM_RSRC2:SCRATCH_EN: 0
; COMPUTE_PGM_RSRC2:USER_SGPR: 6
; COMPUTE_PGM_RSRC2:TRAP_HANDLER: 0
; COMPUTE_PGM_RSRC2:TGID_X_EN: 1
; COMPUTE_PGM_RSRC2:TGID_Y_EN: 0
; COMPUTE_PGM_RSRC2:TGID_Z_EN: 0
; COMPUTE_PGM_RSRC2:TIDIG_COMP_CNT: 0
	.section	.text._ZN2at6native12_GLOBAL__N_126LayerNormForwardCUDAKernelIN3c104HalfEfLb1EEEvlPKT_PKT0_SA_S7_S7_PS5_,"axG",@progbits,_ZN2at6native12_GLOBAL__N_126LayerNormForwardCUDAKernelIN3c104HalfEfLb1EEEvlPKT_PKT0_SA_S7_S7_PS5_,comdat
	.globl	_ZN2at6native12_GLOBAL__N_126LayerNormForwardCUDAKernelIN3c104HalfEfLb1EEEvlPKT_PKT0_SA_S7_S7_PS5_ ; -- Begin function _ZN2at6native12_GLOBAL__N_126LayerNormForwardCUDAKernelIN3c104HalfEfLb1EEEvlPKT_PKT0_SA_S7_S7_PS5_
	.p2align	8
	.type	_ZN2at6native12_GLOBAL__N_126LayerNormForwardCUDAKernelIN3c104HalfEfLb1EEEvlPKT_PKT0_SA_S7_S7_PS5_,@function
_ZN2at6native12_GLOBAL__N_126LayerNormForwardCUDAKernelIN3c104HalfEfLb1EEEvlPKT_PKT0_SA_S7_S7_PS5_: ; @_ZN2at6native12_GLOBAL__N_126LayerNormForwardCUDAKernelIN3c104HalfEfLb1EEEvlPKT_PKT0_SA_S7_S7_PS5_
; %bb.0:
	s_load_dwordx4 s[8:11], s[4:5], 0x0
	v_mov_b32_e32 v1, 0
	s_waitcnt lgkmcnt(0)
	v_cmp_gt_i64_e32 vcc, s[8:9], v[0:1]
	s_and_saveexec_b64 s[0:1], vcc
	s_cbranch_execz .LBB20_6
; %bb.1:
	s_load_dwordx4 s[12:15], s[4:5], 0x18
	s_load_dwordx2 s[0:1], s[4:5], 0x30
	s_load_dword s18, s[4:5], 0x44
	s_mov_b32 s7, 0
	s_mov_b64 s[16:17], 0
	s_waitcnt lgkmcnt(0)
	s_cmp_lg_u64 s[14:15], 0
	s_cselect_b64 s[2:3], -1, 0
	s_lshl_b64 s[4:5], s[6:7], 2
	s_add_u32 s4, s12, s4
	s_mul_i32 s7, s9, s6
	s_mul_hi_u32 s12, s8, s6
	s_addc_u32 s5, s13, s5
	s_add_i32 s7, s12, s7
	s_mul_i32 s6, s8, s6
	s_load_dword s4, s[4:5], 0x0
	s_and_b32 s5, s18, 0xffff
	s_lshl_b64 s[12:13], s[6:7], 1
	s_add_u32 s6, s10, s12
	s_addc_u32 s11, s11, s13
	s_lshl_b32 s7, s5, 1
	s_add_u32 s10, s0, s12
	s_addc_u32 s12, s1, s13
	v_cndmask_b32_e64 v4, 0, 1, s[2:3]
	v_lshlrev_b32_e32 v2, 1, v0
	v_mov_b32_e32 v3, v1
	v_cmp_ne_u32_e64 s[0:1], 1, v4
	v_mov_b32_e32 v4, s11
	v_mov_b32_e32 v5, s12
	s_branch .LBB20_4
.LBB20_2:                               ;   in Loop: Header=BB20_4 Depth=1
	v_mov_b32_e32 v7, s15
	v_add_co_u32_e32 v6, vcc, s14, v2
	v_addc_co_u32_e32 v7, vcc, v7, v3, vcc
	global_load_ushort v6, v[6:7], off
	s_waitcnt vmcnt(0)
	v_cvt_f32_f16_e32 v6, v6
.LBB20_3:                               ;   in Loop: Header=BB20_4 Depth=1
	v_add_co_u32_e32 v7, vcc, s6, v2
	v_addc_co_u32_e32 v8, vcc, v4, v3, vcc
	global_load_ushort v7, v[7:8], off
	v_add_co_u32_e32 v0, vcc, s5, v0
	v_addc_co_u32_e32 v1, vcc, 0, v1, vcc
	v_cmp_le_i64_e32 vcc, s[8:9], v[0:1]
	s_or_b64 s[16:17], vcc, s[16:17]
	s_waitcnt vmcnt(0)
	v_cvt_f32_f16_e32 v9, v7
	v_add_co_u32_e64 v7, s[2:3], s10, v2
	v_add_co_u32_e32 v2, vcc, s7, v2
	s_waitcnt lgkmcnt(0)
	v_mul_f32_e32 v9, s4, v9
	v_addc_co_u32_e64 v8, s[2:3], v5, v3, s[2:3]
	v_fma_mixlo_f16 v6, v6, v9, 0
	v_addc_co_u32_e32 v3, vcc, 0, v3, vcc
	global_store_short v[7:8], v6, off
	s_andn2_b64 exec, exec, s[16:17]
	s_cbranch_execz .LBB20_6
.LBB20_4:                               ; =>This Inner Loop Header: Depth=1
	s_and_b64 vcc, exec, s[0:1]
	s_cbranch_vccz .LBB20_2
; %bb.5:                                ;   in Loop: Header=BB20_4 Depth=1
	v_mov_b32_e32 v6, 1.0
	s_branch .LBB20_3
.LBB20_6:
	s_endpgm
	.section	.rodata,"a",@progbits
	.p2align	6, 0x0
	.amdhsa_kernel _ZN2at6native12_GLOBAL__N_126LayerNormForwardCUDAKernelIN3c104HalfEfLb1EEEvlPKT_PKT0_SA_S7_S7_PS5_
		.amdhsa_group_segment_fixed_size 0
		.amdhsa_private_segment_fixed_size 0
		.amdhsa_kernarg_size 312
		.amdhsa_user_sgpr_count 6
		.amdhsa_user_sgpr_private_segment_buffer 1
		.amdhsa_user_sgpr_dispatch_ptr 0
		.amdhsa_user_sgpr_queue_ptr 0
		.amdhsa_user_sgpr_kernarg_segment_ptr 1
		.amdhsa_user_sgpr_dispatch_id 0
		.amdhsa_user_sgpr_flat_scratch_init 0
		.amdhsa_user_sgpr_private_segment_size 0
		.amdhsa_uses_dynamic_stack 0
		.amdhsa_system_sgpr_private_segment_wavefront_offset 0
		.amdhsa_system_sgpr_workgroup_id_x 1
		.amdhsa_system_sgpr_workgroup_id_y 0
		.amdhsa_system_sgpr_workgroup_id_z 0
		.amdhsa_system_sgpr_workgroup_info 0
		.amdhsa_system_vgpr_workitem_id 0
		.amdhsa_next_free_vgpr 10
		.amdhsa_next_free_sgpr 19
		.amdhsa_reserve_vcc 1
		.amdhsa_reserve_flat_scratch 0
		.amdhsa_float_round_mode_32 0
		.amdhsa_float_round_mode_16_64 0
		.amdhsa_float_denorm_mode_32 3
		.amdhsa_float_denorm_mode_16_64 3
		.amdhsa_dx10_clamp 1
		.amdhsa_ieee_mode 1
		.amdhsa_fp16_overflow 0
		.amdhsa_exception_fp_ieee_invalid_op 0
		.amdhsa_exception_fp_denorm_src 0
		.amdhsa_exception_fp_ieee_div_zero 0
		.amdhsa_exception_fp_ieee_overflow 0
		.amdhsa_exception_fp_ieee_underflow 0
		.amdhsa_exception_fp_ieee_inexact 0
		.amdhsa_exception_int_div_zero 0
	.end_amdhsa_kernel
	.section	.text._ZN2at6native12_GLOBAL__N_126LayerNormForwardCUDAKernelIN3c104HalfEfLb1EEEvlPKT_PKT0_SA_S7_S7_PS5_,"axG",@progbits,_ZN2at6native12_GLOBAL__N_126LayerNormForwardCUDAKernelIN3c104HalfEfLb1EEEvlPKT_PKT0_SA_S7_S7_PS5_,comdat
.Lfunc_end20:
	.size	_ZN2at6native12_GLOBAL__N_126LayerNormForwardCUDAKernelIN3c104HalfEfLb1EEEvlPKT_PKT0_SA_S7_S7_PS5_, .Lfunc_end20-_ZN2at6native12_GLOBAL__N_126LayerNormForwardCUDAKernelIN3c104HalfEfLb1EEEvlPKT_PKT0_SA_S7_S7_PS5_
                                        ; -- End function
	.set _ZN2at6native12_GLOBAL__N_126LayerNormForwardCUDAKernelIN3c104HalfEfLb1EEEvlPKT_PKT0_SA_S7_S7_PS5_.num_vgpr, 10
	.set _ZN2at6native12_GLOBAL__N_126LayerNormForwardCUDAKernelIN3c104HalfEfLb1EEEvlPKT_PKT0_SA_S7_S7_PS5_.num_agpr, 0
	.set _ZN2at6native12_GLOBAL__N_126LayerNormForwardCUDAKernelIN3c104HalfEfLb1EEEvlPKT_PKT0_SA_S7_S7_PS5_.numbered_sgpr, 19
	.set _ZN2at6native12_GLOBAL__N_126LayerNormForwardCUDAKernelIN3c104HalfEfLb1EEEvlPKT_PKT0_SA_S7_S7_PS5_.num_named_barrier, 0
	.set _ZN2at6native12_GLOBAL__N_126LayerNormForwardCUDAKernelIN3c104HalfEfLb1EEEvlPKT_PKT0_SA_S7_S7_PS5_.private_seg_size, 0
	.set _ZN2at6native12_GLOBAL__N_126LayerNormForwardCUDAKernelIN3c104HalfEfLb1EEEvlPKT_PKT0_SA_S7_S7_PS5_.uses_vcc, 1
	.set _ZN2at6native12_GLOBAL__N_126LayerNormForwardCUDAKernelIN3c104HalfEfLb1EEEvlPKT_PKT0_SA_S7_S7_PS5_.uses_flat_scratch, 0
	.set _ZN2at6native12_GLOBAL__N_126LayerNormForwardCUDAKernelIN3c104HalfEfLb1EEEvlPKT_PKT0_SA_S7_S7_PS5_.has_dyn_sized_stack, 0
	.set _ZN2at6native12_GLOBAL__N_126LayerNormForwardCUDAKernelIN3c104HalfEfLb1EEEvlPKT_PKT0_SA_S7_S7_PS5_.has_recursion, 0
	.set _ZN2at6native12_GLOBAL__N_126LayerNormForwardCUDAKernelIN3c104HalfEfLb1EEEvlPKT_PKT0_SA_S7_S7_PS5_.has_indirect_call, 0
	.section	.AMDGPU.csdata,"",@progbits
; Kernel info:
; codeLenInByte = 320
; TotalNumSgprs: 23
; NumVgprs: 10
; ScratchSize: 0
; MemoryBound: 0
; FloatMode: 240
; IeeeMode: 1
; LDSByteSize: 0 bytes/workgroup (compile time only)
; SGPRBlocks: 2
; VGPRBlocks: 2
; NumSGPRsForWavesPerEU: 23
; NumVGPRsForWavesPerEU: 10
; Occupancy: 10
; WaveLimiterHint : 0
; COMPUTE_PGM_RSRC2:SCRATCH_EN: 0
; COMPUTE_PGM_RSRC2:USER_SGPR: 6
; COMPUTE_PGM_RSRC2:TRAP_HANDLER: 0
; COMPUTE_PGM_RSRC2:TGID_X_EN: 1
; COMPUTE_PGM_RSRC2:TGID_Y_EN: 0
; COMPUTE_PGM_RSRC2:TGID_Z_EN: 0
; COMPUTE_PGM_RSRC2:TIDIG_COMP_CNT: 0
	.section	.text._ZN2at6native12_GLOBAL__N_128vectorized_layer_norm_kernelIN3c108BFloat16EfLb1EEEviT0_PKT_S8_S8_PS5_S9_PS6_,"axG",@progbits,_ZN2at6native12_GLOBAL__N_128vectorized_layer_norm_kernelIN3c108BFloat16EfLb1EEEviT0_PKT_S8_S8_PS5_S9_PS6_,comdat
	.globl	_ZN2at6native12_GLOBAL__N_128vectorized_layer_norm_kernelIN3c108BFloat16EfLb1EEEviT0_PKT_S8_S8_PS5_S9_PS6_ ; -- Begin function _ZN2at6native12_GLOBAL__N_128vectorized_layer_norm_kernelIN3c108BFloat16EfLb1EEEviT0_PKT_S8_S8_PS5_S9_PS6_
	.p2align	8
	.type	_ZN2at6native12_GLOBAL__N_128vectorized_layer_norm_kernelIN3c108BFloat16EfLb1EEEviT0_PKT_S8_S8_PS5_S9_PS6_,@function
_ZN2at6native12_GLOBAL__N_128vectorized_layer_norm_kernelIN3c108BFloat16EfLb1EEEviT0_PKT_S8_S8_PS5_S9_PS6_: ; @_ZN2at6native12_GLOBAL__N_128vectorized_layer_norm_kernelIN3c108BFloat16EfLb1EEEviT0_PKT_S8_S8_PS5_S9_PS6_
; %bb.0:
	s_load_dwordx4 s[16:19], s[4:5], 0x0
	s_load_dword s0, s[4:5], 0x44
	s_mov_b32 s7, 0
	v_mov_b32_e32 v4, 0
	s_waitcnt lgkmcnt(0)
	s_ashr_i32 s1, s16, 31
	s_lshr_b32 s12, s0, 16
	s_and_b32 s0, s0, 0xffff
	s_mul_i32 s20, s12, s0
	v_mul_u32_u24_e32 v2, s0, v1
	v_mad_u32_u24 v7, v1, s0, v0
	s_lshr_b32 s0, s1, 30
	s_add_i32 s0, s16, s0
	s_mul_hi_u32 s2, s16, s6
	s_mul_i32 s3, s1, s6
	s_ashr_i32 s26, s0, 2
	s_add_i32 s25, s2, s3
	s_mul_i32 s24, s16, s6
	v_cmp_gt_i32_e64 s[0:1], s26, v7
	v_add_lshl_u32 v8, v2, v0, 3
	s_and_saveexec_b64 s[2:3], s[0:1]
	s_cbranch_execz .LBB21_4
; %bb.1:
	s_lshl_b64 s[8:9], s[24:25], 1
	s_add_u32 s8, s18, s8
	s_addc_u32 s9, s19, s9
	s_ashr_i32 s21, s20, 31
	v_mov_b32_e32 v3, s9
	v_add_co_u32_e32 v2, vcc, s8, v8
	s_lshl_b64 s[10:11], s[20:21], 3
	v_mov_b32_e32 v4, 0
	v_addc_co_u32_e32 v3, vcc, 0, v3, vcc
	s_mov_b64 s[8:9], 0
	v_mov_b32_e32 v5, s11
	v_mov_b32_e32 v6, v7
.LBB21_2:                               ; =>This Inner Loop Header: Depth=1
	global_load_dwordx2 v[9:10], v[2:3], off
	v_add_co_u32_e32 v2, vcc, s10, v2
	v_add_u32_e32 v6, s20, v6
	v_addc_co_u32_e32 v3, vcc, v3, v5, vcc
	v_cmp_le_i32_e32 vcc, s26, v6
	s_or_b64 s[8:9], vcc, s[8:9]
	s_waitcnt vmcnt(0)
	v_lshlrev_b32_e32 v12, 16, v9
	v_and_b32_e32 v11, 0xffff0000, v9
	v_alignbit_b32 v9, v10, v9, 16
	v_fmac_f32_e32 v4, v12, v12
	v_and_b32_e32 v9, 0xffff0000, v9
	v_fmac_f32_e32 v4, v11, v11
	v_and_b32_e32 v10, 0xffff0000, v10
	v_fmac_f32_e32 v4, v9, v9
	v_fmac_f32_e32 v4, v10, v10
	s_andn2_b64 exec, exec, s[8:9]
	s_cbranch_execnz .LBB21_2
; %bb.3:
	s_or_b64 exec, exec, s[8:9]
.LBB21_4:
	s_or_b64 exec, exec, s[2:3]
	v_mbcnt_lo_u32_b32 v2, -1, 0
	v_mbcnt_hi_u32_b32 v3, -1, v2
	v_lshlrev_b32_e32 v2, 2, v3
	v_or_b32_e32 v5, 0x80, v2
	ds_bpermute_b32 v5, v5, v4
	v_and_b32_e32 v6, 63, v3
	v_cmp_gt_u32_e32 vcc, 48, v6
	v_cndmask_b32_e64 v9, 0, 16, vcc
	v_add_lshl_u32 v9, v9, v3, 2
	s_waitcnt lgkmcnt(0)
	v_add_f32_e32 v4, v4, v5
	ds_bpermute_b32 v5, v9, v4
	v_cmp_gt_u32_e32 vcc, 56, v6
	v_cndmask_b32_e64 v9, 0, 8, vcc
	v_add_lshl_u32 v9, v9, v3, 2
	v_cmp_gt_u32_e32 vcc, 60, v6
	s_waitcnt lgkmcnt(0)
	v_add_f32_e32 v4, v4, v5
	ds_bpermute_b32 v5, v9, v4
	v_cndmask_b32_e64 v9, 0, 4, vcc
	v_add_lshl_u32 v9, v9, v3, 2
	v_cmp_gt_u32_e32 vcc, 62, v6
	s_cmp_lt_u32 s12, 2
	s_waitcnt lgkmcnt(0)
	v_add_f32_e32 v4, v4, v5
	ds_bpermute_b32 v5, v9, v4
	v_cndmask_b32_e64 v9, 0, 2, vcc
	v_add_lshl_u32 v9, v9, v3, 2
	v_cmp_ne_u32_e32 vcc, 63, v6
	v_addc_co_u32_e32 v3, vcc, 0, v3, vcc
	s_waitcnt lgkmcnt(0)
	v_add_f32_e32 v4, v4, v5
	ds_bpermute_b32 v5, v9, v4
	v_lshlrev_b32_e32 v3, 2, v3
	s_waitcnt lgkmcnt(0)
	v_add_f32_e32 v4, v4, v5
	ds_bpermute_b32 v3, v3, v4
	s_waitcnt lgkmcnt(0)
	v_add_f32_e32 v4, v4, v3
	s_cbranch_scc0 .LBB21_6
; %bb.5:
	v_and_b32_e32 v2, 0x100, v2
	ds_bpermute_b32 v2, v2, v4
	v_cvt_f32_i32_e32 v3, s16
	s_waitcnt lgkmcnt(0)
	v_div_scale_f32 v5, s[2:3], v3, v3, v2
	v_div_scale_f32 v6, vcc, v2, v3, v2
	v_rcp_f32_e32 v9, v5
	v_fma_f32 v10, -v5, v9, 1.0
	v_fmac_f32_e32 v9, v10, v9
	v_mul_f32_e32 v10, v6, v9
	v_fma_f32 v11, -v5, v10, v6
	v_fmac_f32_e32 v10, v11, v9
	v_fma_f32 v5, -v5, v10, v6
	v_div_fmas_f32 v5, v5, v9, v10
	v_div_fixup_f32 v3, v5, v3, v2
	v_mov_b32_e32 v2, 0
	s_cbranch_execz .LBB21_7
	s_branch .LBB21_17
.LBB21_6:
                                        ; implicit-def: $vgpr3
	v_mov_b32_e32 v2, 0
.LBB21_7:
	s_lshl_b32 s2, s12, 2
	v_lshlrev_b32_e32 v2, 3, v1
	s_add_i32 s8, s2, 0
	v_cmp_eq_u32_e32 vcc, 0, v0
	v_add_u32_e32 v2, 0, v2
	v_mov_b32_e32 v3, 0
.LBB21_8:                               ; =>This Inner Loop Header: Depth=1
	s_lshr_b32 s9, s12, 1
	v_cmp_le_u32_e64 s[2:3], s9, v1
	s_and_b64 s[10:11], vcc, s[2:3]
	s_and_b32 s2, s12, 0xfffe
	v_cmp_gt_u32_e64 s[2:3], s2, v1
	s_and_b64 s[10:11], s[10:11], s[2:3]
	s_and_saveexec_b64 s[2:3], s[10:11]
	s_cbranch_execz .LBB21_10
; %bb.9:                                ;   in Loop: Header=BB21_8 Depth=1
	v_subrev_u32_e32 v5, s9, v1
	v_lshl_add_u32 v6, v5, 2, s8
	v_lshl_add_u32 v5, v5, 3, 0
	ds_write2_b32 v5, v3, v4 offset1:1
	ds_write_b32 v6, v3
.LBB21_10:                              ;   in Loop: Header=BB21_8 Depth=1
	s_or_b64 exec, exec, s[2:3]
	v_cmp_gt_u32_e64 s[2:3], s9, v1
	s_and_b64 s[10:11], vcc, s[2:3]
	s_waitcnt lgkmcnt(0)
	s_barrier
	s_and_saveexec_b64 s[2:3], s[10:11]
	s_cbranch_execz .LBB21_12
; %bb.11:                               ;   in Loop: Header=BB21_8 Depth=1
	ds_read_b32 v5, v2 offset:4
	s_waitcnt lgkmcnt(0)
	v_add_f32_e32 v4, v4, v5
.LBB21_12:                              ;   in Loop: Header=BB21_8 Depth=1
	s_or_b64 exec, exec, s[2:3]
	s_cmp_lt_u32 s12, 4
	s_barrier
	s_cbranch_scc1 .LBB21_14
; %bb.13:                               ;   in Loop: Header=BB21_8 Depth=1
	s_mov_b32 s12, s9
	s_branch .LBB21_8
.LBB21_14:
	v_or_b32_e32 v0, v0, v1
	v_cmp_eq_u32_e32 vcc, 0, v0
	s_and_saveexec_b64 s[2:3], vcc
	s_cbranch_execz .LBB21_16
; %bb.15:
	v_cvt_f32_i32_e32 v0, s16
	v_div_scale_f32 v1, s[8:9], v0, v0, v4
	v_div_scale_f32 v2, vcc, v4, v0, v4
	v_rcp_f32_e32 v3, v1
	v_fma_f32 v5, -v1, v3, 1.0
	v_fmac_f32_e32 v3, v5, v3
	v_mul_f32_e32 v5, v2, v3
	v_fma_f32 v6, -v1, v5, v2
	v_fmac_f32_e32 v5, v6, v3
	v_fma_f32 v1, -v1, v5, v2
	v_div_fmas_f32 v1, v1, v3, v5
	v_div_fixup_f32 v0, v1, v0, v4
	v_mov_b32_e32 v1, 0
	ds_write2_b32 v1, v1, v0 offset1:1
.LBB21_16:
	s_or_b64 exec, exec, s[2:3]
	v_mov_b32_e32 v0, 0
	s_waitcnt lgkmcnt(0)
	s_barrier
	ds_read2_b32 v[2:3], v0 offset1:1
.LBB21_17:
	s_waitcnt lgkmcnt(0)
	v_add_f32_e32 v0, s17, v3
	s_mov_b32 s2, 0x800000
	v_mul_f32_e32 v1, 0x4b800000, v0
	v_cmp_gt_f32_e32 vcc, s2, v0
	v_cndmask_b32_e32 v0, v0, v1, vcc
	v_rsq_f32_e32 v0, v0
	s_load_dwordx4 s[8:11], s[4:5], 0x28
	v_mul_f32_e32 v1, 0x45800000, v0
	v_cndmask_b32_e32 v9, v0, v1, vcc
	s_and_saveexec_b64 s[16:17], s[0:1]
	s_cbranch_execz .LBB21_32
; %bb.18:
	s_load_dwordx4 s[12:15], s[4:5], 0x10
	s_mov_b64 s[4:5], 0
	v_mov_b32_e32 v10, v9
	v_mov_b32_e32 v11, 0
	;; [unrolled: 1-line block ×3, first 2 shown]
	s_waitcnt lgkmcnt(0)
	s_cmp_eq_u64 s[12:13], 0
	s_cselect_b64 s[22:23], -1, 0
	s_cmp_eq_u64 s[14:15], 0
	s_cselect_b64 s[0:1], -1, 0
	s_lshl_b64 s[2:3], s[24:25], 1
	s_add_u32 s24, s10, s2
	s_addc_u32 s25, s11, s3
	s_add_u32 s27, s18, s2
	v_cndmask_b32_e64 v0, 0, 1, s[0:1]
	s_addc_u32 s28, s19, s3
	s_ashr_i32 s21, s20, 31
	s_or_b64 s[10:11], s[22:23], s[0:1]
	s_lshl_b64 s[18:19], s[20:21], 3
	v_cmp_ne_u32_e64 s[0:1], 1, v0
	s_movk_i32 s21, 0x7fff
	v_mov_b32_e32 v13, 1
	v_mov_b32_e32 v14, 0x7fc00000
	;; [unrolled: 1-line block ×3, first 2 shown]
	s_branch .LBB21_20
.LBB21_19:                              ;   in Loop: Header=BB21_20 Depth=1
	s_add_u32 s27, s27, s18
	v_bfe_u32 v0, v17, 16, 1
	s_addc_u32 s28, s28, s19
	v_add3_u32 v3, v17, v0, s21
	v_add_co_u32_e32 v0, vcc, s24, v8
	s_add_u32 s24, s24, s18
	v_mov_b32_e32 v1, s25
	s_addc_u32 s25, s25, s19
	s_add_u32 s12, s12, s18
	v_addc_co_u32_e32 v1, vcc, 0, v1, vcc
	s_addc_u32 s13, s13, s19
	v_and_b32_e32 v3, 0xffff0000, v3
	v_cmp_o_f32_e32 vcc, v17, v17
	v_add_u32_e32 v15, s20, v15
	s_add_u32 s14, s14, s18
	v_cndmask_b32_e32 v4, v14, v3, vcc
	v_or_b32_sdwa v6, v11, v6 dst_sel:DWORD dst_unused:UNUSED_PAD src0_sel:DWORD src1_sel:WORD_0
	s_addc_u32 s15, s15, s19
	v_cmp_le_i32_e32 vcc, s26, v15
	v_lshl_or_b32 v3, v5, 16, v16
	v_or_b32_e32 v4, v6, v4
	s_or_b64 s[4:5], vcc, s[4:5]
	global_store_dwordx2 v[0:1], v[3:4], off
	s_andn2_b64 exec, exec, s[4:5]
	s_cbranch_execz .LBB21_32
.LBB21_20:                              ; =>This Inner Loop Header: Depth=1
	v_mov_b32_e32 v1, s28
	v_add_co_u32_e32 v0, vcc, s27, v8
	v_addc_co_u32_e32 v1, vcc, 0, v1, vcc
	global_load_dwordx2 v[0:1], v[0:1], off
	s_mov_b64 s[2:3], -1
	s_and_b64 vcc, exec, s[10:11]
                                        ; implicit-def: $vgpr5_vgpr6
                                        ; implicit-def: $vgpr17
                                        ; implicit-def: $vgpr16
	s_waitcnt vmcnt(0)
	v_lshrrev_b64 v[3:4], 16, v[0:1]
	s_cbranch_vccz .LBB21_30
; %bb.21:                               ;   in Loop: Header=BB21_20 Depth=1
	s_and_b64 vcc, exec, s[22:23]
                                        ; implicit-def: $vgpr5_vgpr6
                                        ; implicit-def: $vgpr17
                                        ; implicit-def: $vgpr16
	s_cbranch_vccz .LBB21_27
; %bb.22:                               ;   in Loop: Header=BB21_20 Depth=1
	s_and_b64 vcc, exec, s[0:1]
                                        ; implicit-def: $vgpr5_vgpr6
                                        ; implicit-def: $vgpr17
                                        ; implicit-def: $vgpr16
	s_cbranch_vccnz .LBB21_24
; %bb.23:                               ;   in Loop: Header=BB21_20 Depth=1
	v_lshlrev_b32_e32 v4, 16, v0
	v_mul_f32_e32 v4, v9, v4
	v_bfe_u32 v5, v4, 16, 1
	v_add3_u32 v5, v4, v5, s21
	v_cmp_o_f32_e32 vcc, v4, v4
	v_lshlrev_b32_e32 v4, 16, v1
	v_cndmask_b32_sdwa v16, v12, v5, vcc dst_sel:DWORD dst_unused:UNUSED_PAD src0_sel:DWORD src1_sel:WORD_1
	v_lshlrev_b32_e32 v5, 16, v3
	v_mul_f32_e32 v4, v10, v4
	v_mul_f32_e32 v5, v9, v5
	v_and_b32_sdwa v6, v4, v13 dst_sel:DWORD dst_unused:UNUSED_PAD src0_sel:WORD_1 src1_sel:DWORD
	v_and_b32_sdwa v17, v5, v13 dst_sel:DWORD dst_unused:UNUSED_PAD src0_sel:WORD_1 src1_sel:DWORD
	v_add3_u32 v6, v4, v6, s21
	v_cmp_o_f32_e32 vcc, v4, v4
	v_add3_u32 v17, v5, v17, s21
	v_cndmask_b32_sdwa v6, v12, v6, vcc dst_sel:DWORD dst_unused:UNUSED_PAD src0_sel:DWORD src1_sel:WORD_1
	v_cmp_o_f32_e32 vcc, v5, v5
	v_and_b32_e32 v4, 0xffff0000, v1
	v_cndmask_b32_sdwa v5, v12, v17, vcc dst_sel:DWORD dst_unused:UNUSED_PAD src0_sel:DWORD src1_sel:WORD_1
	v_mul_f32_e32 v17, v9, v4
	s_mov_b64 s[2:3], 0
.LBB21_24:                              ;   in Loop: Header=BB21_20 Depth=1
	s_andn2_b64 vcc, exec, s[2:3]
	s_cbranch_vccnz .LBB21_26
; %bb.25:                               ;   in Loop: Header=BB21_20 Depth=1
	v_mov_b32_e32 v5, s15
	v_add_co_u32_e32 v4, vcc, s14, v8
	v_addc_co_u32_e32 v5, vcc, 0, v5, vcc
	global_load_dwordx2 v[4:5], v[4:5], off
	v_lshlrev_b32_e32 v6, 16, v0
	v_lshlrev_b32_e32 v17, 16, v1
	v_sub_f32_e32 v6, v6, v2
	v_sub_f32_e32 v19, v17, v2
	v_lshlrev_b32_e32 v16, 16, v3
	v_sub_f32_e32 v16, v16, v2
	v_and_b32_e32 v18, 0xffff0000, v1
	v_sub_f32_e32 v18, v18, v2
	s_waitcnt vmcnt(0)
	v_lshlrev_b32_e32 v20, 16, v4
	v_lshlrev_b32_e32 v21, 16, v5
	v_fmac_f32_e32 v20, v9, v6
	v_fmac_f32_e32 v21, v10, v19
	v_and_b32_e32 v4, 0xffff0000, v4
	v_and_b32_e32 v17, 0xffff0000, v5
	v_bfe_u32 v5, v20, 16, 1
	v_and_b32_sdwa v6, v21, v13 dst_sel:DWORD dst_unused:UNUSED_PAD src0_sel:WORD_1 src1_sel:DWORD
	v_fmac_f32_e32 v4, v9, v16
	v_cmp_o_f32_e32 vcc, v21, v21
	v_add3_u32 v5, v20, v5, s21
	v_add3_u32 v6, v21, v6, s21
	v_and_b32_sdwa v16, v4, v13 dst_sel:DWORD dst_unused:UNUSED_PAD src0_sel:WORD_1 src1_sel:DWORD
	v_cmp_o_f32_e64 s[2:3], v4, v4
	v_lshrrev_b32_e32 v5, 16, v5
	v_cndmask_b32_sdwa v6, v12, v6, vcc dst_sel:DWORD dst_unused:UNUSED_PAD src0_sel:DWORD src1_sel:WORD_1
	v_cmp_o_f32_e32 vcc, v20, v20
	v_add3_u32 v4, v4, v16, s21
	v_cndmask_b32_e32 v16, v12, v5, vcc
	s_mov_b64 vcc, s[2:3]
	v_cndmask_b32_sdwa v5, v12, v4, vcc dst_sel:DWORD dst_unused:UNUSED_PAD src0_sel:DWORD src1_sel:WORD_1
	v_fmac_f32_e32 v17, v9, v18
.LBB21_26:                              ;   in Loop: Header=BB21_20 Depth=1
	s_mov_b64 s[2:3], 0
.LBB21_27:                              ;   in Loop: Header=BB21_20 Depth=1
	s_andn2_b64 vcc, exec, s[2:3]
	s_cbranch_vccnz .LBB21_29
; %bb.28:                               ;   in Loop: Header=BB21_20 Depth=1
	v_mov_b32_e32 v5, s13
	v_add_co_u32_e32 v4, vcc, s12, v8
	v_addc_co_u32_e32 v5, vcc, 0, v5, vcc
	global_load_dwordx2 v[4:5], v[4:5], off
	v_lshlrev_b32_e32 v6, 16, v0
	v_lshlrev_b32_e32 v17, 16, v1
	;; [unrolled: 1-line block ×3, first 2 shown]
	v_mul_f32_e32 v6, v9, v6
	v_mul_f32_e32 v17, v10, v17
	;; [unrolled: 1-line block ×3, first 2 shown]
	v_and_b32_e32 v18, 0xffff0000, v1
	v_mul_f32_e32 v18, v9, v18
	s_waitcnt vmcnt(0)
	v_lshlrev_b32_e32 v19, 16, v4
	v_lshlrev_b32_e32 v20, 16, v5
	v_and_b32_e32 v4, 0xffff0000, v4
	v_and_b32_e32 v21, 0xffff0000, v5
	v_mul_f32_e32 v5, v6, v19
	v_mul_f32_e32 v6, v17, v20
	;; [unrolled: 1-line block ×3, first 2 shown]
	v_bfe_u32 v16, v5, 16, 1
	v_and_b32_sdwa v17, v6, v13 dst_sel:DWORD dst_unused:UNUSED_PAD src0_sel:WORD_1 src1_sel:DWORD
	v_cmp_o_f32_e32 vcc, v6, v6
	v_add3_u32 v16, v5, v16, s21
	v_add3_u32 v6, v6, v17, s21
	v_and_b32_sdwa v19, v4, v13 dst_sel:DWORD dst_unused:UNUSED_PAD src0_sel:WORD_1 src1_sel:DWORD
	v_cmp_o_f32_e64 s[2:3], v4, v4
	v_lshrrev_b32_e32 v16, 16, v16
	v_cndmask_b32_sdwa v6, v12, v6, vcc dst_sel:DWORD dst_unused:UNUSED_PAD src0_sel:DWORD src1_sel:WORD_1
	v_cmp_o_f32_e32 vcc, v5, v5
	v_add3_u32 v4, v4, v19, s21
	v_cndmask_b32_e32 v16, v12, v16, vcc
	s_mov_b64 vcc, s[2:3]
	v_cndmask_b32_sdwa v5, v12, v4, vcc dst_sel:DWORD dst_unused:UNUSED_PAD src0_sel:DWORD src1_sel:WORD_1
	v_mul_f32_e32 v17, v18, v21
.LBB21_29:                              ;   in Loop: Header=BB21_20 Depth=1
	s_mov_b64 s[2:3], 0
.LBB21_30:                              ;   in Loop: Header=BB21_20 Depth=1
	s_andn2_b64 vcc, exec, s[2:3]
	s_cbranch_vccnz .LBB21_19
; %bb.31:                               ;   in Loop: Header=BB21_20 Depth=1
	v_mov_b32_e32 v5, s13
	v_add_co_u32_e32 v4, vcc, s12, v8
	v_addc_co_u32_e32 v5, vcc, 0, v5, vcc
	global_load_dwordx2 v[4:5], v[4:5], off
	v_lshlrev_b32_e32 v0, 16, v0
	v_lshlrev_b32_e32 v3, 16, v3
	;; [unrolled: 1-line block ×3, first 2 shown]
	v_mul_f32_e32 v0, v9, v0
	v_mul_f32_e32 v6, v10, v6
	;; [unrolled: 1-line block ×3, first 2 shown]
	v_and_b32_e32 v1, 0xffff0000, v1
	v_mul_f32_e32 v1, v9, v1
	s_waitcnt vmcnt(0)
	v_lshlrev_b32_e32 v16, 16, v4
	v_lshlrev_b32_e32 v17, 16, v5
	v_and_b32_e32 v4, 0xffff0000, v4
	v_mul_f32_e32 v0, v0, v16
	v_mul_f32_e32 v3, v3, v4
	v_mul_f32_e32 v4, v6, v17
	v_and_b32_e32 v18, 0xffff0000, v5
	v_bfe_u32 v5, v0, 16, 1
	v_and_b32_sdwa v6, v4, v13 dst_sel:DWORD dst_unused:UNUSED_PAD src0_sel:WORD_1 src1_sel:DWORD
	v_cmp_o_f32_e32 vcc, v4, v4
	v_add3_u32 v5, v0, v5, s21
	v_add3_u32 v4, v4, v6, s21
	v_and_b32_sdwa v16, v3, v13 dst_sel:DWORD dst_unused:UNUSED_PAD src0_sel:WORD_1 src1_sel:DWORD
	v_cmp_o_f32_e64 s[2:3], v3, v3
	v_lshrrev_b32_e32 v5, 16, v5
	v_cndmask_b32_sdwa v6, v12, v4, vcc dst_sel:DWORD dst_unused:UNUSED_PAD src0_sel:DWORD src1_sel:WORD_1
	v_cmp_o_f32_e32 vcc, v0, v0
	v_add3_u32 v3, v3, v16, s21
	v_cndmask_b32_e32 v16, v12, v5, vcc
	s_mov_b64 vcc, s[2:3]
	v_cndmask_b32_sdwa v5, v12, v3, vcc dst_sel:DWORD dst_unused:UNUSED_PAD src0_sel:DWORD src1_sel:WORD_1
	v_mul_f32_e32 v17, v1, v18
	s_branch .LBB21_19
.LBB21_32:
	s_or_b64 exec, exec, s[16:17]
	v_cmp_eq_u32_e32 vcc, 0, v7
	s_and_saveexec_b64 s[0:1], vcc
	s_cbranch_execz .LBB21_34
; %bb.33:
	s_lshl_b64 s[0:1], s[6:7], 2
	s_waitcnt lgkmcnt(0)
	s_add_u32 s0, s8, s0
	s_addc_u32 s1, s9, s1
	v_mov_b32_e32 v0, 0
	global_store_dword v0, v9, s[0:1]
.LBB21_34:
	s_endpgm
	.section	.rodata,"a",@progbits
	.p2align	6, 0x0
	.amdhsa_kernel _ZN2at6native12_GLOBAL__N_128vectorized_layer_norm_kernelIN3c108BFloat16EfLb1EEEviT0_PKT_S8_S8_PS5_S9_PS6_
		.amdhsa_group_segment_fixed_size 0
		.amdhsa_private_segment_fixed_size 0
		.amdhsa_kernarg_size 312
		.amdhsa_user_sgpr_count 6
		.amdhsa_user_sgpr_private_segment_buffer 1
		.amdhsa_user_sgpr_dispatch_ptr 0
		.amdhsa_user_sgpr_queue_ptr 0
		.amdhsa_user_sgpr_kernarg_segment_ptr 1
		.amdhsa_user_sgpr_dispatch_id 0
		.amdhsa_user_sgpr_flat_scratch_init 0
		.amdhsa_user_sgpr_private_segment_size 0
		.amdhsa_uses_dynamic_stack 0
		.amdhsa_system_sgpr_private_segment_wavefront_offset 0
		.amdhsa_system_sgpr_workgroup_id_x 1
		.amdhsa_system_sgpr_workgroup_id_y 0
		.amdhsa_system_sgpr_workgroup_id_z 0
		.amdhsa_system_sgpr_workgroup_info 0
		.amdhsa_system_vgpr_workitem_id 1
		.amdhsa_next_free_vgpr 22
		.amdhsa_next_free_sgpr 29
		.amdhsa_reserve_vcc 1
		.amdhsa_reserve_flat_scratch 0
		.amdhsa_float_round_mode_32 0
		.amdhsa_float_round_mode_16_64 0
		.amdhsa_float_denorm_mode_32 3
		.amdhsa_float_denorm_mode_16_64 3
		.amdhsa_dx10_clamp 1
		.amdhsa_ieee_mode 1
		.amdhsa_fp16_overflow 0
		.amdhsa_exception_fp_ieee_invalid_op 0
		.amdhsa_exception_fp_denorm_src 0
		.amdhsa_exception_fp_ieee_div_zero 0
		.amdhsa_exception_fp_ieee_overflow 0
		.amdhsa_exception_fp_ieee_underflow 0
		.amdhsa_exception_fp_ieee_inexact 0
		.amdhsa_exception_int_div_zero 0
	.end_amdhsa_kernel
	.section	.text._ZN2at6native12_GLOBAL__N_128vectorized_layer_norm_kernelIN3c108BFloat16EfLb1EEEviT0_PKT_S8_S8_PS5_S9_PS6_,"axG",@progbits,_ZN2at6native12_GLOBAL__N_128vectorized_layer_norm_kernelIN3c108BFloat16EfLb1EEEviT0_PKT_S8_S8_PS5_S9_PS6_,comdat
.Lfunc_end21:
	.size	_ZN2at6native12_GLOBAL__N_128vectorized_layer_norm_kernelIN3c108BFloat16EfLb1EEEviT0_PKT_S8_S8_PS5_S9_PS6_, .Lfunc_end21-_ZN2at6native12_GLOBAL__N_128vectorized_layer_norm_kernelIN3c108BFloat16EfLb1EEEviT0_PKT_S8_S8_PS5_S9_PS6_
                                        ; -- End function
	.set _ZN2at6native12_GLOBAL__N_128vectorized_layer_norm_kernelIN3c108BFloat16EfLb1EEEviT0_PKT_S8_S8_PS5_S9_PS6_.num_vgpr, 22
	.set _ZN2at6native12_GLOBAL__N_128vectorized_layer_norm_kernelIN3c108BFloat16EfLb1EEEviT0_PKT_S8_S8_PS5_S9_PS6_.num_agpr, 0
	.set _ZN2at6native12_GLOBAL__N_128vectorized_layer_norm_kernelIN3c108BFloat16EfLb1EEEviT0_PKT_S8_S8_PS5_S9_PS6_.numbered_sgpr, 29
	.set _ZN2at6native12_GLOBAL__N_128vectorized_layer_norm_kernelIN3c108BFloat16EfLb1EEEviT0_PKT_S8_S8_PS5_S9_PS6_.num_named_barrier, 0
	.set _ZN2at6native12_GLOBAL__N_128vectorized_layer_norm_kernelIN3c108BFloat16EfLb1EEEviT0_PKT_S8_S8_PS5_S9_PS6_.private_seg_size, 0
	.set _ZN2at6native12_GLOBAL__N_128vectorized_layer_norm_kernelIN3c108BFloat16EfLb1EEEviT0_PKT_S8_S8_PS5_S9_PS6_.uses_vcc, 1
	.set _ZN2at6native12_GLOBAL__N_128vectorized_layer_norm_kernelIN3c108BFloat16EfLb1EEEviT0_PKT_S8_S8_PS5_S9_PS6_.uses_flat_scratch, 0
	.set _ZN2at6native12_GLOBAL__N_128vectorized_layer_norm_kernelIN3c108BFloat16EfLb1EEEviT0_PKT_S8_S8_PS5_S9_PS6_.has_dyn_sized_stack, 0
	.set _ZN2at6native12_GLOBAL__N_128vectorized_layer_norm_kernelIN3c108BFloat16EfLb1EEEviT0_PKT_S8_S8_PS5_S9_PS6_.has_recursion, 0
	.set _ZN2at6native12_GLOBAL__N_128vectorized_layer_norm_kernelIN3c108BFloat16EfLb1EEEviT0_PKT_S8_S8_PS5_S9_PS6_.has_indirect_call, 0
	.section	.AMDGPU.csdata,"",@progbits
; Kernel info:
; codeLenInByte = 2056
; TotalNumSgprs: 33
; NumVgprs: 22
; ScratchSize: 0
; MemoryBound: 0
; FloatMode: 240
; IeeeMode: 1
; LDSByteSize: 0 bytes/workgroup (compile time only)
; SGPRBlocks: 4
; VGPRBlocks: 5
; NumSGPRsForWavesPerEU: 33
; NumVGPRsForWavesPerEU: 22
; Occupancy: 10
; WaveLimiterHint : 0
; COMPUTE_PGM_RSRC2:SCRATCH_EN: 0
; COMPUTE_PGM_RSRC2:USER_SGPR: 6
; COMPUTE_PGM_RSRC2:TRAP_HANDLER: 0
; COMPUTE_PGM_RSRC2:TGID_X_EN: 1
; COMPUTE_PGM_RSRC2:TGID_Y_EN: 0
; COMPUTE_PGM_RSRC2:TGID_Z_EN: 0
; COMPUTE_PGM_RSRC2:TIDIG_COMP_CNT: 1
	.section	.text._ZN2at6native12_GLOBAL__N_124RowwiseMomentsCUDAKernelIN3c108BFloat16EfLb1EEEvlT0_PKT_PS5_S9_,"axG",@progbits,_ZN2at6native12_GLOBAL__N_124RowwiseMomentsCUDAKernelIN3c108BFloat16EfLb1EEEvlT0_PKT_PS5_S9_,comdat
	.globl	_ZN2at6native12_GLOBAL__N_124RowwiseMomentsCUDAKernelIN3c108BFloat16EfLb1EEEvlT0_PKT_PS5_S9_ ; -- Begin function _ZN2at6native12_GLOBAL__N_124RowwiseMomentsCUDAKernelIN3c108BFloat16EfLb1EEEvlT0_PKT_PS5_S9_
	.p2align	8
	.type	_ZN2at6native12_GLOBAL__N_124RowwiseMomentsCUDAKernelIN3c108BFloat16EfLb1EEEvlT0_PKT_PS5_S9_,@function
_ZN2at6native12_GLOBAL__N_124RowwiseMomentsCUDAKernelIN3c108BFloat16EfLb1EEEvlT0_PKT_PS5_S9_: ; @_ZN2at6native12_GLOBAL__N_124RowwiseMomentsCUDAKernelIN3c108BFloat16EfLb1EEEvlT0_PKT_PS5_S9_
; %bb.0:
	s_load_dwordx2 s[0:1], s[4:5], 0x0
	v_mov_b32_e32 v1, 0
	v_mov_b32_e32 v2, 0
	s_mov_b32 s7, 0
	v_mov_b32_e32 v3, 0
	s_waitcnt lgkmcnt(0)
	v_cmp_gt_i64_e32 vcc, s[0:1], v[0:1]
	v_mov_b32_e32 v8, v1
	v_mov_b32_e32 v9, v1
	s_and_saveexec_b64 s[2:3], vcc
	s_cbranch_execz .LBB22_4
; %bb.1:
	s_load_dword s10, s[4:5], 0x34
	s_load_dwordx2 s[8:9], s[4:5], 0x10
	s_mul_i32 s11, s1, s6
	s_mul_hi_u32 s12, s0, s6
	s_add_i32 s11, s12, s11
	s_waitcnt lgkmcnt(0)
	s_and_b32 s12, s10, 0xffff
	s_mul_i32 s10, s0, s6
	s_lshl_b64 s[10:11], s[10:11], 1
	s_add_u32 s8, s8, s10
	v_lshlrev_b32_e32 v2, 1, v0
	s_addc_u32 s9, s9, s11
	v_mov_b32_e32 v3, s9
	v_add_co_u32_e32 v4, vcc, s8, v2
	v_mov_b32_e32 v7, v1
	v_mov_b32_e32 v8, 0
	v_addc_co_u32_e32 v5, vcc, 0, v3, vcc
	s_lshl_b32 s13, s12, 1
	s_mov_b64 s[8:9], 0
	v_mov_b32_e32 v6, v0
	s_mov_b64 s[10:11], 0
	v_mov_b32_e32 v9, 0
.LBB22_2:                               ; =>This Inner Loop Header: Depth=1
	global_load_ushort v2, v[4:5], off
	s_add_u32 s10, s10, 1
	s_addc_u32 s11, s11, 0
	s_flbit_i32_b32 s14, s11
	s_min_u32 s16, s14, 32
	s_lshl_b64 s[14:15], s[10:11], s16
	s_min_u32 s14, s14, 1
	s_or_b32 s14, s15, s14
	v_cvt_f32_u32_e32 v1, s14
	s_sub_i32 s16, 32, s16
	v_ldexp_f32 v1, v1, s16
	s_waitcnt vmcnt(0)
	v_lshlrev_b32_e32 v10, 16, v2
	v_sub_f32_e32 v11, v10, v9
	v_div_scale_f32 v2, s[14:15], v1, v1, v11
	v_div_scale_f32 v3, vcc, v11, v1, v11
	v_rcp_f32_e32 v12, v2
	v_fma_f32 v13, -v2, v12, 1.0
	v_fmac_f32_e32 v12, v13, v12
	v_mul_f32_e32 v13, v3, v12
	v_fma_f32 v14, -v2, v13, v3
	v_fmac_f32_e32 v13, v14, v12
	v_fma_f32 v2, -v2, v13, v3
	v_div_fmas_f32 v12, v2, v12, v13
	v_add_co_u32_e32 v6, vcc, s12, v6
	v_addc_co_u32_e32 v7, vcc, 0, v7, vcc
	v_add_co_u32_e32 v4, vcc, s13, v4
	v_addc_co_u32_e32 v5, vcc, 0, v5, vcc
	v_cmp_le_i64_e32 vcc, s[0:1], v[6:7]
	v_mov_b32_e32 v2, s10
	v_mov_b32_e32 v3, s11
	s_or_b64 s[8:9], vcc, s[8:9]
	v_div_fixup_f32 v12, v12, v1, v11
	v_add_f32_e32 v9, v9, v12
	v_sub_f32_e32 v10, v10, v9
	v_fmac_f32_e32 v8, v11, v10
	s_andn2_b64 exec, exec, s[8:9]
	s_cbranch_execnz .LBB22_2
; %bb.3:
	s_or_b64 exec, exec, s[8:9]
.LBB22_4:
	s_or_b64 exec, exec, s[2:3]
	v_mbcnt_lo_u32_b32 v4, -1, 0
	v_mbcnt_hi_u32_b32 v6, -1, v4
	v_mov_b32_e32 v4, 0x80
	v_lshl_or_b32 v7, v6, 2, v4
	ds_bpermute_b32 v13, v7, v9
	ds_bpermute_b32 v10, v7, v8
	;; [unrolled: 1-line block ×5, first 2 shown]
	v_cmp_neq_f32_e32 vcc, 0, v1
	s_and_saveexec_b64 s[0:1], vcc
	s_cbranch_execz .LBB22_8
; %bb.5:
	s_waitcnt lgkmcnt(0)
	v_cmp_neq_f32_e32 vcc, 0, v14
	s_and_saveexec_b64 s[2:3], vcc
	s_cbranch_execz .LBB22_7
; %bb.6:
	v_add_f32_e32 v4, v1, v14
	v_div_scale_f32 v2, s[8:9], v4, v4, v14
	v_div_scale_f32 v3, vcc, v14, v4, v14
	v_add_f32_e32 v8, v8, v10
	v_rcp_f32_e32 v5, v2
	v_fma_f32 v11, -v2, v5, 1.0
	v_fmac_f32_e32 v5, v11, v5
	v_mul_f32_e32 v11, v3, v5
	v_fma_f32 v12, -v2, v11, v3
	v_fmac_f32_e32 v11, v12, v5
	v_fma_f32 v2, -v2, v11, v3
	v_div_fmas_f32 v5, v2, v5, v11
	v_sub_f32_e32 v11, v13, v9
	v_mul_f32_e32 v10, v11, v11
	v_mov_b32_e32 v2, -1
	v_mul_f32_e32 v1, v1, v10
	v_mov_b32_e32 v3, -1
	v_div_fixup_f32 v5, v5, v4, v14
	v_fmac_f32_e32 v9, v11, v5
	v_fmac_f32_e32 v8, v1, v5
	v_mov_b32_e32 v1, v4
.LBB22_7:
	s_or_b64 exec, exec, s[2:3]
	v_mov_b32_e32 v5, v3
	v_mov_b32_e32 v14, v1
	;; [unrolled: 1-line block ×5, first 2 shown]
.LBB22_8:
	s_or_b64 exec, exec, s[0:1]
	v_and_b32_e32 v12, 63, v6
	v_cmp_gt_u32_e32 vcc, 48, v12
	v_cndmask_b32_e64 v1, 0, 16, vcc
	v_add_lshl_u32 v8, v1, v6, 2
	s_waitcnt lgkmcnt(4)
	ds_bpermute_b32 v15, v8, v13
	s_waitcnt lgkmcnt(4)
	ds_bpermute_b32 v11, v8, v10
	s_waitcnt lgkmcnt(4)
	ds_bpermute_b32 v1, v8, v4
	s_waitcnt lgkmcnt(4)
	ds_bpermute_b32 v2, v8, v5
	s_waitcnt lgkmcnt(4)
	ds_bpermute_b32 v16, v8, v14
	v_cmp_neq_f32_e32 vcc, 0, v14
	s_and_saveexec_b64 s[0:1], vcc
	s_cbranch_execz .LBB22_12
; %bb.9:
	s_waitcnt lgkmcnt(0)
	v_cmp_neq_f32_e32 vcc, 0, v16
	s_and_saveexec_b64 s[2:3], vcc
	s_cbranch_execz .LBB22_11
; %bb.10:
	v_add_f32_e32 v1, v14, v16
	v_div_scale_f32 v2, s[8:9], v1, v1, v16
	v_div_scale_f32 v3, vcc, v16, v1, v16
	v_add_f32_e32 v10, v10, v11
	v_rcp_f32_e32 v4, v2
	v_fma_f32 v5, -v2, v4, 1.0
	v_fmac_f32_e32 v4, v5, v4
	v_mul_f32_e32 v5, v3, v4
	v_fma_f32 v9, -v2, v5, v3
	v_fmac_f32_e32 v5, v9, v4
	v_fma_f32 v2, -v2, v5, v3
	v_div_fmas_f32 v2, v2, v4, v5
	v_sub_f32_e32 v3, v15, v13
	v_mul_f32_e32 v9, v3, v3
	v_mov_b32_e32 v4, -1
	v_mul_f32_e32 v9, v14, v9
	v_mov_b32_e32 v5, -1
	v_mov_b32_e32 v14, v1
	v_div_fixup_f32 v2, v2, v1, v16
	v_fmac_f32_e32 v13, v3, v2
	v_fmac_f32_e32 v10, v9, v2
.LBB22_11:
	s_or_b64 exec, exec, s[2:3]
	v_mov_b32_e32 v1, v4
	v_mov_b32_e32 v16, v14
	v_mov_b32_e32 v2, v5
	v_mov_b32_e32 v11, v10
	v_mov_b32_e32 v15, v13
.LBB22_12:
	s_or_b64 exec, exec, s[0:1]
	v_cmp_gt_u32_e32 vcc, 56, v12
	v_cndmask_b32_e64 v3, 0, 8, vcc
	v_add_lshl_u32 v9, v3, v6, 2
	s_waitcnt lgkmcnt(4)
	ds_bpermute_b32 v14, v9, v15
	s_waitcnt lgkmcnt(4)
	ds_bpermute_b32 v5, v9, v11
	s_waitcnt lgkmcnt(4)
	ds_bpermute_b32 v3, v9, v1
	s_waitcnt lgkmcnt(4)
	ds_bpermute_b32 v4, v9, v2
	s_waitcnt lgkmcnt(4)
	ds_bpermute_b32 v17, v9, v16
	v_cmp_neq_f32_e32 vcc, 0, v16
	s_and_saveexec_b64 s[0:1], vcc
	s_cbranch_execz .LBB22_16
; %bb.13:
	s_waitcnt lgkmcnt(0)
	v_cmp_neq_f32_e32 vcc, 0, v17
	s_and_saveexec_b64 s[2:3], vcc
	s_cbranch_execz .LBB22_15
; %bb.14:
	v_add_f32_e32 v3, v16, v17
	v_div_scale_f32 v1, s[8:9], v3, v3, v17
	v_div_scale_f32 v2, vcc, v17, v3, v17
	v_add_f32_e32 v11, v11, v5
	v_rcp_f32_e32 v4, v1
	v_fma_f32 v10, -v1, v4, 1.0
	v_fmac_f32_e32 v4, v10, v4
	v_mul_f32_e32 v10, v2, v4
	v_fma_f32 v13, -v1, v10, v2
	v_fmac_f32_e32 v10, v13, v4
	v_fma_f32 v1, -v1, v10, v2
	v_div_fmas_f32 v4, v1, v4, v10
	v_sub_f32_e32 v10, v14, v15
	v_mul_f32_e32 v5, v10, v10
	v_mov_b32_e32 v1, -1
	v_mul_f32_e32 v5, v16, v5
	v_mov_b32_e32 v2, -1
	v_mov_b32_e32 v16, v3
	v_div_fixup_f32 v4, v4, v3, v17
	v_fmac_f32_e32 v15, v10, v4
	v_fmac_f32_e32 v11, v5, v4
.LBB22_15:
	s_or_b64 exec, exec, s[2:3]
	v_mov_b32_e32 v4, v2
	v_mov_b32_e32 v17, v16
	v_mov_b32_e32 v3, v1
	v_mov_b32_e32 v5, v11
	v_mov_b32_e32 v14, v15
.LBB22_16:
	s_or_b64 exec, exec, s[0:1]
	;; [unrolled: 52-line block ×4, first 2 shown]
	v_cmp_ne_u32_e32 vcc, 63, v12
	v_addc_co_u32_e32 v1, vcc, 0, v6, vcc
	v_lshlrev_b32_e32 v12, 2, v1
	s_waitcnt lgkmcnt(4)
	ds_bpermute_b32 v1, v12, v16
	s_waitcnt lgkmcnt(4)
	ds_bpermute_b32 v2, v12, v14
	;; [unrolled: 2-line block ×5, first 2 shown]
	v_cmp_neq_f32_e32 vcc, 0, v17
	s_and_saveexec_b64 s[0:1], vcc
	s_cbranch_execz .LBB22_28
; %bb.25:
	s_waitcnt lgkmcnt(0)
	v_cmp_neq_f32_e32 vcc, 0, v13
	s_and_saveexec_b64 s[2:3], vcc
	s_cbranch_execz .LBB22_27
; %bb.26:
	v_add_f32_e32 v5, v17, v13
	v_div_scale_f32 v3, s[8:9], v5, v5, v13
	v_div_scale_f32 v4, vcc, v13, v5, v13
	v_sub_f32_e32 v1, v1, v16
	v_add_f32_e32 v14, v14, v2
	v_mul_f32_e32 v2, v1, v1
	v_mul_f32_e32 v2, v17, v2
	v_mov_b32_e32 v17, v5
	v_rcp_f32_e32 v6, v3
	v_fma_f32 v15, -v3, v6, 1.0
	v_fmac_f32_e32 v6, v15, v6
	v_mul_f32_e32 v15, v4, v6
	v_fma_f32 v18, -v3, v15, v4
	v_fmac_f32_e32 v15, v18, v6
	v_fma_f32 v3, -v3, v15, v4
	v_div_fmas_f32 v6, v3, v6, v15
	v_mov_b32_e32 v3, -1
	v_mov_b32_e32 v4, -1
	v_div_fixup_f32 v6, v6, v5, v13
	v_fmac_f32_e32 v16, v1, v6
	v_fmac_f32_e32 v14, v2, v6
.LBB22_27:
	s_or_b64 exec, exec, s[2:3]
	v_mov_b32_e32 v6, v4
	v_mov_b32_e32 v13, v17
	;; [unrolled: 1-line block ×5, first 2 shown]
.LBB22_28:
	s_or_b64 exec, exec, s[0:1]
	v_and_b32_e32 v3, 63, v0
	v_cmp_eq_u32_e32 vcc, 0, v3
	s_waitcnt lgkmcnt(0)
	s_barrier
	s_and_saveexec_b64 s[0:1], vcc
	s_cbranch_execz .LBB22_30
; %bb.29:
	v_lshrrev_b32_e32 v4, 6, v0
	v_mul_u32_u24_e32 v4, 24, v4
	ds_write2_b64 v4, v[1:2], v[5:6] offset1:1
	ds_write_b32 v4, v13 offset:16
.LBB22_30:
	s_or_b64 exec, exec, s[0:1]
	s_waitcnt lgkmcnt(0)
	s_barrier
	s_load_dword s0, s[4:5], 0x34
	v_mul_u32_u24_e32 v4, 24, v3
	v_mov_b32_e32 v1, 0
	v_mov_b32_e32 v2, 0
	s_waitcnt lgkmcnt(0)
	s_bfe_u32 s0, s0, 0xa0006
	v_cmp_gt_u32_e32 vcc, s0, v0
	s_and_saveexec_b64 s[0:1], vcc
	s_cbranch_execnz .LBB22_36
; %bb.31:
	s_or_b64 exec, exec, s[0:1]
	s_and_saveexec_b64 s[0:1], vcc
	s_cbranch_execnz .LBB22_37
.LBB22_32:
	s_or_b64 exec, exec, s[0:1]
	v_mov_b32_e32 v3, 0
	s_and_saveexec_b64 s[0:1], vcc
	s_cbranch_execnz .LBB22_38
.LBB22_33:
	s_or_b64 exec, exec, s[0:1]
	v_cmp_gt_u32_e32 vcc, 64, v0
	s_and_saveexec_b64 s[0:1], vcc
	s_cbranch_execnz .LBB22_39
.LBB22_34:
	s_or_b64 exec, exec, s[0:1]
	v_cmp_eq_u32_e32 vcc, 0, v0
	s_and_saveexec_b64 s[0:1], vcc
	s_cbranch_execnz .LBB22_64
.LBB22_35:
	s_endpgm
.LBB22_36:
	ds_read_b32 v2, v4
	s_or_b64 exec, exec, s[0:1]
	s_and_saveexec_b64 s[0:1], vcc
	s_cbranch_execz .LBB22_32
.LBB22_37:
	ds_read_b32 v1, v4 offset:4
	s_or_b64 exec, exec, s[0:1]
	v_mov_b32_e32 v3, 0
	s_and_saveexec_b64 s[0:1], vcc
	s_cbranch_execz .LBB22_33
.LBB22_38:
	ds_read_b32 v3, v4 offset:16
	s_or_b64 exec, exec, s[0:1]
	v_cmp_gt_u32_e32 vcc, 64, v0
	s_and_saveexec_b64 s[0:1], vcc
	s_cbranch_execz .LBB22_34
.LBB22_39:
	s_waitcnt lgkmcnt(0)
	ds_bpermute_b32 v5, v7, v2
	ds_bpermute_b32 v4, v7, v1
	;; [unrolled: 1-line block ×3, first 2 shown]
	v_cmp_neq_f32_e32 vcc, 0, v3
	s_and_saveexec_b64 s[2:3], vcc
	s_cbranch_execz .LBB22_43
; %bb.40:
	s_waitcnt lgkmcnt(0)
	v_cmp_neq_f32_e32 vcc, 0, v6
	s_and_saveexec_b64 s[8:9], vcc
	s_cbranch_execz .LBB22_42
; %bb.41:
	v_add_f32_e32 v7, v3, v6
	v_div_scale_f32 v13, s[10:11], v7, v7, v6
	v_div_scale_f32 v14, vcc, v6, v7, v6
	v_sub_f32_e32 v5, v5, v2
	v_add_f32_e32 v1, v1, v4
	v_mul_f32_e32 v4, v5, v5
	v_mul_f32_e32 v3, v3, v4
	v_rcp_f32_e32 v15, v13
	v_fma_f32 v16, -v13, v15, 1.0
	v_fmac_f32_e32 v15, v16, v15
	v_mul_f32_e32 v16, v14, v15
	v_fma_f32 v17, -v13, v16, v14
	v_fmac_f32_e32 v16, v17, v15
	v_fma_f32 v13, -v13, v16, v14
	v_div_fmas_f32 v13, v13, v15, v16
	v_div_fixup_f32 v4, v13, v7, v6
	v_fmac_f32_e32 v2, v5, v4
	v_fmac_f32_e32 v1, v3, v4
	v_mov_b32_e32 v3, v7
.LBB22_42:
	s_or_b64 exec, exec, s[8:9]
	v_mov_b32_e32 v6, v3
	v_mov_b32_e32 v4, v1
	;; [unrolled: 1-line block ×3, first 2 shown]
.LBB22_43:
	s_or_b64 exec, exec, s[2:3]
	s_waitcnt lgkmcnt(2)
	ds_bpermute_b32 v3, v8, v5
	s_waitcnt lgkmcnt(2)
	ds_bpermute_b32 v1, v8, v4
	;; [unrolled: 2-line block ×3, first 2 shown]
	v_cmp_neq_f32_e32 vcc, 0, v6
	s_and_saveexec_b64 s[2:3], vcc
	s_cbranch_execz .LBB22_47
; %bb.44:
	s_waitcnt lgkmcnt(0)
	v_cmp_neq_f32_e32 vcc, 0, v7
	s_and_saveexec_b64 s[8:9], vcc
	s_cbranch_execz .LBB22_46
; %bb.45:
	v_add_f32_e32 v2, v6, v7
	v_div_scale_f32 v8, s[10:11], v2, v2, v7
	v_div_scale_f32 v13, vcc, v7, v2, v7
	v_sub_f32_e32 v3, v3, v5
	v_add_f32_e32 v4, v4, v1
	v_mul_f32_e32 v1, v3, v3
	v_mul_f32_e32 v1, v6, v1
	v_rcp_f32_e32 v14, v8
	v_fma_f32 v15, -v8, v14, 1.0
	v_fmac_f32_e32 v14, v15, v14
	v_mul_f32_e32 v15, v13, v14
	v_fma_f32 v16, -v8, v15, v13
	v_fmac_f32_e32 v15, v16, v14
	v_fma_f32 v8, -v8, v15, v13
	v_div_fmas_f32 v8, v8, v14, v15
	v_div_fixup_f32 v6, v8, v2, v7
	v_fmac_f32_e32 v5, v3, v6
	v_fmac_f32_e32 v4, v1, v6
	v_mov_b32_e32 v6, v2
.LBB22_46:
	s_or_b64 exec, exec, s[8:9]
	v_mov_b32_e32 v7, v6
	v_mov_b32_e32 v1, v4
	v_mov_b32_e32 v3, v5
.LBB22_47:
	s_or_b64 exec, exec, s[2:3]
	s_waitcnt lgkmcnt(2)
	ds_bpermute_b32 v4, v9, v3
	s_waitcnt lgkmcnt(2)
	ds_bpermute_b32 v2, v9, v1
	;; [unrolled: 2-line block ×3, first 2 shown]
	v_cmp_neq_f32_e32 vcc, 0, v7
	s_and_saveexec_b64 s[2:3], vcc
	s_cbranch_execz .LBB22_51
; %bb.48:
	s_waitcnt lgkmcnt(0)
	v_cmp_neq_f32_e32 vcc, 0, v5
	s_and_saveexec_b64 s[8:9], vcc
	s_cbranch_execz .LBB22_50
; %bb.49:
	v_add_f32_e32 v6, v7, v5
	v_div_scale_f32 v8, s[10:11], v6, v6, v5
	v_div_scale_f32 v9, vcc, v5, v6, v5
	v_sub_f32_e32 v4, v4, v3
	v_add_f32_e32 v1, v1, v2
	v_mul_f32_e32 v2, v4, v4
	v_mul_f32_e32 v2, v7, v2
	v_mov_b32_e32 v7, v6
	v_rcp_f32_e32 v13, v8
	v_fma_f32 v14, -v8, v13, 1.0
	v_fmac_f32_e32 v13, v14, v13
	v_mul_f32_e32 v14, v9, v13
	v_fma_f32 v15, -v8, v14, v9
	v_fmac_f32_e32 v14, v15, v13
	v_fma_f32 v8, -v8, v14, v9
	v_div_fmas_f32 v8, v8, v13, v14
	v_div_fixup_f32 v5, v8, v6, v5
	v_fmac_f32_e32 v3, v4, v5
	v_fmac_f32_e32 v1, v2, v5
.LBB22_50:
	s_or_b64 exec, exec, s[8:9]
	v_mov_b32_e32 v5, v7
	v_mov_b32_e32 v2, v1
	;; [unrolled: 1-line block ×3, first 2 shown]
.LBB22_51:
	s_or_b64 exec, exec, s[2:3]
	s_waitcnt lgkmcnt(2)
	ds_bpermute_b32 v3, v10, v4
	s_waitcnt lgkmcnt(2)
	ds_bpermute_b32 v1, v10, v2
	;; [unrolled: 2-line block ×3, first 2 shown]
	v_cmp_neq_f32_e32 vcc, 0, v5
	s_and_saveexec_b64 s[2:3], vcc
	s_cbranch_execz .LBB22_55
; %bb.52:
	s_waitcnt lgkmcnt(0)
	v_cmp_neq_f32_e32 vcc, 0, v7
	s_and_saveexec_b64 s[8:9], vcc
	s_cbranch_execz .LBB22_54
; %bb.53:
	v_add_f32_e32 v6, v5, v7
	v_div_scale_f32 v8, s[10:11], v6, v6, v7
	v_div_scale_f32 v9, vcc, v7, v6, v7
	v_sub_f32_e32 v3, v3, v4
	v_add_f32_e32 v2, v2, v1
	v_mul_f32_e32 v1, v3, v3
	v_mul_f32_e32 v1, v5, v1
	v_rcp_f32_e32 v10, v8
	v_fma_f32 v13, -v8, v10, 1.0
	v_fmac_f32_e32 v10, v13, v10
	v_mul_f32_e32 v13, v9, v10
	v_fma_f32 v14, -v8, v13, v9
	v_fmac_f32_e32 v13, v14, v10
	v_fma_f32 v8, -v8, v13, v9
	v_div_fmas_f32 v8, v8, v10, v13
	v_div_fixup_f32 v5, v8, v6, v7
	v_fmac_f32_e32 v4, v3, v5
	v_fmac_f32_e32 v2, v1, v5
	v_mov_b32_e32 v5, v6
.LBB22_54:
	s_or_b64 exec, exec, s[8:9]
	v_mov_b32_e32 v7, v5
	v_mov_b32_e32 v1, v2
	;; [unrolled: 1-line block ×3, first 2 shown]
.LBB22_55:
	s_or_b64 exec, exec, s[2:3]
	s_waitcnt lgkmcnt(2)
	ds_bpermute_b32 v6, v11, v3
	s_waitcnt lgkmcnt(2)
	ds_bpermute_b32 v4, v11, v1
	;; [unrolled: 2-line block ×3, first 2 shown]
	v_cmp_neq_f32_e32 vcc, 0, v7
	s_and_saveexec_b64 s[2:3], vcc
	s_cbranch_execz .LBB22_59
; %bb.56:
	s_waitcnt lgkmcnt(0)
	v_cmp_neq_f32_e32 vcc, 0, v5
	s_and_saveexec_b64 s[8:9], vcc
	s_cbranch_execz .LBB22_58
; %bb.57:
	v_add_f32_e32 v2, v7, v5
	v_div_scale_f32 v8, s[10:11], v2, v2, v5
	v_div_scale_f32 v9, vcc, v5, v2, v5
	v_sub_f32_e32 v6, v6, v3
	v_add_f32_e32 v1, v1, v4
	v_mul_f32_e32 v4, v6, v6
	v_mul_f32_e32 v4, v7, v4
	v_mov_b32_e32 v7, v2
	v_rcp_f32_e32 v10, v8
	v_fma_f32 v11, -v8, v10, 1.0
	v_fmac_f32_e32 v10, v11, v10
	v_mul_f32_e32 v11, v9, v10
	v_fma_f32 v13, -v8, v11, v9
	v_fmac_f32_e32 v11, v13, v10
	v_fma_f32 v8, -v8, v11, v9
	v_div_fmas_f32 v8, v8, v10, v11
	v_div_fixup_f32 v5, v8, v2, v5
	v_fmac_f32_e32 v3, v6, v5
	v_fmac_f32_e32 v1, v4, v5
.LBB22_58:
	s_or_b64 exec, exec, s[8:9]
	v_mov_b32_e32 v5, v7
	v_mov_b32_e32 v4, v1
	v_mov_b32_e32 v6, v3
.LBB22_59:
	s_or_b64 exec, exec, s[2:3]
	s_waitcnt lgkmcnt(2)
	ds_bpermute_b32 v2, v12, v6
	s_waitcnt lgkmcnt(2)
	ds_bpermute_b32 v1, v12, v4
	;; [unrolled: 2-line block ×3, first 2 shown]
	v_cmp_neq_f32_e32 vcc, 0, v5
	s_and_saveexec_b64 s[2:3], vcc
	s_cbranch_execz .LBB22_63
; %bb.60:
	s_waitcnt lgkmcnt(0)
	v_cmp_neq_f32_e32 vcc, 0, v3
	s_and_saveexec_b64 s[8:9], vcc
	s_cbranch_execz .LBB22_62
; %bb.61:
	v_add_f32_e32 v7, v5, v3
	v_div_scale_f32 v8, s[10:11], v7, v7, v3
	v_div_scale_f32 v9, vcc, v3, v7, v3
	v_sub_f32_e32 v2, v2, v6
	v_add_f32_e32 v4, v4, v1
	v_mul_f32_e32 v1, v2, v2
	v_mul_f32_e32 v1, v5, v1
	v_mov_b32_e32 v5, v7
	v_rcp_f32_e32 v10, v8
	v_fma_f32 v11, -v8, v10, 1.0
	v_fmac_f32_e32 v10, v11, v10
	v_mul_f32_e32 v11, v9, v10
	v_fma_f32 v12, -v8, v11, v9
	v_fmac_f32_e32 v11, v12, v10
	v_fma_f32 v8, -v8, v11, v9
	v_div_fmas_f32 v8, v8, v10, v11
	v_div_fixup_f32 v3, v8, v7, v3
	v_fmac_f32_e32 v6, v2, v3
	v_fmac_f32_e32 v4, v1, v3
.LBB22_62:
	s_or_b64 exec, exec, s[8:9]
	v_mov_b32_e32 v3, v5
	v_mov_b32_e32 v1, v4
	v_mov_b32_e32 v2, v6
.LBB22_63:
	s_or_b64 exec, exec, s[2:3]
	s_or_b64 exec, exec, s[0:1]
	v_cmp_eq_u32_e32 vcc, 0, v0
	s_and_saveexec_b64 s[0:1], vcc
	s_cbranch_execz .LBB22_35
.LBB22_64:
	s_waitcnt lgkmcnt(0)
	v_max_f32_e32 v0, v3, v3
	v_max_f32_e32 v0, 0, v0
	v_div_scale_f32 v3, s[0:1], v0, v0, v1
	v_div_scale_f32 v4, vcc, v1, v0, v1
	s_load_dword s2, s[4:5], 0x8
	s_load_dwordx2 s[0:1], s[4:5], 0x20
	s_mov_b32 s3, 0x800000
	v_rcp_f32_e32 v5, v3
	v_fma_f32 v6, -v3, v5, 1.0
	v_fmac_f32_e32 v5, v6, v5
	v_mul_f32_e32 v6, v4, v5
	v_fma_f32 v7, -v3, v6, v4
	v_fmac_f32_e32 v6, v7, v5
	v_fma_f32 v3, -v3, v6, v4
	v_div_fmas_f32 v3, v3, v5, v6
	v_div_fixup_f32 v0, v3, v0, v1
	v_fmac_f32_e32 v0, v2, v2
	s_waitcnt lgkmcnt(0)
	v_add_f32_e32 v0, s2, v0
	v_mul_f32_e32 v1, 0x4b800000, v0
	v_cmp_gt_f32_e32 vcc, s3, v0
	v_cndmask_b32_e32 v0, v0, v1, vcc
	v_rsq_f32_e32 v0, v0
	s_lshl_b64 s[2:3], s[6:7], 2
	s_add_u32 s0, s0, s2
	s_addc_u32 s1, s1, s3
	v_mul_f32_e32 v1, 0x45800000, v0
	v_cndmask_b32_e32 v0, v0, v1, vcc
	v_mov_b32_e32 v1, 0
	global_store_dword v1, v0, s[0:1]
	s_endpgm
	.section	.rodata,"a",@progbits
	.p2align	6, 0x0
	.amdhsa_kernel _ZN2at6native12_GLOBAL__N_124RowwiseMomentsCUDAKernelIN3c108BFloat16EfLb1EEEvlT0_PKT_PS5_S9_
		.amdhsa_group_segment_fixed_size 1536
		.amdhsa_private_segment_fixed_size 0
		.amdhsa_kernarg_size 296
		.amdhsa_user_sgpr_count 6
		.amdhsa_user_sgpr_private_segment_buffer 1
		.amdhsa_user_sgpr_dispatch_ptr 0
		.amdhsa_user_sgpr_queue_ptr 0
		.amdhsa_user_sgpr_kernarg_segment_ptr 1
		.amdhsa_user_sgpr_dispatch_id 0
		.amdhsa_user_sgpr_flat_scratch_init 0
		.amdhsa_user_sgpr_private_segment_size 0
		.amdhsa_uses_dynamic_stack 0
		.amdhsa_system_sgpr_private_segment_wavefront_offset 0
		.amdhsa_system_sgpr_workgroup_id_x 1
		.amdhsa_system_sgpr_workgroup_id_y 0
		.amdhsa_system_sgpr_workgroup_id_z 0
		.amdhsa_system_sgpr_workgroup_info 0
		.amdhsa_system_vgpr_workitem_id 0
		.amdhsa_next_free_vgpr 20
		.amdhsa_next_free_sgpr 17
		.amdhsa_reserve_vcc 1
		.amdhsa_reserve_flat_scratch 0
		.amdhsa_float_round_mode_32 0
		.amdhsa_float_round_mode_16_64 0
		.amdhsa_float_denorm_mode_32 3
		.amdhsa_float_denorm_mode_16_64 3
		.amdhsa_dx10_clamp 1
		.amdhsa_ieee_mode 1
		.amdhsa_fp16_overflow 0
		.amdhsa_exception_fp_ieee_invalid_op 0
		.amdhsa_exception_fp_denorm_src 0
		.amdhsa_exception_fp_ieee_div_zero 0
		.amdhsa_exception_fp_ieee_overflow 0
		.amdhsa_exception_fp_ieee_underflow 0
		.amdhsa_exception_fp_ieee_inexact 0
		.amdhsa_exception_int_div_zero 0
	.end_amdhsa_kernel
	.section	.text._ZN2at6native12_GLOBAL__N_124RowwiseMomentsCUDAKernelIN3c108BFloat16EfLb1EEEvlT0_PKT_PS5_S9_,"axG",@progbits,_ZN2at6native12_GLOBAL__N_124RowwiseMomentsCUDAKernelIN3c108BFloat16EfLb1EEEvlT0_PKT_PS5_S9_,comdat
.Lfunc_end22:
	.size	_ZN2at6native12_GLOBAL__N_124RowwiseMomentsCUDAKernelIN3c108BFloat16EfLb1EEEvlT0_PKT_PS5_S9_, .Lfunc_end22-_ZN2at6native12_GLOBAL__N_124RowwiseMomentsCUDAKernelIN3c108BFloat16EfLb1EEEvlT0_PKT_PS5_S9_
                                        ; -- End function
	.set _ZN2at6native12_GLOBAL__N_124RowwiseMomentsCUDAKernelIN3c108BFloat16EfLb1EEEvlT0_PKT_PS5_S9_.num_vgpr, 20
	.set _ZN2at6native12_GLOBAL__N_124RowwiseMomentsCUDAKernelIN3c108BFloat16EfLb1EEEvlT0_PKT_PS5_S9_.num_agpr, 0
	.set _ZN2at6native12_GLOBAL__N_124RowwiseMomentsCUDAKernelIN3c108BFloat16EfLb1EEEvlT0_PKT_PS5_S9_.numbered_sgpr, 17
	.set _ZN2at6native12_GLOBAL__N_124RowwiseMomentsCUDAKernelIN3c108BFloat16EfLb1EEEvlT0_PKT_PS5_S9_.num_named_barrier, 0
	.set _ZN2at6native12_GLOBAL__N_124RowwiseMomentsCUDAKernelIN3c108BFloat16EfLb1EEEvlT0_PKT_PS5_S9_.private_seg_size, 0
	.set _ZN2at6native12_GLOBAL__N_124RowwiseMomentsCUDAKernelIN3c108BFloat16EfLb1EEEvlT0_PKT_PS5_S9_.uses_vcc, 1
	.set _ZN2at6native12_GLOBAL__N_124RowwiseMomentsCUDAKernelIN3c108BFloat16EfLb1EEEvlT0_PKT_PS5_S9_.uses_flat_scratch, 0
	.set _ZN2at6native12_GLOBAL__N_124RowwiseMomentsCUDAKernelIN3c108BFloat16EfLb1EEEvlT0_PKT_PS5_S9_.has_dyn_sized_stack, 0
	.set _ZN2at6native12_GLOBAL__N_124RowwiseMomentsCUDAKernelIN3c108BFloat16EfLb1EEEvlT0_PKT_PS5_S9_.has_recursion, 0
	.set _ZN2at6native12_GLOBAL__N_124RowwiseMomentsCUDAKernelIN3c108BFloat16EfLb1EEEvlT0_PKT_PS5_S9_.has_indirect_call, 0
	.section	.AMDGPU.csdata,"",@progbits
; Kernel info:
; codeLenInByte = 3372
; TotalNumSgprs: 21
; NumVgprs: 20
; ScratchSize: 0
; MemoryBound: 0
; FloatMode: 240
; IeeeMode: 1
; LDSByteSize: 1536 bytes/workgroup (compile time only)
; SGPRBlocks: 2
; VGPRBlocks: 4
; NumSGPRsForWavesPerEU: 21
; NumVGPRsForWavesPerEU: 20
; Occupancy: 10
; WaveLimiterHint : 0
; COMPUTE_PGM_RSRC2:SCRATCH_EN: 0
; COMPUTE_PGM_RSRC2:USER_SGPR: 6
; COMPUTE_PGM_RSRC2:TRAP_HANDLER: 0
; COMPUTE_PGM_RSRC2:TGID_X_EN: 1
; COMPUTE_PGM_RSRC2:TGID_Y_EN: 0
; COMPUTE_PGM_RSRC2:TGID_Z_EN: 0
; COMPUTE_PGM_RSRC2:TIDIG_COMP_CNT: 0
	.section	.text._ZN2at6native12_GLOBAL__N_126LayerNormForwardCUDAKernelIN3c108BFloat16EfLb1EEEvlPKT_PKT0_SA_S7_S7_PS5_,"axG",@progbits,_ZN2at6native12_GLOBAL__N_126LayerNormForwardCUDAKernelIN3c108BFloat16EfLb1EEEvlPKT_PKT0_SA_S7_S7_PS5_,comdat
	.globl	_ZN2at6native12_GLOBAL__N_126LayerNormForwardCUDAKernelIN3c108BFloat16EfLb1EEEvlPKT_PKT0_SA_S7_S7_PS5_ ; -- Begin function _ZN2at6native12_GLOBAL__N_126LayerNormForwardCUDAKernelIN3c108BFloat16EfLb1EEEvlPKT_PKT0_SA_S7_S7_PS5_
	.p2align	8
	.type	_ZN2at6native12_GLOBAL__N_126LayerNormForwardCUDAKernelIN3c108BFloat16EfLb1EEEvlPKT_PKT0_SA_S7_S7_PS5_,@function
_ZN2at6native12_GLOBAL__N_126LayerNormForwardCUDAKernelIN3c108BFloat16EfLb1EEEvlPKT_PKT0_SA_S7_S7_PS5_: ; @_ZN2at6native12_GLOBAL__N_126LayerNormForwardCUDAKernelIN3c108BFloat16EfLb1EEEvlPKT_PKT0_SA_S7_S7_PS5_
; %bb.0:
	s_load_dwordx4 s[8:11], s[4:5], 0x0
	v_mov_b32_e32 v1, 0
	s_waitcnt lgkmcnt(0)
	v_cmp_gt_i64_e32 vcc, s[8:9], v[0:1]
	s_and_saveexec_b64 s[0:1], vcc
	s_cbranch_execz .LBB23_6
; %bb.1:
	s_load_dwordx4 s[12:15], s[4:5], 0x18
	s_load_dwordx2 s[0:1], s[4:5], 0x30
	s_load_dword s18, s[4:5], 0x44
	s_mov_b32 s7, 0
	s_mov_b64 s[16:17], 0
	s_waitcnt lgkmcnt(0)
	s_cmp_lg_u64 s[14:15], 0
	s_cselect_b64 s[2:3], -1, 0
	s_lshl_b64 s[4:5], s[6:7], 2
	s_add_u32 s4, s12, s4
	s_mul_i32 s7, s9, s6
	s_mul_hi_u32 s12, s8, s6
	s_addc_u32 s5, s13, s5
	s_add_i32 s7, s12, s7
	s_mul_i32 s6, s8, s6
	s_load_dword s4, s[4:5], 0x0
	s_and_b32 s5, s18, 0xffff
	s_lshl_b64 s[12:13], s[6:7], 1
	s_add_u32 s6, s10, s12
	s_addc_u32 s11, s11, s13
	s_lshl_b32 s7, s5, 1
	s_add_u32 s10, s0, s12
	s_addc_u32 s12, s1, s13
	v_cndmask_b32_e64 v4, 0, 1, s[2:3]
	v_lshlrev_b32_e32 v2, 1, v0
	v_mov_b32_e32 v3, v1
	v_cmp_ne_u32_e64 s[0:1], 1, v4
	v_mov_b32_e32 v4, s11
	s_movk_i32 s11, 0x7fff
	v_mov_b32_e32 v5, 0x7fc0
	v_mov_b32_e32 v6, s12
	s_branch .LBB23_4
.LBB23_2:                               ;   in Loop: Header=BB23_4 Depth=1
	v_mov_b32_e32 v8, s15
	v_add_co_u32_e32 v7, vcc, s14, v2
	v_addc_co_u32_e32 v8, vcc, v8, v3, vcc
	global_load_ushort v7, v[7:8], off
	s_waitcnt vmcnt(0)
	v_lshlrev_b32_e32 v7, 16, v7
.LBB23_3:                               ;   in Loop: Header=BB23_4 Depth=1
	v_add_co_u32_e32 v8, vcc, s6, v2
	v_addc_co_u32_e32 v9, vcc, v4, v3, vcc
	global_load_ushort v10, v[8:9], off
	v_add_co_u32_e32 v0, vcc, s5, v0
	v_addc_co_u32_e32 v1, vcc, 0, v1, vcc
	v_cmp_le_i64_e32 vcc, s[8:9], v[0:1]
	v_add_co_u32_e64 v8, s[2:3], s10, v2
	s_or_b64 s[16:17], vcc, s[16:17]
	v_addc_co_u32_e64 v9, s[2:3], v6, v3, s[2:3]
	s_waitcnt vmcnt(0)
	v_lshlrev_b32_e32 v10, 16, v10
	s_waitcnt lgkmcnt(0)
	v_mul_f32_e32 v10, s4, v10
	v_mul_f32_e32 v7, v7, v10
	v_bfe_u32 v10, v7, 16, 1
	v_add3_u32 v10, v7, v10, s11
	v_lshrrev_b32_e32 v10, 16, v10
	v_cmp_o_f32_e32 vcc, v7, v7
	v_cndmask_b32_e32 v7, v5, v10, vcc
	v_add_co_u32_e32 v2, vcc, s7, v2
	v_addc_co_u32_e32 v3, vcc, 0, v3, vcc
	global_store_short v[8:9], v7, off
	s_andn2_b64 exec, exec, s[16:17]
	s_cbranch_execz .LBB23_6
.LBB23_4:                               ; =>This Inner Loop Header: Depth=1
	s_and_b64 vcc, exec, s[0:1]
	s_cbranch_vccz .LBB23_2
; %bb.5:                                ;   in Loop: Header=BB23_4 Depth=1
	v_mov_b32_e32 v7, 1.0
	s_branch .LBB23_3
.LBB23_6:
	s_endpgm
	.section	.rodata,"a",@progbits
	.p2align	6, 0x0
	.amdhsa_kernel _ZN2at6native12_GLOBAL__N_126LayerNormForwardCUDAKernelIN3c108BFloat16EfLb1EEEvlPKT_PKT0_SA_S7_S7_PS5_
		.amdhsa_group_segment_fixed_size 0
		.amdhsa_private_segment_fixed_size 0
		.amdhsa_kernarg_size 312
		.amdhsa_user_sgpr_count 6
		.amdhsa_user_sgpr_private_segment_buffer 1
		.amdhsa_user_sgpr_dispatch_ptr 0
		.amdhsa_user_sgpr_queue_ptr 0
		.amdhsa_user_sgpr_kernarg_segment_ptr 1
		.amdhsa_user_sgpr_dispatch_id 0
		.amdhsa_user_sgpr_flat_scratch_init 0
		.amdhsa_user_sgpr_private_segment_size 0
		.amdhsa_uses_dynamic_stack 0
		.amdhsa_system_sgpr_private_segment_wavefront_offset 0
		.amdhsa_system_sgpr_workgroup_id_x 1
		.amdhsa_system_sgpr_workgroup_id_y 0
		.amdhsa_system_sgpr_workgroup_id_z 0
		.amdhsa_system_sgpr_workgroup_info 0
		.amdhsa_system_vgpr_workitem_id 0
		.amdhsa_next_free_vgpr 11
		.amdhsa_next_free_sgpr 19
		.amdhsa_reserve_vcc 1
		.amdhsa_reserve_flat_scratch 0
		.amdhsa_float_round_mode_32 0
		.amdhsa_float_round_mode_16_64 0
		.amdhsa_float_denorm_mode_32 3
		.amdhsa_float_denorm_mode_16_64 3
		.amdhsa_dx10_clamp 1
		.amdhsa_ieee_mode 1
		.amdhsa_fp16_overflow 0
		.amdhsa_exception_fp_ieee_invalid_op 0
		.amdhsa_exception_fp_denorm_src 0
		.amdhsa_exception_fp_ieee_div_zero 0
		.amdhsa_exception_fp_ieee_overflow 0
		.amdhsa_exception_fp_ieee_underflow 0
		.amdhsa_exception_fp_ieee_inexact 0
		.amdhsa_exception_int_div_zero 0
	.end_amdhsa_kernel
	.section	.text._ZN2at6native12_GLOBAL__N_126LayerNormForwardCUDAKernelIN3c108BFloat16EfLb1EEEvlPKT_PKT0_SA_S7_S7_PS5_,"axG",@progbits,_ZN2at6native12_GLOBAL__N_126LayerNormForwardCUDAKernelIN3c108BFloat16EfLb1EEEvlPKT_PKT0_SA_S7_S7_PS5_,comdat
.Lfunc_end23:
	.size	_ZN2at6native12_GLOBAL__N_126LayerNormForwardCUDAKernelIN3c108BFloat16EfLb1EEEvlPKT_PKT0_SA_S7_S7_PS5_, .Lfunc_end23-_ZN2at6native12_GLOBAL__N_126LayerNormForwardCUDAKernelIN3c108BFloat16EfLb1EEEvlPKT_PKT0_SA_S7_S7_PS5_
                                        ; -- End function
	.set _ZN2at6native12_GLOBAL__N_126LayerNormForwardCUDAKernelIN3c108BFloat16EfLb1EEEvlPKT_PKT0_SA_S7_S7_PS5_.num_vgpr, 11
	.set _ZN2at6native12_GLOBAL__N_126LayerNormForwardCUDAKernelIN3c108BFloat16EfLb1EEEvlPKT_PKT0_SA_S7_S7_PS5_.num_agpr, 0
	.set _ZN2at6native12_GLOBAL__N_126LayerNormForwardCUDAKernelIN3c108BFloat16EfLb1EEEvlPKT_PKT0_SA_S7_S7_PS5_.numbered_sgpr, 19
	.set _ZN2at6native12_GLOBAL__N_126LayerNormForwardCUDAKernelIN3c108BFloat16EfLb1EEEvlPKT_PKT0_SA_S7_S7_PS5_.num_named_barrier, 0
	.set _ZN2at6native12_GLOBAL__N_126LayerNormForwardCUDAKernelIN3c108BFloat16EfLb1EEEvlPKT_PKT0_SA_S7_S7_PS5_.private_seg_size, 0
	.set _ZN2at6native12_GLOBAL__N_126LayerNormForwardCUDAKernelIN3c108BFloat16EfLb1EEEvlPKT_PKT0_SA_S7_S7_PS5_.uses_vcc, 1
	.set _ZN2at6native12_GLOBAL__N_126LayerNormForwardCUDAKernelIN3c108BFloat16EfLb1EEEvlPKT_PKT0_SA_S7_S7_PS5_.uses_flat_scratch, 0
	.set _ZN2at6native12_GLOBAL__N_126LayerNormForwardCUDAKernelIN3c108BFloat16EfLb1EEEvlPKT_PKT0_SA_S7_S7_PS5_.has_dyn_sized_stack, 0
	.set _ZN2at6native12_GLOBAL__N_126LayerNormForwardCUDAKernelIN3c108BFloat16EfLb1EEEvlPKT_PKT0_SA_S7_S7_PS5_.has_recursion, 0
	.set _ZN2at6native12_GLOBAL__N_126LayerNormForwardCUDAKernelIN3c108BFloat16EfLb1EEEvlPKT_PKT0_SA_S7_S7_PS5_.has_indirect_call, 0
	.section	.AMDGPU.csdata,"",@progbits
; Kernel info:
; codeLenInByte = 356
; TotalNumSgprs: 23
; NumVgprs: 11
; ScratchSize: 0
; MemoryBound: 0
; FloatMode: 240
; IeeeMode: 1
; LDSByteSize: 0 bytes/workgroup (compile time only)
; SGPRBlocks: 2
; VGPRBlocks: 2
; NumSGPRsForWavesPerEU: 23
; NumVGPRsForWavesPerEU: 11
; Occupancy: 10
; WaveLimiterHint : 0
; COMPUTE_PGM_RSRC2:SCRATCH_EN: 0
; COMPUTE_PGM_RSRC2:USER_SGPR: 6
; COMPUTE_PGM_RSRC2:TRAP_HANDLER: 0
; COMPUTE_PGM_RSRC2:TGID_X_EN: 1
; COMPUTE_PGM_RSRC2:TGID_Y_EN: 0
; COMPUTE_PGM_RSRC2:TGID_Z_EN: 0
; COMPUTE_PGM_RSRC2:TIDIG_COMP_CNT: 0
	.section	.text._ZN2at6native12_GLOBAL__N_118cuComputeGradInputIddLb0EEEvPKT_S5_llPKT0_S8_S5_PS3_,"axG",@progbits,_ZN2at6native12_GLOBAL__N_118cuComputeGradInputIddLb0EEEvPKT_S5_llPKT0_S8_S5_PS3_,comdat
	.globl	_ZN2at6native12_GLOBAL__N_118cuComputeGradInputIddLb0EEEvPKT_S5_llPKT0_S8_S5_PS3_ ; -- Begin function _ZN2at6native12_GLOBAL__N_118cuComputeGradInputIddLb0EEEvPKT_S5_llPKT0_S8_S5_PS3_
	.p2align	8
	.type	_ZN2at6native12_GLOBAL__N_118cuComputeGradInputIddLb0EEEvPKT_S5_llPKT0_S8_S5_PS3_,@function
_ZN2at6native12_GLOBAL__N_118cuComputeGradInputIddLb0EEEvPKT_S5_llPKT0_S8_S5_PS3_: ; @_ZN2at6native12_GLOBAL__N_118cuComputeGradInputIddLb0EEEvPKT_S5_llPKT0_S8_S5_PS3_
; %bb.0:
	s_load_dwordx4 s[24:27], s[4:5], 0x10
	s_mov_b32 s14, s7
	s_ashr_i32 s15, s7, 31
	v_mov_b32_e32 v2, s14
	v_mov_b32_e32 v3, s15
	s_waitcnt lgkmcnt(0)
	v_cmp_le_i64_e32 vcc, s[24:25], v[2:3]
	s_cbranch_vccnz .LBB24_49
; %bb.1:
	v_cvt_f64_i32_e32 v[2:3], s27
	v_cvt_f64_u32_e32 v[4:5], s26
	s_load_dwordx8 s[16:23], s[4:5], 0x20
	s_load_dword s33, s[4:5], 0x44
	s_load_dword s6, s[4:5], 0x4c
	s_load_dwordx4 s[28:31], s[4:5], 0x0
	v_ldexp_f64 v[2:3], v[2:3], 32
	v_cmp_gt_i64_e64 s[8:9], s[26:27], 0
	v_lshlrev_b32_e32 v14, 4, v0
	s_waitcnt lgkmcnt(0)
	s_lshr_b32 s44, s6, 16
	s_and_b32 s45, s6, 0xffff
	s_cmp_lg_u64 s[20:21], 0
	s_cselect_b64 s[6:7], -1, 0
	s_cmp_gt_u32 s45, 1
	v_add_f64 v[6:7], v[2:3], v[4:5]
	s_mul_i32 s46, s44, s45
	s_cselect_b64 s[34:35], -1, 0
	s_cmp_gt_u32 s44, 1
	s_cselect_b64 s[36:37], -1, 0
	s_ashr_i32 s47, s46, 31
	v_cmp_ne_u32_e64 s[2:3], 0, v1
	v_add_u32_e32 v24, 0, v14
	v_div_scale_f64 v[2:3], s[0:1], v[6:7], v[6:7], 1.0
	v_div_scale_f64 v[10:11], vcc, 1.0, v[6:7], 1.0
	v_cmp_eq_u32_e64 s[0:1], 0, v1
	v_rcp_f64_e32 v[4:5], v[2:3]
	v_fma_f64 v[8:9], -v[2:3], v[4:5], 1.0
	v_fma_f64 v[4:5], v[4:5], v[8:9], v[4:5]
	v_fma_f64 v[8:9], -v[2:3], v[4:5], 1.0
	v_fma_f64 v[4:5], v[4:5], v[8:9], v[4:5]
	v_mad_u32_u24 v8, v1, s45, v0
	v_mov_b32_e32 v9, 0
	v_cmp_gt_i64_e64 s[4:5], s[26:27], v[8:9]
	v_mul_f64 v[12:13], v[10:11], v[4:5]
	v_fma_f64 v[2:3], -v[2:3], v[12:13], v[10:11]
	v_div_fmas_f64 v[2:3], v[2:3], v[4:5], v[12:13]
	v_lshlrev_b32_e32 v4, 4, v8
	v_add_u32_e32 v5, s46, v8
	v_ashrrev_i32_e32 v11, 31, v5
	v_add_u32_e32 v22, 0, v4
	v_mov_b32_e32 v4, s47
	v_subrev_co_u32_e32 v10, vcc, s46, v5
	v_subb_co_u32_e32 v11, vcc, v11, v4, vcc
	v_div_fixup_f64 v[12:13], v[2:3], v[6:7], 1.0
	v_cndmask_b32_e64 v2, 0, 1, s[6:7]
	v_cmp_ne_u32_e64 s[6:7], 1, v2
	v_cndmask_b32_e64 v2, 0, 1, s[8:9]
	v_cmp_ne_u32_e64 s[8:9], 1, v2
	v_mbcnt_lo_u32_b32 v2, -1, 0
	v_mbcnt_hi_u32_b32 v23, -1, v2
	s_branch .LBB24_4
.LBB24_2:                               ;   in Loop: Header=BB24_4 Depth=1
	s_or_b64 exec, exec, s[12:13]
.LBB24_3:                               ;   in Loop: Header=BB24_4 Depth=1
	s_add_i32 s14, s33, s14
	s_ashr_i32 s15, s14, 31
	v_mov_b32_e32 v2, s14
	v_mov_b32_e32 v3, s15
	v_cmp_le_i64_e32 vcc, s[24:25], v[2:3]
	s_waitcnt vmcnt(0)
	s_barrier
	s_cbranch_vccnz .LBB24_49
.LBB24_4:                               ; =>This Loop Header: Depth=1
                                        ;     Child Loop BB24_8 Depth 2
                                        ;     Child Loop BB24_20 Depth 2
	;; [unrolled: 1-line block ×6, first 2 shown]
	s_mul_i32 s10, s14, s27
	s_mul_hi_u32 s11, s14, s26
	s_add_i32 s10, s11, s10
	s_mul_i32 s11, s15, s26
	s_add_i32 s11, s10, s11
	s_lshl_b64 s[12:13], s[14:15], 3
	s_add_u32 s38, s16, s12
	s_addc_u32 s39, s17, s13
	s_add_u32 s12, s18, s12
	s_mul_i32 s10, s14, s26
	s_addc_u32 s13, s19, s13
	s_load_dwordx2 s[38:39], s[38:39], 0x0
	s_lshl_b64 s[42:43], s[10:11], 3
	s_load_dwordx2 s[40:41], s[12:13], 0x0
	s_add_u32 s15, s30, s42
	s_addc_u32 s48, s31, s43
	s_add_u32 s49, s28, s42
	s_addc_u32 s50, s29, s43
	s_and_b64 vcc, exec, s[6:7]
	s_cbranch_vccnz .LBB24_14
; %bb.5:                                ;   in Loop: Header=BB24_4 Depth=1
	v_mov_b32_e32 v2, 0
	v_mov_b32_e32 v3, 0
	s_and_b64 vcc, exec, s[8:9]
	s_cbranch_vccnz .LBB24_15
; %bb.6:                                ;   in Loop: Header=BB24_4 Depth=1
	v_mov_b32_e32 v5, v3
	s_mov_b32 s51, 0
	v_mov_b32_e32 v4, v2
	s_branch .LBB24_8
.LBB24_7:                               ;   in Loop: Header=BB24_8 Depth=2
	s_or_b64 exec, exec, s[10:11]
	s_waitcnt vmcnt(0)
	v_mul_f64 v[16:17], v[14:15], v[18:19]
	s_waitcnt lgkmcnt(0)
	v_add_f64 v[20:21], v[20:21], -s[38:39]
	v_fma_f64 v[2:3], v[14:15], v[18:19], v[2:3]
	s_add_i32 s51, s51, s46
	s_ashr_i32 s10, s51, 31
	v_mov_b32_e32 v14, s51
	v_mov_b32_e32 v15, s10
	v_cmp_le_i64_e32 vcc, s[26:27], v[14:15]
	v_mul_f64 v[16:17], v[20:21], v[16:17]
	v_fma_f64 v[4:5], s[40:41], v[16:17], v[4:5]
	s_cbranch_vccnz .LBB24_16
.LBB24_8:                               ;   Parent Loop BB24_4 Depth=1
                                        ; =>  This Inner Loop Header: Depth=2
	v_add_u32_e32 v14, s51, v8
	v_ashrrev_i32_e32 v15, 31, v14
	v_cmp_gt_i64_e32 vcc, s[26:27], v[14:15]
	v_lshlrev_b64 v[16:17], 3, v[14:15]
	v_mov_b32_e32 v14, 0
	v_mov_b32_e32 v15, 0
	s_and_saveexec_b64 s[12:13], vcc
	s_cbranch_execz .LBB24_10
; %bb.9:                                ;   in Loop: Header=BB24_8 Depth=2
	v_mov_b32_e32 v15, s21
	v_add_co_u32_e64 v14, s[10:11], s20, v16
	v_addc_co_u32_e64 v15, s[10:11], v15, v17, s[10:11]
	global_load_dwordx2 v[14:15], v[14:15], off
.LBB24_10:                              ;   in Loop: Header=BB24_8 Depth=2
	s_or_b64 exec, exec, s[12:13]
	v_mov_b32_e32 v18, 0
	v_mov_b32_e32 v20, 0
	;; [unrolled: 1-line block ×4, first 2 shown]
	s_and_saveexec_b64 s[12:13], vcc
	s_cbranch_execz .LBB24_12
; %bb.11:                               ;   in Loop: Header=BB24_8 Depth=2
	v_mov_b32_e32 v21, s48
	v_add_co_u32_e64 v20, s[10:11], s15, v16
	v_addc_co_u32_e64 v21, s[10:11], v21, v17, s[10:11]
	global_load_dwordx2 v[20:21], v[20:21], off
.LBB24_12:                              ;   in Loop: Header=BB24_8 Depth=2
	s_or_b64 exec, exec, s[12:13]
	s_and_saveexec_b64 s[10:11], vcc
	s_cbranch_execz .LBB24_7
; %bb.13:                               ;   in Loop: Header=BB24_8 Depth=2
	v_mov_b32_e32 v18, s50
	v_add_co_u32_e32 v16, vcc, s49, v16
	v_addc_co_u32_e32 v17, vcc, v18, v17, vcc
	global_load_dwordx2 v[18:19], v[16:17], off
	s_branch .LBB24_7
.LBB24_14:                              ;   in Loop: Header=BB24_4 Depth=1
                                        ; implicit-def: $vgpr2_vgpr3
	s_branch .LBB24_17
.LBB24_15:                              ;   in Loop: Header=BB24_4 Depth=1
	v_mov_b32_e32 v5, v3
	v_mov_b32_e32 v4, v2
.LBB24_16:                              ;   in Loop: Header=BB24_4 Depth=1
	s_cbranch_execnz .LBB24_25
.LBB24_17:                              ;   in Loop: Header=BB24_4 Depth=1
	v_mov_b32_e32 v2, 0
	v_mov_b32_e32 v3, 0
	s_and_b64 vcc, exec, s[8:9]
	s_cbranch_vccnz .LBB24_24
; %bb.18:                               ;   in Loop: Header=BB24_4 Depth=1
	v_mov_b32_e32 v5, v3
	s_mov_b32 s51, 0
	v_mov_b32_e32 v4, v2
	s_branch .LBB24_20
.LBB24_19:                              ;   in Loop: Header=BB24_20 Depth=2
	s_or_b64 exec, exec, s[10:11]
	s_waitcnt vmcnt(0) lgkmcnt(0)
	v_add_f64 v[14:15], v[14:15], -s[38:39]
	v_add_f64 v[2:3], v[2:3], v[18:19]
	s_add_i32 s51, s51, s46
	s_ashr_i32 s10, s51, 31
	v_mul_f64 v[14:15], v[14:15], v[18:19]
	v_fma_f64 v[4:5], s[40:41], v[14:15], v[4:5]
	v_mov_b32_e32 v14, s51
	v_mov_b32_e32 v15, s10
	v_cmp_le_i64_e32 vcc, s[26:27], v[14:15]
	s_cbranch_vccnz .LBB24_25
.LBB24_20:                              ;   Parent Loop BB24_4 Depth=1
                                        ; =>  This Inner Loop Header: Depth=2
	v_add_u32_e32 v14, s51, v8
	v_ashrrev_i32_e32 v15, 31, v14
	v_cmp_gt_i64_e32 vcc, s[26:27], v[14:15]
	v_lshlrev_b64 v[16:17], 3, v[14:15]
	v_mov_b32_e32 v14, 0
	v_mov_b32_e32 v15, 0
	s_and_saveexec_b64 s[12:13], vcc
	s_cbranch_execz .LBB24_22
; %bb.21:                               ;   in Loop: Header=BB24_20 Depth=2
	v_mov_b32_e32 v15, s48
	v_add_co_u32_e64 v14, s[10:11], s15, v16
	v_addc_co_u32_e64 v15, s[10:11], v15, v17, s[10:11]
	global_load_dwordx2 v[14:15], v[14:15], off
.LBB24_22:                              ;   in Loop: Header=BB24_20 Depth=2
	s_or_b64 exec, exec, s[12:13]
	v_mov_b32_e32 v18, 0
	v_mov_b32_e32 v19, 0
	s_and_saveexec_b64 s[10:11], vcc
	s_cbranch_execz .LBB24_19
; %bb.23:                               ;   in Loop: Header=BB24_20 Depth=2
	v_mov_b32_e32 v18, s50
	v_add_co_u32_e32 v16, vcc, s49, v16
	v_addc_co_u32_e32 v17, vcc, v18, v17, vcc
	global_load_dwordx2 v[18:19], v[16:17], off
	s_branch .LBB24_19
.LBB24_24:                              ;   in Loop: Header=BB24_4 Depth=1
	v_mov_b32_e32 v5, v3
	v_mov_b32_e32 v4, v2
.LBB24_25:                              ;   in Loop: Header=BB24_4 Depth=1
	s_andn2_b64 vcc, exec, s[34:35]
	s_cbranch_vccnz .LBB24_28
; %bb.26:                               ;   in Loop: Header=BB24_4 Depth=1
	v_and_b32_e32 v14, 64, v23
	v_add_u32_e32 v14, 64, v14
	s_mov_b32 s10, s45
.LBB24_27:                              ;   Parent Loop BB24_4 Depth=1
                                        ; =>  This Inner Loop Header: Depth=2
	s_lshr_b32 s11, s10, 1
	v_xor_b32_e32 v15, s11, v23
	v_cmp_lt_i32_e32 vcc, v15, v14
	v_cndmask_b32_e32 v15, v23, v15, vcc
	v_lshlrev_b32_e32 v18, 2, v15
	ds_bpermute_b32 v15, v18, v2
	ds_bpermute_b32 v16, v18, v3
	;; [unrolled: 1-line block ×4, first 2 shown]
	s_cmp_lt_u32 s10, 4
	s_mov_b32 s10, s11
	s_waitcnt lgkmcnt(0)
	v_add_f64 v[2:3], v[2:3], v[15:16]
	v_add_f64 v[4:5], v[4:5], v[17:18]
	s_cbranch_scc0 .LBB24_27
.LBB24_28:                              ;   in Loop: Header=BB24_4 Depth=1
	s_andn2_b64 vcc, exec, s[36:37]
	s_mov_b32 s51, s44
	s_cbranch_vccnz .LBB24_40
.LBB24_29:                              ;   Parent Loop BB24_4 Depth=1
                                        ; =>  This Inner Loop Header: Depth=2
	s_lshr_b32 s52, s51, 1
	s_and_b32 s12, s51, 0xfffe
	v_cmp_le_u32_e64 s[10:11], s52, v1
	v_cmp_gt_u32_e64 s[12:13], s12, v1
	v_cmp_gt_u32_e32 vcc, s52, v1
	s_and_b64 s[12:13], s[10:11], s[12:13]
	s_and_saveexec_b64 s[10:11], s[12:13]
; %bb.30:                               ;   in Loop: Header=BB24_29 Depth=2
	v_subrev_u32_e32 v14, s52, v1
	v_mad_u32_u24 v14, v14, s45, v0
	v_lshl_add_u32 v14, v14, 4, 0
	ds_write2_b64 v14, v[2:3], v[4:5] offset1:1
; %bb.31:                               ;   in Loop: Header=BB24_29 Depth=2
	s_or_b64 exec, exec, s[10:11]
	s_waitcnt lgkmcnt(0)
	s_barrier
	s_and_saveexec_b64 s[10:11], vcc
	s_cbranch_execz .LBB24_33
; %bb.32:                               ;   in Loop: Header=BB24_29 Depth=2
	ds_read2_b64 v[14:17], v22 offset1:1
	s_waitcnt lgkmcnt(0)
	v_add_f64 v[2:3], v[2:3], v[14:15]
	v_add_f64 v[4:5], v[4:5], v[16:17]
.LBB24_33:                              ;   in Loop: Header=BB24_29 Depth=2
	s_or_b64 exec, exec, s[10:11]
	s_cmp_lt_u32 s51, 4
	s_barrier
	s_cbranch_scc1 .LBB24_35
; %bb.34:                               ;   in Loop: Header=BB24_29 Depth=2
	s_mov_b32 s51, s52
	s_branch .LBB24_29
.LBB24_35:                              ;   in Loop: Header=BB24_4 Depth=1
	s_and_saveexec_b64 s[10:11], s[0:1]
; %bb.36:                               ;   in Loop: Header=BB24_4 Depth=1
	ds_write2_b64 v24, v[2:3], v[4:5] offset1:1
; %bb.37:                               ;   in Loop: Header=BB24_4 Depth=1
	s_or_b64 exec, exec, s[10:11]
	s_waitcnt lgkmcnt(0)
	s_barrier
	s_and_saveexec_b64 s[10:11], s[2:3]
; %bb.38:                               ;   in Loop: Header=BB24_4 Depth=1
	ds_read2_b64 v[2:5], v24 offset1:1
; %bb.39:                               ;   in Loop: Header=BB24_4 Depth=1
	s_or_b64 exec, exec, s[10:11]
.LBB24_40:                              ;   in Loop: Header=BB24_4 Depth=1
	s_waitcnt lgkmcnt(0)
	v_mul_f64 v[14:15], v[12:13], s[40:41]
	s_add_u32 s51, s22, s42
	s_addc_u32 s52, s23, s43
	s_and_b64 vcc, exec, s[6:7]
	s_cbranch_vccnz .LBB24_45
; %bb.41:                               ;   in Loop: Header=BB24_4 Depth=1
	s_and_saveexec_b64 s[12:13], s[4:5]
	s_cbranch_execz .LBB24_44
; %bb.42:                               ;   in Loop: Header=BB24_4 Depth=1
	v_mov_b32_e32 v17, v11
	v_mov_b32_e32 v19, v9
	s_mov_b64 s[42:43], 0
	v_mov_b32_e32 v16, v10
	v_mov_b32_e32 v18, v8
.LBB24_43:                              ;   Parent Loop BB24_4 Depth=1
                                        ; =>  This Inner Loop Header: Depth=2
	v_lshlrev_b64 v[20:21], 3, v[18:19]
	v_mov_b32_e32 v19, s48
	v_add_co_u32_e32 v18, vcc, s15, v20
	v_addc_co_u32_e32 v19, vcc, v19, v21, vcc
	v_mov_b32_e32 v26, s50
	v_add_co_u32_e32 v25, vcc, s49, v20
	v_addc_co_u32_e32 v26, vcc, v26, v21, vcc
	global_load_dwordx2 v[25:26], v[25:26], off
	s_nop 0
	global_load_dwordx2 v[18:19], v[18:19], off
	v_mov_b32_e32 v28, s21
	v_add_co_u32_e32 v27, vcc, s20, v20
	v_addc_co_u32_e32 v28, vcc, v28, v21, vcc
	global_load_dwordx2 v[27:28], v[27:28], off
	v_add_co_u32_e32 v16, vcc, s46, v16
	v_add_co_u32_e64 v20, s[10:11], s51, v20
	s_waitcnt vmcnt(2)
	v_mul_f64 v[25:26], v[25:26], v[6:7]
	s_waitcnt vmcnt(1)
	v_add_f64 v[18:19], v[18:19], -s[38:39]
	s_waitcnt vmcnt(0)
	v_fma_f64 v[25:26], v[25:26], v[27:28], -v[2:3]
	v_mul_f64 v[18:19], s[40:41], v[18:19]
	v_mov_b32_e32 v27, s52
	v_addc_co_u32_e64 v21, s[10:11], v27, v21, s[10:11]
	v_fma_f64 v[25:26], -v[4:5], v[18:19], v[25:26]
	v_mov_b32_e32 v18, s47
	v_addc_co_u32_e32 v17, vcc, v17, v18, vcc
	v_cmp_le_i64_e32 vcc, s[26:27], v[16:17]
	v_ashrrev_i32_e32 v19, 31, v16
	v_mov_b32_e32 v18, v16
	s_or_b64 s[42:43], vcc, s[42:43]
	v_mul_f64 v[25:26], v[14:15], v[25:26]
	global_store_dwordx2 v[20:21], v[25:26], off
	s_andn2_b64 exec, exec, s[42:43]
	s_cbranch_execnz .LBB24_43
.LBB24_44:                              ;   in Loop: Header=BB24_4 Depth=1
	s_or_b64 exec, exec, s[12:13]
	s_cbranch_execnz .LBB24_3
	s_branch .LBB24_46
.LBB24_45:                              ;   in Loop: Header=BB24_4 Depth=1
.LBB24_46:                              ;   in Loop: Header=BB24_4 Depth=1
	s_and_saveexec_b64 s[12:13], s[4:5]
	s_cbranch_execz .LBB24_2
; %bb.47:                               ;   in Loop: Header=BB24_4 Depth=1
	v_mov_b32_e32 v17, v11
	v_mov_b32_e32 v19, v9
	s_mov_b64 s[42:43], 0
	v_mov_b32_e32 v16, v10
	v_mov_b32_e32 v18, v8
.LBB24_48:                              ;   Parent Loop BB24_4 Depth=1
                                        ; =>  This Inner Loop Header: Depth=2
	v_lshlrev_b64 v[20:21], 3, v[18:19]
	v_mov_b32_e32 v19, s48
	v_add_co_u32_e32 v18, vcc, s15, v20
	v_addc_co_u32_e32 v19, vcc, v19, v21, vcc
	global_load_dwordx2 v[18:19], v[18:19], off
	v_mov_b32_e32 v26, s50
	v_add_co_u32_e32 v25, vcc, s49, v20
	v_addc_co_u32_e32 v26, vcc, v26, v21, vcc
	global_load_dwordx2 v[25:26], v[25:26], off
	v_add_co_u32_e32 v16, vcc, s46, v16
	v_mov_b32_e32 v27, s52
	v_add_co_u32_e64 v20, s[10:11], s51, v20
	v_addc_co_u32_e64 v21, s[10:11], v27, v21, s[10:11]
	s_waitcnt vmcnt(1)
	v_add_f64 v[18:19], v[18:19], -s[38:39]
	s_waitcnt vmcnt(0)
	v_fma_f64 v[25:26], v[25:26], v[6:7], -v[2:3]
	v_mul_f64 v[18:19], s[40:41], v[18:19]
	v_fma_f64 v[25:26], -v[4:5], v[18:19], v[25:26]
	v_mov_b32_e32 v18, s47
	v_addc_co_u32_e32 v17, vcc, v17, v18, vcc
	v_cmp_le_i64_e32 vcc, s[26:27], v[16:17]
	v_ashrrev_i32_e32 v19, 31, v16
	v_mov_b32_e32 v18, v16
	s_or_b64 s[42:43], vcc, s[42:43]
	v_mul_f64 v[25:26], v[14:15], v[25:26]
	global_store_dwordx2 v[20:21], v[25:26], off
	s_andn2_b64 exec, exec, s[42:43]
	s_cbranch_execnz .LBB24_48
	s_branch .LBB24_2
.LBB24_49:
	s_endpgm
	.section	.rodata,"a",@progbits
	.p2align	6, 0x0
	.amdhsa_kernel _ZN2at6native12_GLOBAL__N_118cuComputeGradInputIddLb0EEEvPKT_S5_llPKT0_S8_S5_PS3_
		.amdhsa_group_segment_fixed_size 0
		.amdhsa_private_segment_fixed_size 0
		.amdhsa_kernarg_size 320
		.amdhsa_user_sgpr_count 6
		.amdhsa_user_sgpr_private_segment_buffer 1
		.amdhsa_user_sgpr_dispatch_ptr 0
		.amdhsa_user_sgpr_queue_ptr 0
		.amdhsa_user_sgpr_kernarg_segment_ptr 1
		.amdhsa_user_sgpr_dispatch_id 0
		.amdhsa_user_sgpr_flat_scratch_init 0
		.amdhsa_user_sgpr_private_segment_size 0
		.amdhsa_uses_dynamic_stack 0
		.amdhsa_system_sgpr_private_segment_wavefront_offset 0
		.amdhsa_system_sgpr_workgroup_id_x 1
		.amdhsa_system_sgpr_workgroup_id_y 1
		.amdhsa_system_sgpr_workgroup_id_z 0
		.amdhsa_system_sgpr_workgroup_info 0
		.amdhsa_system_vgpr_workitem_id 1
		.amdhsa_next_free_vgpr 29
		.amdhsa_next_free_sgpr 53
		.amdhsa_reserve_vcc 1
		.amdhsa_reserve_flat_scratch 0
		.amdhsa_float_round_mode_32 0
		.amdhsa_float_round_mode_16_64 0
		.amdhsa_float_denorm_mode_32 3
		.amdhsa_float_denorm_mode_16_64 3
		.amdhsa_dx10_clamp 1
		.amdhsa_ieee_mode 1
		.amdhsa_fp16_overflow 0
		.amdhsa_exception_fp_ieee_invalid_op 0
		.amdhsa_exception_fp_denorm_src 0
		.amdhsa_exception_fp_ieee_div_zero 0
		.amdhsa_exception_fp_ieee_overflow 0
		.amdhsa_exception_fp_ieee_underflow 0
		.amdhsa_exception_fp_ieee_inexact 0
		.amdhsa_exception_int_div_zero 0
	.end_amdhsa_kernel
	.section	.text._ZN2at6native12_GLOBAL__N_118cuComputeGradInputIddLb0EEEvPKT_S5_llPKT0_S8_S5_PS3_,"axG",@progbits,_ZN2at6native12_GLOBAL__N_118cuComputeGradInputIddLb0EEEvPKT_S5_llPKT0_S8_S5_PS3_,comdat
.Lfunc_end24:
	.size	_ZN2at6native12_GLOBAL__N_118cuComputeGradInputIddLb0EEEvPKT_S5_llPKT0_S8_S5_PS3_, .Lfunc_end24-_ZN2at6native12_GLOBAL__N_118cuComputeGradInputIddLb0EEEvPKT_S5_llPKT0_S8_S5_PS3_
                                        ; -- End function
	.set _ZN2at6native12_GLOBAL__N_118cuComputeGradInputIddLb0EEEvPKT_S5_llPKT0_S8_S5_PS3_.num_vgpr, 29
	.set _ZN2at6native12_GLOBAL__N_118cuComputeGradInputIddLb0EEEvPKT_S5_llPKT0_S8_S5_PS3_.num_agpr, 0
	.set _ZN2at6native12_GLOBAL__N_118cuComputeGradInputIddLb0EEEvPKT_S5_llPKT0_S8_S5_PS3_.numbered_sgpr, 53
	.set _ZN2at6native12_GLOBAL__N_118cuComputeGradInputIddLb0EEEvPKT_S5_llPKT0_S8_S5_PS3_.num_named_barrier, 0
	.set _ZN2at6native12_GLOBAL__N_118cuComputeGradInputIddLb0EEEvPKT_S5_llPKT0_S8_S5_PS3_.private_seg_size, 0
	.set _ZN2at6native12_GLOBAL__N_118cuComputeGradInputIddLb0EEEvPKT_S5_llPKT0_S8_S5_PS3_.uses_vcc, 1
	.set _ZN2at6native12_GLOBAL__N_118cuComputeGradInputIddLb0EEEvPKT_S5_llPKT0_S8_S5_PS3_.uses_flat_scratch, 0
	.set _ZN2at6native12_GLOBAL__N_118cuComputeGradInputIddLb0EEEvPKT_S5_llPKT0_S8_S5_PS3_.has_dyn_sized_stack, 0
	.set _ZN2at6native12_GLOBAL__N_118cuComputeGradInputIddLb0EEEvPKT_S5_llPKT0_S8_S5_PS3_.has_recursion, 0
	.set _ZN2at6native12_GLOBAL__N_118cuComputeGradInputIddLb0EEEvPKT_S5_llPKT0_S8_S5_PS3_.has_indirect_call, 0
	.section	.AMDGPU.csdata,"",@progbits
; Kernel info:
; codeLenInByte = 1728
; TotalNumSgprs: 57
; NumVgprs: 29
; ScratchSize: 0
; MemoryBound: 0
; FloatMode: 240
; IeeeMode: 1
; LDSByteSize: 0 bytes/workgroup (compile time only)
; SGPRBlocks: 7
; VGPRBlocks: 7
; NumSGPRsForWavesPerEU: 57
; NumVGPRsForWavesPerEU: 29
; Occupancy: 8
; WaveLimiterHint : 0
; COMPUTE_PGM_RSRC2:SCRATCH_EN: 0
; COMPUTE_PGM_RSRC2:USER_SGPR: 6
; COMPUTE_PGM_RSRC2:TRAP_HANDLER: 0
; COMPUTE_PGM_RSRC2:TGID_X_EN: 1
; COMPUTE_PGM_RSRC2:TGID_Y_EN: 1
; COMPUTE_PGM_RSRC2:TGID_Z_EN: 0
; COMPUTE_PGM_RSRC2:TIDIG_COMP_CNT: 1
	.section	.text._ZN2at6native12_GLOBAL__N_128layer_norm_grad_input_kernelIddLb0EEEvPKT_S5_PKT0_S8_S5_PS3_i,"axG",@progbits,_ZN2at6native12_GLOBAL__N_128layer_norm_grad_input_kernelIddLb0EEEvPKT_S5_PKT0_S8_S5_PS3_i,comdat
	.globl	_ZN2at6native12_GLOBAL__N_128layer_norm_grad_input_kernelIddLb0EEEvPKT_S5_PKT0_S8_S5_PS3_i ; -- Begin function _ZN2at6native12_GLOBAL__N_128layer_norm_grad_input_kernelIddLb0EEEvPKT_S5_PKT0_S8_S5_PS3_i
	.p2align	8
	.type	_ZN2at6native12_GLOBAL__N_128layer_norm_grad_input_kernelIddLb0EEEvPKT_S5_PKT0_S8_S5_PS3_i,@function
_ZN2at6native12_GLOBAL__N_128layer_norm_grad_input_kernelIddLb0EEEvPKT_S5_PKT0_S8_S5_PS3_i: ; @_ZN2at6native12_GLOBAL__N_128layer_norm_grad_input_kernelIddLb0EEEvPKT_S5_PKT0_S8_S5_PS3_i
; %bb.0:
	s_load_dword s22, s[4:5], 0x30
	s_load_dwordx2 s[16:17], s[4:5], 0x20
	s_load_dwordx8 s[8:15], s[4:5], 0x0
	s_mov_b32 s7, 0
	s_lshl_b64 s[2:3], s[6:7], 3
	s_waitcnt lgkmcnt(0)
	s_ashr_i32 s0, s22, 31
	s_mul_hi_u32 s1, s22, s6
	s_mul_i32 s0, s0, s6
	s_add_i32 s1, s1, s0
	s_mul_i32 s0, s22, s6
	s_add_u32 s6, s12, s2
	s_addc_u32 s7, s13, s3
	s_add_u32 s2, s14, s2
	s_addc_u32 s3, s15, s3
	s_load_dwordx2 s[6:7], s[6:7], 0x0
	s_lshl_b64 s[14:15], s[0:1], 3
	s_load_dwordx2 s[12:13], s[2:3], 0x0
	s_add_u32 s23, s10, s14
	v_lshlrev_b32_e32 v3, 2, v0
	s_addc_u32 s25, s11, s15
	s_add_u32 s24, s8, s14
	v_or_b32_e32 v4, 3, v3
	v_mov_b32_e32 v5, 0
	v_mov_b32_e32 v1, 0
	s_addc_u32 s26, s9, s15
	v_mov_b32_e32 v6, 0
	v_mov_b32_e32 v2, 0
	v_cmp_gt_u32_e32 vcc, s22, v4
	s_and_saveexec_b64 s[2:3], vcc
	s_cbranch_execz .LBB25_12
; %bb.1:
	s_load_dword s0, s[4:5], 0x44
	s_cmp_lg_u64 s[16:17], 0
	s_cselect_b64 s[20:21], -1, 0
	v_mov_b32_e32 v5, 0
	v_cndmask_b32_e64 v7, 0, 1, s[20:21]
	s_waitcnt lgkmcnt(0)
	s_and_b32 s0, s0, 0xffff
	v_mov_b32_e32 v1, 0
	s_mov_b64 s[18:19], 0
	v_mov_b32_e32 v6, 0
	s_lshl_b32 s27, s0, 2
	v_mov_b32_e32 v4, 0
	v_mov_b32_e32 v33, s25
	;; [unrolled: 1-line block ×4, first 2 shown]
	v_cmp_ne_u32_e64 s[0:1], 1, v7
	s_branch .LBB25_3
.LBB25_2:                               ;   in Loop: Header=BB25_3 Depth=1
	s_waitcnt vmcnt(4)
	v_fma_f64 v[5:6], v[25:26], v[29:30], v[5:6]
	v_mul_f64 v[21:22], v[25:26], v[29:30]
	v_add_f64 v[25:26], v[27:28], -s[6:7]
	v_add_u32_e32 v3, s27, v3
	s_waitcnt vmcnt(2)
	v_fma_f64 v[5:6], v[19:20], v[31:32], v[5:6]
	v_mul_f64 v[19:20], v[19:20], v[31:32]
	v_mul_f64 v[21:22], v[25:26], v[21:22]
	global_load_dwordx2 v[25:26], v[9:10], off offset:24
	global_load_dwordx2 v[27:28], v[7:8], off offset:24
	v_add_f64 v[7:8], v[15:16], -s[6:7]
	s_waitcnt vmcnt(2)
	v_mul_f64 v[9:10], v[13:14], v[17:18]
	v_add_f64 v[15:16], v[23:24], -s[6:7]
	v_fma_f64 v[5:6], v[13:14], v[17:18], v[5:6]
	v_fma_f64 v[1:2], s[12:13], v[21:22], v[1:2]
	v_mul_f64 v[7:8], v[7:8], v[19:20]
	v_mul_f64 v[9:10], v[15:16], v[9:10]
	v_fma_f64 v[1:2], s[12:13], v[7:8], v[1:2]
	v_fma_f64 v[1:2], s[12:13], v[9:10], v[1:2]
	s_waitcnt vmcnt(1)
	v_mul_f64 v[7:8], v[11:12], v[25:26]
	s_waitcnt vmcnt(0)
	v_add_f64 v[15:16], v[27:28], -s[6:7]
	v_fma_f64 v[5:6], v[11:12], v[25:26], v[5:6]
	v_mul_f64 v[7:8], v[15:16], v[7:8]
	v_fma_f64 v[1:2], s[12:13], v[7:8], v[1:2]
	v_add_u32_e32 v7, 3, v3
	v_cmp_le_u32_e32 vcc, s22, v7
	s_or_b64 s[18:19], vcc, s[18:19]
	s_andn2_b64 exec, exec, s[18:19]
	s_cbranch_execz .LBB25_11
.LBB25_3:                               ; =>This Inner Loop Header: Depth=1
	v_mov_b32_e32 v19, 0
	v_lshlrev_b64 v[21:22], 3, v[3:4]
	v_mov_b32_e32 v25, 0
	v_mov_b32_e32 v20, 0x3ff00000
	s_and_b64 vcc, exec, s[20:21]
	v_mov_b32_e32 v26, 0x3ff00000
	s_cbranch_vccz .LBB25_5
; %bb.4:                                ;   in Loop: Header=BB25_3 Depth=1
	v_mov_b32_e32 v8, s17
	v_add_co_u32_e32 v7, vcc, s16, v21
	v_addc_co_u32_e32 v8, vcc, v8, v22, vcc
	global_load_dwordx2 v[25:26], v[7:8], off
.LBB25_5:                               ;   in Loop: Header=BB25_3 Depth=1
	v_add_co_u32_e32 v7, vcc, s23, v21
	v_addc_co_u32_e32 v8, vcc, v33, v22, vcc
	v_add_co_u32_e32 v9, vcc, s24, v21
	v_addc_co_u32_e32 v10, vcc, v34, v22, vcc
	global_load_dwordx2 v[27:28], v[7:8], off
	global_load_dwordx2 v[29:30], v[9:10], off
	s_and_b64 vcc, exec, s[0:1]
	s_cbranch_vccnz .LBB25_7
; %bb.6:                                ;   in Loop: Header=BB25_3 Depth=1
	v_mov_b32_e32 v12, s17
	v_add_co_u32_e32 v11, vcc, s16, v21
	v_addc_co_u32_e32 v12, vcc, v12, v22, vcc
	global_load_dwordx2 v[19:20], v[11:12], off offset:8
.LBB25_7:                               ;   in Loop: Header=BB25_3 Depth=1
	global_load_dwordx2 v[15:16], v[7:8], off offset:8
	global_load_dwordx2 v[31:32], v[9:10], off offset:8
	v_mov_b32_e32 v11, 0
	v_mov_b32_e32 v13, 0
	;; [unrolled: 1-line block ×3, first 2 shown]
	s_and_b64 vcc, exec, s[0:1]
	v_mov_b32_e32 v14, 0x3ff00000
	s_cbranch_vccnz .LBB25_9
; %bb.8:                                ;   in Loop: Header=BB25_3 Depth=1
	v_mov_b32_e32 v14, s17
	v_add_co_u32_e32 v13, vcc, s16, v21
	v_addc_co_u32_e32 v14, vcc, v14, v22, vcc
	global_load_dwordx2 v[13:14], v[13:14], off offset:16
.LBB25_9:                               ;   in Loop: Header=BB25_3 Depth=1
	s_nop 0
	global_load_dwordx2 v[23:24], v[7:8], off offset:16
	global_load_dwordx2 v[17:18], v[9:10], off offset:16
	s_and_b64 vcc, exec, s[0:1]
	s_cbranch_vccnz .LBB25_2
; %bb.10:                               ;   in Loop: Header=BB25_3 Depth=1
	v_mov_b32_e32 v12, s17
	v_add_co_u32_e32 v11, vcc, s16, v21
	v_addc_co_u32_e32 v12, vcc, v12, v22, vcc
	global_load_dwordx2 v[11:12], v[11:12], off offset:24
	s_branch .LBB25_2
.LBB25_11:
	s_or_b64 exec, exec, s[18:19]
.LBB25_12:
	s_or_b64 exec, exec, s[2:3]
	v_cmp_gt_u32_e32 vcc, s22, v3
	s_and_saveexec_b64 s[2:3], vcc
	s_cbranch_execz .LBB25_19
; %bb.13:
	v_mov_b32_e32 v4, 0
	v_lshlrev_b64 v[9:10], 3, v[3:4]
	v_mov_b32_e32 v4, s17
	v_add_co_u32_e32 v7, vcc, s16, v9
	v_addc_co_u32_e32 v8, vcc, v4, v10, vcc
	v_mov_b32_e32 v4, s15
	v_add_co_u32_e32 v11, vcc, s14, v9
	v_addc_co_u32_e32 v4, vcc, v4, v10, vcc
	v_mov_b32_e32 v10, s11
	v_add_co_u32_e32 v9, vcc, s10, v11
	s_cmp_lg_u64 s[16:17], 0
	v_addc_co_u32_e32 v10, vcc, v10, v4, vcc
	v_mov_b32_e32 v12, s9
	v_add_co_u32_e32 v11, vcc, s8, v11
	s_cselect_b64 s[0:1], -1, 0
	v_addc_co_u32_e32 v12, vcc, v12, v4, vcc
	v_cndmask_b32_e64 v4, 0, 1, s[0:1]
	s_mov_b64 s[18:19], 0
	v_cmp_ne_u32_e64 s[0:1], 1, v4
	s_branch .LBB25_16
.LBB25_14:                              ;   in Loop: Header=BB25_16 Depth=1
	global_load_dwordx2 v[13:14], v[7:8], off
.LBB25_15:                              ;   in Loop: Header=BB25_16 Depth=1
	global_load_dwordx2 v[15:16], v[11:12], off
	global_load_dwordx2 v[17:18], v[9:10], off
	v_add_co_u32_e32 v7, vcc, 8, v7
	v_addc_co_u32_e32 v8, vcc, 0, v8, vcc
	v_add_co_u32_e32 v9, vcc, 8, v9
	v_add_u32_e32 v3, 1, v3
	v_addc_co_u32_e32 v10, vcc, 0, v10, vcc
	v_cmp_le_u32_e32 vcc, s22, v3
	s_or_b64 s[18:19], vcc, s[18:19]
	v_add_co_u32_e32 v11, vcc, 8, v11
	v_addc_co_u32_e32 v12, vcc, 0, v12, vcc
	s_waitcnt vmcnt(1)
	v_mul_f64 v[19:20], v[13:14], v[15:16]
	s_waitcnt vmcnt(0) lgkmcnt(0)
	v_add_f64 v[17:18], v[17:18], -s[6:7]
	v_fma_f64 v[5:6], v[13:14], v[15:16], v[5:6]
	v_mul_f64 v[17:18], v[17:18], v[19:20]
	v_fma_f64 v[1:2], s[12:13], v[17:18], v[1:2]
	s_andn2_b64 exec, exec, s[18:19]
	s_cbranch_execz .LBB25_18
.LBB25_16:                              ; =>This Inner Loop Header: Depth=1
	s_and_b64 vcc, exec, s[0:1]
	s_cbranch_vccz .LBB25_14
; %bb.17:                               ;   in Loop: Header=BB25_16 Depth=1
	v_mov_b32_e32 v13, 0
	v_mov_b32_e32 v14, 0x3ff00000
	s_branch .LBB25_15
.LBB25_18:
	s_or_b64 exec, exec, s[18:19]
.LBB25_19:
	s_or_b64 exec, exec, s[2:3]
	v_mbcnt_lo_u32_b32 v3, -1, 0
	v_mbcnt_hi_u32_b32 v12, -1, v3
	v_mov_b32_e32 v3, 0x80
	v_lshl_or_b32 v7, v12, 2, v3
	ds_bpermute_b32 v3, v7, v5
	ds_bpermute_b32 v4, v7, v6
	v_and_b32_e32 v13, 63, v12
	v_cmp_gt_u32_e32 vcc, 48, v13
	v_and_b32_e32 v14, 63, v0
	s_waitcnt lgkmcnt(0)
	v_add_f64 v[3:4], v[5:6], v[3:4]
	v_cndmask_b32_e64 v5, 0, 16, vcc
	v_add_lshl_u32 v8, v5, v12, 2
	v_cmp_gt_u32_e32 vcc, 56, v13
	s_barrier
	ds_bpermute_b32 v5, v8, v3
	ds_bpermute_b32 v6, v8, v4
	s_waitcnt lgkmcnt(0)
	v_add_f64 v[3:4], v[3:4], v[5:6]
	v_cndmask_b32_e64 v5, 0, 8, vcc
	v_add_lshl_u32 v9, v5, v12, 2
	v_cmp_gt_u32_e32 vcc, 60, v13
	ds_bpermute_b32 v5, v9, v3
	ds_bpermute_b32 v6, v9, v4
	s_waitcnt lgkmcnt(0)
	v_add_f64 v[3:4], v[3:4], v[5:6]
	v_cndmask_b32_e64 v5, 0, 4, vcc
	v_add_lshl_u32 v10, v5, v12, 2
	v_cmp_gt_u32_e32 vcc, 62, v13
	ds_bpermute_b32 v5, v10, v3
	ds_bpermute_b32 v6, v10, v4
	s_waitcnt lgkmcnt(0)
	v_add_f64 v[3:4], v[3:4], v[5:6]
	v_cndmask_b32_e64 v5, 0, 2, vcc
	v_add_lshl_u32 v11, v5, v12, 2
	v_cmp_ne_u32_e32 vcc, 63, v13
	v_lshrrev_b32_e32 v13, 3, v0
	ds_bpermute_b32 v5, v11, v3
	ds_bpermute_b32 v6, v11, v4
	s_waitcnt lgkmcnt(0)
	v_add_f64 v[3:4], v[3:4], v[5:6]
	v_addc_co_u32_e32 v5, vcc, 0, v12, vcc
	v_lshlrev_b32_e32 v12, 2, v5
	v_cmp_eq_u32_e32 vcc, 0, v14
	ds_bpermute_b32 v5, v12, v3
	ds_bpermute_b32 v6, v12, v4
	s_and_saveexec_b64 s[0:1], vcc
	s_cbranch_execz .LBB25_21
; %bb.20:
	s_waitcnt lgkmcnt(0)
	v_add_f64 v[3:4], v[3:4], v[5:6]
	v_add_u32_e32 v5, 0, v13
	ds_write_b64 v5, v[3:4]
.LBB25_21:
	s_or_b64 exec, exec, s[0:1]
	s_waitcnt lgkmcnt(0)
	s_barrier
	s_load_dword s10, s[4:5], 0x44
	v_mov_b32_e32 v3, 0
	v_mov_b32_e32 v4, 0
	v_lshl_add_u32 v14, v14, 3, 0
	s_waitcnt lgkmcnt(0)
	s_bfe_u32 s0, s10, 0xa0006
	v_cmp_gt_u32_e64 s[0:1], s0, v0
	s_and_saveexec_b64 s[2:3], s[0:1]
; %bb.22:
	ds_read_b64 v[3:4], v14
; %bb.23:
	s_or_b64 exec, exec, s[2:3]
	v_cmp_gt_u32_e64 s[2:3], 64, v0
	s_and_saveexec_b64 s[8:9], s[2:3]
	s_cbranch_execz .LBB25_25
; %bb.24:
	s_waitcnt lgkmcnt(0)
	ds_bpermute_b32 v5, v7, v3
	ds_bpermute_b32 v6, v7, v4
	s_waitcnt lgkmcnt(0)
	v_add_f64 v[3:4], v[3:4], v[5:6]
	ds_bpermute_b32 v5, v8, v3
	ds_bpermute_b32 v6, v8, v4
	s_waitcnt lgkmcnt(0)
	v_add_f64 v[3:4], v[3:4], v[5:6]
	;; [unrolled: 4-line block ×6, first 2 shown]
.LBB25_25:
	s_or_b64 exec, exec, s[8:9]
	ds_bpermute_b32 v5, v7, v1
	ds_bpermute_b32 v6, v7, v2
	s_waitcnt lgkmcnt(0)
	s_barrier
	v_add_f64 v[1:2], v[1:2], v[5:6]
	ds_bpermute_b32 v5, v8, v1
	ds_bpermute_b32 v6, v8, v2
	s_waitcnt lgkmcnt(0)
	v_add_f64 v[1:2], v[1:2], v[5:6]
	ds_bpermute_b32 v5, v9, v1
	ds_bpermute_b32 v6, v9, v2
	s_waitcnt lgkmcnt(0)
	;; [unrolled: 4-line block ×4, first 2 shown]
	v_add_f64 v[1:2], v[1:2], v[5:6]
	ds_bpermute_b32 v5, v12, v1
	ds_bpermute_b32 v6, v12, v2
	s_and_saveexec_b64 s[8:9], vcc
	s_cbranch_execz .LBB25_27
; %bb.26:
	s_waitcnt lgkmcnt(0)
	v_add_f64 v[1:2], v[1:2], v[5:6]
	v_add_u32_e32 v5, 0, v13
	ds_write_b64 v5, v[1:2]
.LBB25_27:
	s_or_b64 exec, exec, s[8:9]
	v_mov_b32_e32 v1, 0
	v_mov_b32_e32 v2, 0
	s_waitcnt lgkmcnt(0)
	s_barrier
	s_and_saveexec_b64 s[8:9], s[0:1]
	s_cbranch_execnz .LBB25_38
; %bb.28:
	s_or_b64 exec, exec, s[8:9]
	s_and_saveexec_b64 s[0:1], s[2:3]
	s_cbranch_execnz .LBB25_39
.LBB25_29:
	s_or_b64 exec, exec, s[0:1]
	v_cmp_eq_u32_e32 vcc, 0, v0
	s_and_saveexec_b64 s[0:1], vcc
	s_cbranch_execz .LBB25_31
.LBB25_30:
	v_mov_b32_e32 v5, 0
	s_waitcnt lgkmcnt(0)
	ds_write2_b64 v5, v[3:4], v[1:2] offset1:1
.LBB25_31:
	s_or_b64 exec, exec, s[0:1]
	v_cmp_gt_i32_e32 vcc, s22, v0
	s_waitcnt lgkmcnt(0)
	s_barrier
	s_and_saveexec_b64 s[0:1], vcc
	s_cbranch_execz .LBB25_37
; %bb.32:
	v_cvt_f64_i32_e32 v[6:7], s22
	s_mov_b64 s[2:3], 0
	v_mov_b32_e32 v18, s25
	v_mov_b32_e32 v19, s26
	v_div_scale_f64 v[1:2], s[0:1], v[6:7], v[6:7], 1.0
	s_load_dwordx2 s[0:1], s[4:5], 0x28
	s_and_b32 s4, 0xffff, s10
	s_waitcnt lgkmcnt(0)
	s_add_u32 s5, s0, s14
	s_addc_u32 s8, s1, s15
	s_cmp_lg_u64 s[16:17], 0
	s_cselect_b64 s[0:1], -1, 0
	v_rcp_f64_e32 v[3:4], v[1:2]
	v_fma_f64 v[8:9], -v[1:2], v[3:4], 1.0
	v_fma_f64 v[3:4], v[3:4], v[8:9], v[3:4]
	v_div_scale_f64 v[8:9], vcc, 1.0, v[6:7], 1.0
	v_fma_f64 v[10:11], -v[1:2], v[3:4], 1.0
	v_fma_f64 v[3:4], v[3:4], v[10:11], v[3:4]
	v_mul_f64 v[10:11], v[8:9], v[3:4]
	v_fma_f64 v[1:2], -v[1:2], v[10:11], v[8:9]
	v_div_fmas_f64 v[1:2], v[1:2], v[3:4], v[10:11]
	v_div_fixup_f64 v[8:9], v[1:2], v[6:7], 1.0
	v_mov_b32_e32 v1, 0
	ds_read2_b64 v[2:5], v1 offset1:1
	v_cndmask_b32_e64 v1, 0, 1, s[0:1]
	v_cmp_ne_u32_e64 s[0:1], 1, v1
	v_mul_f64 v[8:9], v[8:9], s[12:13]
	s_branch .LBB25_35
.LBB25_33:                              ;   in Loop: Header=BB25_35 Depth=1
	v_mov_b32_e32 v1, s17
	v_add_co_u32_e32 v16, vcc, s16, v10
	v_addc_co_u32_e32 v17, vcc, v1, v11, vcc
	global_load_dwordx2 v[16:17], v[16:17], off
.LBB25_34:                              ;   in Loop: Header=BB25_35 Depth=1
	s_waitcnt vmcnt(1)
	v_add_f64 v[12:13], v[12:13], -s[6:7]
	s_waitcnt vmcnt(0)
	v_mul_f64 v[16:17], v[16:17], v[6:7]
	v_mov_b32_e32 v1, s8
	v_add_co_u32_e32 v10, vcc, s5, v10
	v_addc_co_u32_e32 v11, vcc, v1, v11, vcc
	v_add_u32_e32 v0, s4, v0
	v_mul_f64 v[12:13], s[12:13], v[12:13]
	v_cmp_le_i32_e32 vcc, s22, v0
	s_or_b64 s[2:3], vcc, s[2:3]
	s_waitcnt lgkmcnt(0)
	v_mul_f64 v[12:13], v[4:5], v[12:13]
	v_fma_f64 v[12:13], v[14:15], v[16:17], -v[12:13]
	v_add_f64 v[12:13], v[12:13], -v[2:3]
	v_mul_f64 v[12:13], v[8:9], v[12:13]
	global_store_dwordx2 v[10:11], v[12:13], off
	s_andn2_b64 exec, exec, s[2:3]
	s_cbranch_execz .LBB25_37
.LBB25_35:                              ; =>This Inner Loop Header: Depth=1
	v_ashrrev_i32_e32 v1, 31, v0
	v_lshlrev_b64 v[10:11], 3, v[0:1]
	v_add_co_u32_e32 v12, vcc, s23, v10
	v_addc_co_u32_e32 v13, vcc, v18, v11, vcc
	v_add_co_u32_e32 v14, vcc, s24, v10
	v_addc_co_u32_e32 v15, vcc, v19, v11, vcc
	global_load_dwordx2 v[12:13], v[12:13], off
	s_and_b64 vcc, exec, s[0:1]
	global_load_dwordx2 v[14:15], v[14:15], off
	s_cbranch_vccz .LBB25_33
; %bb.36:                               ;   in Loop: Header=BB25_35 Depth=1
	v_mov_b32_e32 v16, 0
	v_mov_b32_e32 v17, 0x3ff00000
	s_branch .LBB25_34
.LBB25_37:
	s_endpgm
.LBB25_38:
	ds_read_b64 v[1:2], v14
	s_or_b64 exec, exec, s[8:9]
	s_and_saveexec_b64 s[0:1], s[2:3]
	s_cbranch_execz .LBB25_29
.LBB25_39:
	s_waitcnt lgkmcnt(0)
	ds_bpermute_b32 v5, v7, v1
	ds_bpermute_b32 v6, v7, v2
	s_waitcnt lgkmcnt(0)
	v_add_f64 v[1:2], v[1:2], v[5:6]
	ds_bpermute_b32 v5, v8, v1
	ds_bpermute_b32 v6, v8, v2
	s_waitcnt lgkmcnt(0)
	v_add_f64 v[1:2], v[1:2], v[5:6]
	;; [unrolled: 4-line block ×6, first 2 shown]
	s_or_b64 exec, exec, s[0:1]
	v_cmp_eq_u32_e32 vcc, 0, v0
	s_and_saveexec_b64 s[0:1], vcc
	s_cbranch_execnz .LBB25_30
	s_branch .LBB25_31
	.section	.rodata,"a",@progbits
	.p2align	6, 0x0
	.amdhsa_kernel _ZN2at6native12_GLOBAL__N_128layer_norm_grad_input_kernelIddLb0EEEvPKT_S5_PKT0_S8_S5_PS3_i
		.amdhsa_group_segment_fixed_size 0
		.amdhsa_private_segment_fixed_size 0
		.amdhsa_kernarg_size 312
		.amdhsa_user_sgpr_count 6
		.amdhsa_user_sgpr_private_segment_buffer 1
		.amdhsa_user_sgpr_dispatch_ptr 0
		.amdhsa_user_sgpr_queue_ptr 0
		.amdhsa_user_sgpr_kernarg_segment_ptr 1
		.amdhsa_user_sgpr_dispatch_id 0
		.amdhsa_user_sgpr_flat_scratch_init 0
		.amdhsa_user_sgpr_private_segment_size 0
		.amdhsa_uses_dynamic_stack 0
		.amdhsa_system_sgpr_private_segment_wavefront_offset 0
		.amdhsa_system_sgpr_workgroup_id_x 1
		.amdhsa_system_sgpr_workgroup_id_y 0
		.amdhsa_system_sgpr_workgroup_id_z 0
		.amdhsa_system_sgpr_workgroup_info 0
		.amdhsa_system_vgpr_workitem_id 0
		.amdhsa_next_free_vgpr 35
		.amdhsa_next_free_sgpr 28
		.amdhsa_reserve_vcc 1
		.amdhsa_reserve_flat_scratch 0
		.amdhsa_float_round_mode_32 0
		.amdhsa_float_round_mode_16_64 0
		.amdhsa_float_denorm_mode_32 3
		.amdhsa_float_denorm_mode_16_64 3
		.amdhsa_dx10_clamp 1
		.amdhsa_ieee_mode 1
		.amdhsa_fp16_overflow 0
		.amdhsa_exception_fp_ieee_invalid_op 0
		.amdhsa_exception_fp_denorm_src 0
		.amdhsa_exception_fp_ieee_div_zero 0
		.amdhsa_exception_fp_ieee_overflow 0
		.amdhsa_exception_fp_ieee_underflow 0
		.amdhsa_exception_fp_ieee_inexact 0
		.amdhsa_exception_int_div_zero 0
	.end_amdhsa_kernel
	.section	.text._ZN2at6native12_GLOBAL__N_128layer_norm_grad_input_kernelIddLb0EEEvPKT_S5_PKT0_S8_S5_PS3_i,"axG",@progbits,_ZN2at6native12_GLOBAL__N_128layer_norm_grad_input_kernelIddLb0EEEvPKT_S5_PKT0_S8_S5_PS3_i,comdat
.Lfunc_end25:
	.size	_ZN2at6native12_GLOBAL__N_128layer_norm_grad_input_kernelIddLb0EEEvPKT_S5_PKT0_S8_S5_PS3_i, .Lfunc_end25-_ZN2at6native12_GLOBAL__N_128layer_norm_grad_input_kernelIddLb0EEEvPKT_S5_PKT0_S8_S5_PS3_i
                                        ; -- End function
	.set _ZN2at6native12_GLOBAL__N_128layer_norm_grad_input_kernelIddLb0EEEvPKT_S5_PKT0_S8_S5_PS3_i.num_vgpr, 35
	.set _ZN2at6native12_GLOBAL__N_128layer_norm_grad_input_kernelIddLb0EEEvPKT_S5_PKT0_S8_S5_PS3_i.num_agpr, 0
	.set _ZN2at6native12_GLOBAL__N_128layer_norm_grad_input_kernelIddLb0EEEvPKT_S5_PKT0_S8_S5_PS3_i.numbered_sgpr, 28
	.set _ZN2at6native12_GLOBAL__N_128layer_norm_grad_input_kernelIddLb0EEEvPKT_S5_PKT0_S8_S5_PS3_i.num_named_barrier, 0
	.set _ZN2at6native12_GLOBAL__N_128layer_norm_grad_input_kernelIddLb0EEEvPKT_S5_PKT0_S8_S5_PS3_i.private_seg_size, 0
	.set _ZN2at6native12_GLOBAL__N_128layer_norm_grad_input_kernelIddLb0EEEvPKT_S5_PKT0_S8_S5_PS3_i.uses_vcc, 1
	.set _ZN2at6native12_GLOBAL__N_128layer_norm_grad_input_kernelIddLb0EEEvPKT_S5_PKT0_S8_S5_PS3_i.uses_flat_scratch, 0
	.set _ZN2at6native12_GLOBAL__N_128layer_norm_grad_input_kernelIddLb0EEEvPKT_S5_PKT0_S8_S5_PS3_i.has_dyn_sized_stack, 0
	.set _ZN2at6native12_GLOBAL__N_128layer_norm_grad_input_kernelIddLb0EEEvPKT_S5_PKT0_S8_S5_PS3_i.has_recursion, 0
	.set _ZN2at6native12_GLOBAL__N_128layer_norm_grad_input_kernelIddLb0EEEvPKT_S5_PKT0_S8_S5_PS3_i.has_indirect_call, 0
	.section	.AMDGPU.csdata,"",@progbits
; Kernel info:
; codeLenInByte = 2420
; TotalNumSgprs: 32
; NumVgprs: 35
; ScratchSize: 0
; MemoryBound: 0
; FloatMode: 240
; IeeeMode: 1
; LDSByteSize: 0 bytes/workgroup (compile time only)
; SGPRBlocks: 3
; VGPRBlocks: 8
; NumSGPRsForWavesPerEU: 32
; NumVGPRsForWavesPerEU: 35
; Occupancy: 7
; WaveLimiterHint : 0
; COMPUTE_PGM_RSRC2:SCRATCH_EN: 0
; COMPUTE_PGM_RSRC2:USER_SGPR: 6
; COMPUTE_PGM_RSRC2:TRAP_HANDLER: 0
; COMPUTE_PGM_RSRC2:TGID_X_EN: 1
; COMPUTE_PGM_RSRC2:TGID_Y_EN: 0
; COMPUTE_PGM_RSRC2:TGID_Z_EN: 0
; COMPUTE_PGM_RSRC2:TIDIG_COMP_CNT: 0
	.section	.text._ZN2at6native12_GLOBAL__N_133GammaBetaBackwardSimpleCUDAKernelIddLb0EEEvllPKT_S5_PKT0_S8_PS3_S9_,"axG",@progbits,_ZN2at6native12_GLOBAL__N_133GammaBetaBackwardSimpleCUDAKernelIddLb0EEEvllPKT_S5_PKT0_S8_PS3_S9_,comdat
	.globl	_ZN2at6native12_GLOBAL__N_133GammaBetaBackwardSimpleCUDAKernelIddLb0EEEvllPKT_S5_PKT0_S8_PS3_S9_ ; -- Begin function _ZN2at6native12_GLOBAL__N_133GammaBetaBackwardSimpleCUDAKernelIddLb0EEEvllPKT_S5_PKT0_S8_PS3_S9_
	.p2align	8
	.type	_ZN2at6native12_GLOBAL__N_133GammaBetaBackwardSimpleCUDAKernelIddLb0EEEvllPKT_S5_PKT0_S8_PS3_S9_,@function
_ZN2at6native12_GLOBAL__N_133GammaBetaBackwardSimpleCUDAKernelIddLb0EEEvllPKT_S5_PKT0_S8_PS3_S9_: ; @_ZN2at6native12_GLOBAL__N_133GammaBetaBackwardSimpleCUDAKernelIddLb0EEEvllPKT_S5_PKT0_S8_PS3_S9_
; %bb.0:
	s_load_dword s0, s[4:5], 0x4c
	v_mov_b32_e32 v1, 0
	s_load_dwordx16 s[8:23], s[4:5], 0x0
	v_mov_b32_e32 v2, s6
	s_waitcnt lgkmcnt(0)
	s_and_b32 s0, s0, 0xffff
	v_mad_u64_u32 v[0:1], s[0:1], s0, v2, v[0:1]
	v_cmp_gt_i64_e32 vcc, s[10:11], v[0:1]
	s_and_saveexec_b64 s[0:1], vcc
	s_cbranch_execz .LBB26_14
; %bb.1:
	v_cmp_lt_i64_e64 s[0:1], s[8:9], 1
	v_lshlrev_b64 v[0:1], 3, v[0:1]
	s_and_b64 vcc, exec, s[0:1]
	s_cbranch_vccnz .LBB26_9
; %bb.2:
	s_cmp_lg_u64 s[20:21], 0
	s_cselect_b64 s[0:1], -1, 0
	s_cmp_lg_u64 s[22:23], 0
	s_cselect_b64 s[2:3], -1, 0
	v_cndmask_b32_e64 v4, 0, 1, s[0:1]
	v_cmp_ne_u32_e64 s[0:1], 1, v4
	v_cndmask_b32_e64 v4, 0, 1, s[2:3]
	s_lshl_b64 s[4:5], s[10:11], 3
	v_mov_b32_e32 v2, 0
	v_cmp_ne_u32_e64 s[2:3], 1, v4
	v_mov_b32_e32 v4, 0
	v_mov_b32_e32 v7, v1
	;; [unrolled: 1-line block ×6, first 2 shown]
	s_branch .LBB26_5
.LBB26_3:                               ;   in Loop: Header=BB26_5 Depth=1
	v_mov_b32_e32 v11, s13
	v_add_co_u32_e32 v10, vcc, s12, v6
	v_addc_co_u32_e32 v11, vcc, v11, v7, vcc
	global_load_dwordx2 v[10:11], v[10:11], off
.LBB26_4:                               ;   in Loop: Header=BB26_5 Depth=1
	v_add_f64 v[2:3], v[2:3], v[8:9]
	s_waitcnt vmcnt(0)
	v_add_f64 v[4:5], v[4:5], v[10:11]
	s_add_u32 s8, s8, -1
	s_addc_u32 s9, s9, -1
	s_add_u32 s18, s18, 8
	s_addc_u32 s19, s19, 0
	s_add_u32 s16, s16, 8
	s_addc_u32 s17, s17, 0
	v_add_co_u32_e32 v6, vcc, s4, v6
	s_cmp_eq_u64 s[8:9], 0
	v_addc_co_u32_e32 v7, vcc, v7, v12, vcc
	s_cbranch_scc1 .LBB26_10
.LBB26_5:                               ; =>This Inner Loop Header: Depth=1
	v_mov_b32_e32 v8, 0
	s_and_b64 vcc, exec, s[0:1]
	v_mov_b32_e32 v9, 0
	s_cbranch_vccnz .LBB26_7
; %bb.6:                                ;   in Loop: Header=BB26_5 Depth=1
	v_mov_b32_e32 v9, s15
	v_add_co_u32_e32 v8, vcc, s14, v6
	v_addc_co_u32_e32 v9, vcc, v9, v7, vcc
	global_load_dwordx2 v[8:9], v[8:9], off
	v_mov_b32_e32 v11, s13
	v_add_co_u32_e32 v10, vcc, s12, v6
	v_addc_co_u32_e32 v11, vcc, v11, v7, vcc
	global_load_dwordx2 v[10:11], v[10:11], off
	s_load_dwordx2 s[6:7], s[16:17], 0x0
	s_waitcnt vmcnt(1) lgkmcnt(0)
	v_add_f64 v[8:9], v[8:9], -s[6:7]
	s_load_dwordx2 s[6:7], s[18:19], 0x0
	s_waitcnt vmcnt(0)
	v_mul_f64 v[8:9], v[10:11], v[8:9]
	s_waitcnt lgkmcnt(0)
	v_mul_f64 v[8:9], s[6:7], v[8:9]
.LBB26_7:                               ;   in Loop: Header=BB26_5 Depth=1
	s_and_b64 vcc, exec, s[2:3]
	s_cbranch_vccz .LBB26_3
; %bb.8:                                ;   in Loop: Header=BB26_5 Depth=1
	v_mov_b32_e32 v10, 0
	v_mov_b32_e32 v11, 0
	s_branch .LBB26_4
.LBB26_9:
	v_mov_b32_e32 v2, 0
	v_mov_b32_e32 v4, 0
	;; [unrolled: 1-line block ×4, first 2 shown]
.LBB26_10:
	s_cmp_lg_u64 s[20:21], 0
	s_cbranch_scc0 .LBB26_12
; %bb.11:
	v_mov_b32_e32 v7, s21
	v_add_co_u32_e32 v6, vcc, s20, v0
	v_addc_co_u32_e32 v7, vcc, v7, v1, vcc
	global_store_dwordx2 v[6:7], v[2:3], off
.LBB26_12:
	s_cmp_eq_u64 s[22:23], 0
	s_cbranch_scc1 .LBB26_14
; %bb.13:
	v_mov_b32_e32 v2, s23
	v_add_co_u32_e32 v0, vcc, s22, v0
	v_addc_co_u32_e32 v1, vcc, v2, v1, vcc
	global_store_dwordx2 v[0:1], v[4:5], off
.LBB26_14:
	s_endpgm
	.section	.rodata,"a",@progbits
	.p2align	6, 0x0
	.amdhsa_kernel _ZN2at6native12_GLOBAL__N_133GammaBetaBackwardSimpleCUDAKernelIddLb0EEEvllPKT_S5_PKT0_S8_PS3_S9_
		.amdhsa_group_segment_fixed_size 0
		.amdhsa_private_segment_fixed_size 0
		.amdhsa_kernarg_size 320
		.amdhsa_user_sgpr_count 6
		.amdhsa_user_sgpr_private_segment_buffer 1
		.amdhsa_user_sgpr_dispatch_ptr 0
		.amdhsa_user_sgpr_queue_ptr 0
		.amdhsa_user_sgpr_kernarg_segment_ptr 1
		.amdhsa_user_sgpr_dispatch_id 0
		.amdhsa_user_sgpr_flat_scratch_init 0
		.amdhsa_user_sgpr_private_segment_size 0
		.amdhsa_uses_dynamic_stack 0
		.amdhsa_system_sgpr_private_segment_wavefront_offset 0
		.amdhsa_system_sgpr_workgroup_id_x 1
		.amdhsa_system_sgpr_workgroup_id_y 0
		.amdhsa_system_sgpr_workgroup_id_z 0
		.amdhsa_system_sgpr_workgroup_info 0
		.amdhsa_system_vgpr_workitem_id 0
		.amdhsa_next_free_vgpr 13
		.amdhsa_next_free_sgpr 24
		.amdhsa_reserve_vcc 1
		.amdhsa_reserve_flat_scratch 0
		.amdhsa_float_round_mode_32 0
		.amdhsa_float_round_mode_16_64 0
		.amdhsa_float_denorm_mode_32 3
		.amdhsa_float_denorm_mode_16_64 3
		.amdhsa_dx10_clamp 1
		.amdhsa_ieee_mode 1
		.amdhsa_fp16_overflow 0
		.amdhsa_exception_fp_ieee_invalid_op 0
		.amdhsa_exception_fp_denorm_src 0
		.amdhsa_exception_fp_ieee_div_zero 0
		.amdhsa_exception_fp_ieee_overflow 0
		.amdhsa_exception_fp_ieee_underflow 0
		.amdhsa_exception_fp_ieee_inexact 0
		.amdhsa_exception_int_div_zero 0
	.end_amdhsa_kernel
	.section	.text._ZN2at6native12_GLOBAL__N_133GammaBetaBackwardSimpleCUDAKernelIddLb0EEEvllPKT_S5_PKT0_S8_PS3_S9_,"axG",@progbits,_ZN2at6native12_GLOBAL__N_133GammaBetaBackwardSimpleCUDAKernelIddLb0EEEvllPKT_S5_PKT0_S8_PS3_S9_,comdat
.Lfunc_end26:
	.size	_ZN2at6native12_GLOBAL__N_133GammaBetaBackwardSimpleCUDAKernelIddLb0EEEvllPKT_S5_PKT0_S8_PS3_S9_, .Lfunc_end26-_ZN2at6native12_GLOBAL__N_133GammaBetaBackwardSimpleCUDAKernelIddLb0EEEvllPKT_S5_PKT0_S8_PS3_S9_
                                        ; -- End function
	.set _ZN2at6native12_GLOBAL__N_133GammaBetaBackwardSimpleCUDAKernelIddLb0EEEvllPKT_S5_PKT0_S8_PS3_S9_.num_vgpr, 13
	.set _ZN2at6native12_GLOBAL__N_133GammaBetaBackwardSimpleCUDAKernelIddLb0EEEvllPKT_S5_PKT0_S8_PS3_S9_.num_agpr, 0
	.set _ZN2at6native12_GLOBAL__N_133GammaBetaBackwardSimpleCUDAKernelIddLb0EEEvllPKT_S5_PKT0_S8_PS3_S9_.numbered_sgpr, 24
	.set _ZN2at6native12_GLOBAL__N_133GammaBetaBackwardSimpleCUDAKernelIddLb0EEEvllPKT_S5_PKT0_S8_PS3_S9_.num_named_barrier, 0
	.set _ZN2at6native12_GLOBAL__N_133GammaBetaBackwardSimpleCUDAKernelIddLb0EEEvllPKT_S5_PKT0_S8_PS3_S9_.private_seg_size, 0
	.set _ZN2at6native12_GLOBAL__N_133GammaBetaBackwardSimpleCUDAKernelIddLb0EEEvllPKT_S5_PKT0_S8_PS3_S9_.uses_vcc, 1
	.set _ZN2at6native12_GLOBAL__N_133GammaBetaBackwardSimpleCUDAKernelIddLb0EEEvllPKT_S5_PKT0_S8_PS3_S9_.uses_flat_scratch, 0
	.set _ZN2at6native12_GLOBAL__N_133GammaBetaBackwardSimpleCUDAKernelIddLb0EEEvllPKT_S5_PKT0_S8_PS3_S9_.has_dyn_sized_stack, 0
	.set _ZN2at6native12_GLOBAL__N_133GammaBetaBackwardSimpleCUDAKernelIddLb0EEEvllPKT_S5_PKT0_S8_PS3_S9_.has_recursion, 0
	.set _ZN2at6native12_GLOBAL__N_133GammaBetaBackwardSimpleCUDAKernelIddLb0EEEvllPKT_S5_PKT0_S8_PS3_S9_.has_indirect_call, 0
	.section	.AMDGPU.csdata,"",@progbits
; Kernel info:
; codeLenInByte = 448
; TotalNumSgprs: 28
; NumVgprs: 13
; ScratchSize: 0
; MemoryBound: 1
; FloatMode: 240
; IeeeMode: 1
; LDSByteSize: 0 bytes/workgroup (compile time only)
; SGPRBlocks: 3
; VGPRBlocks: 3
; NumSGPRsForWavesPerEU: 28
; NumVGPRsForWavesPerEU: 13
; Occupancy: 10
; WaveLimiterHint : 0
; COMPUTE_PGM_RSRC2:SCRATCH_EN: 0
; COMPUTE_PGM_RSRC2:USER_SGPR: 6
; COMPUTE_PGM_RSRC2:TRAP_HANDLER: 0
; COMPUTE_PGM_RSRC2:TGID_X_EN: 1
; COMPUTE_PGM_RSRC2:TGID_Y_EN: 0
; COMPUTE_PGM_RSRC2:TGID_Z_EN: 0
; COMPUTE_PGM_RSRC2:TIDIG_COMP_CNT: 0
	.section	.text._ZN2at6native12_GLOBAL__N_135GammaBetaBackwardCUDAKernelTemplateIddLj64ELj1ELj32ELb1ELb1ELb0EEEvllPKT_S5_PKT0_S8_PS3_S9_,"axG",@progbits,_ZN2at6native12_GLOBAL__N_135GammaBetaBackwardCUDAKernelTemplateIddLj64ELj1ELj32ELb1ELb1ELb0EEEvllPKT_S5_PKT0_S8_PS3_S9_,comdat
	.globl	_ZN2at6native12_GLOBAL__N_135GammaBetaBackwardCUDAKernelTemplateIddLj64ELj1ELj32ELb1ELb1ELb0EEEvllPKT_S5_PKT0_S8_PS3_S9_ ; -- Begin function _ZN2at6native12_GLOBAL__N_135GammaBetaBackwardCUDAKernelTemplateIddLj64ELj1ELj32ELb1ELb1ELb0EEEvllPKT_S5_PKT0_S8_PS3_S9_
	.p2align	8
	.type	_ZN2at6native12_GLOBAL__N_135GammaBetaBackwardCUDAKernelTemplateIddLj64ELj1ELj32ELb1ELb1ELb0EEEvllPKT_S5_PKT0_S8_PS3_S9_,@function
_ZN2at6native12_GLOBAL__N_135GammaBetaBackwardCUDAKernelTemplateIddLj64ELj1ELj32ELb1ELb1ELb0EEEvllPKT_S5_PKT0_S8_PS3_S9_: ; @_ZN2at6native12_GLOBAL__N_135GammaBetaBackwardCUDAKernelTemplateIddLj64ELj1ELj32ELb1ELb1ELb0EEEvllPKT_S5_PKT0_S8_PS3_S9_
; %bb.0:
	s_load_dwordx4 s[16:19], s[4:5], 0x0
	s_lshl_b32 s24, s7, 5
	s_mov_b32 s25, 0
	v_mov_b32_e32 v2, s24
	v_mov_b32_e32 v3, s25
	s_waitcnt lgkmcnt(0)
	v_cmp_gt_i64_e32 vcc, s[16:17], v[2:3]
	s_mov_b32 s2, s7
	s_cbranch_vccnz .LBB27_2
; %bb.1:
	s_add_u32 s26, s4, 64
	s_addc_u32 s27, s5, 0
	s_mov_b64 s[0:1], 0
	s_branch .LBB27_3
.LBB27_2:
	s_mov_b64 s[0:1], -1
                                        ; implicit-def: $sgpr26_sgpr27
.LBB27_3:
	s_load_dwordx4 s[20:23], s[4:5], 0x30
	v_mov_b32_e32 v10, 0
	v_mov_b32_e32 v16, 0
	v_mov_b32_e32 v11, 0
	s_andn2_b64 vcc, exec, s[0:1]
	v_mov_b32_e32 v17, 0
	s_cbranch_vccnz .LBB27_10
; %bb.4:
	v_lshlrev_b32_e32 v4, 5, v1
	v_mbcnt_lo_u32_b32 v5, -1, 0
	s_add_u32 s26, s4, 64
	v_mbcnt_hi_u32_b32 v5, -1, v5
	v_add_co_u32_e32 v7, vcc, s24, v4
	s_load_dword s0, s[4:5], 0x4c
	s_load_dword s3, s[4:5], 0x44
	s_load_dwordx8 s[8:15], s[4:5], 0x10
	s_addc_u32 s27, s5, 0
	v_lshlrev_b32_e32 v5, 2, v5
	v_addc_co_u32_e64 v8, s[4:5], 0, 0, vcc
	v_and_b32_e32 v30, 0x100, v5
	v_mul_lo_u32 v9, s19, v7
	v_mul_lo_u32 v10, s18, v8
	v_mad_u64_u32 v[4:5], s[4:5], s18, v7, 0
	s_waitcnt lgkmcnt(0)
	s_and_b32 s0, s0, 0xffff
	v_mad_u32_u24 v2, v1, s0, v0
	v_and_b32_e32 v6, 63, v2
	v_mov_b32_e32 v3, 0
	v_lshl_or_b32 v2, s6, 6, v0
	v_add3_u32 v5, v5, v10, v9
	v_lshlrev_b64 v[4:5], 3, v[4:5]
	v_lshlrev_b64 v[2:3], 3, v[2:3]
	s_lshl_b32 s28, s3, 5
	v_add_co_u32_e32 v39, vcc, v4, v2
	v_addc_co_u32_e32 v40, vcc, v5, v3, vcc
	v_add_co_u32_e32 v2, vcc, v7, v6
	v_addc_co_u32_e32 v3, vcc, 0, v8, vcc
	s_mul_i32 s3, s19, s28
	s_mul_hi_u32 s4, s18, s28
	s_mov_b32 s29, 0
	s_add_i32 s5, s4, s3
	s_mul_i32 s4, s18, s28
	v_lshlrev_b64 v[4:5], 3, v[2:3]
	v_mov_b32_e32 v16, 0
	v_mov_b32_e32 v10, 0
	v_cmp_gt_u32_e64 s[0:1], 32, v6
	v_or_b32_e32 v31, 4, v30
	v_or_b32_e32 v32, 8, v30
	v_or_b32_e32 v33, 12, v30
	v_or_b32_e32 v34, 16, v30
	v_or_b32_e32 v35, 20, v30
	v_or_b32_e32 v36, 24, v30
	v_or_b32_e32 v37, 28, v30
	v_or_b32_e32 v38, 32, v30
	v_or_b32_e32 v41, 36, v30
	v_or_b32_e32 v42, 40, v30
	v_or_b32_e32 v43, 44, v30
	v_or_b32_e32 v44, 48, v30
	s_lshl_b64 s[30:31], s[28:29], 3
	s_lshl_b64 s[34:35], s[4:5], 3
	;; [unrolled: 1-line block ×3, first 2 shown]
	v_or_b32_e32 v45, 52, v30
	v_or_b32_e32 v46, 56, v30
	;; [unrolled: 1-line block ×18, first 2 shown]
	v_mov_b32_e32 v17, 0
	v_mov_b32_e32 v11, 0
	v_or_b32_e32 v63, 0x7c, v30
	s_branch .LBB27_7
.LBB27_5:                               ;   in Loop: Header=BB27_7 Depth=1
	s_or_b64 exec, exec, s[38:39]
.LBB27_6:                               ;   in Loop: Header=BB27_7 Depth=1
	s_or_b64 exec, exec, s[4:5]
	v_mov_b32_e32 v12, s11
	v_add_co_u32_e32 v14, vcc, s10, v39
	v_addc_co_u32_e32 v15, vcc, v12, v40, vcc
	global_load_dwordx2 v[26:27], v[14:15], off
	v_mov_b32_e32 v12, s9
	v_add_co_u32_e32 v18, vcc, s8, v39
	v_addc_co_u32_e32 v19, vcc, v12, v40, vcc
	v_mov_b32_e32 v64, s37
	v_add_co_u32_e32 v20, vcc, s36, v14
	v_addc_co_u32_e32 v21, vcc, v15, v64, vcc
	global_load_dwordx2 v[12:13], v[18:19], off
	global_load_dwordx2 v[28:29], v[20:21], off
	v_add_co_u32_e32 v18, vcc, s36, v18
	v_addc_co_u32_e32 v19, vcc, v19, v64, vcc
	v_add_co_u32_e32 v20, vcc, s36, v20
	v_addc_co_u32_e32 v21, vcc, v21, v64, vcc
	global_load_dwordx2 v[14:15], v[18:19], off
	global_load_dwordx2 v[65:66], v[20:21], off
	v_add_co_u32_e32 v22, vcc, s36, v18
	v_addc_co_u32_e32 v23, vcc, v19, v64, vcc
	v_add_co_u32_e32 v20, vcc, s36, v20
	v_addc_co_u32_e32 v21, vcc, v21, v64, vcc
	global_load_dwordx2 v[18:19], v[22:23], off
	global_load_dwordx2 v[67:68], v[20:21], off
	v_add_co_u32_e32 v22, vcc, s36, v22
	v_addc_co_u32_e32 v23, vcc, v23, v64, vcc
	v_add_co_u32_e32 v24, vcc, s36, v20
	v_addc_co_u32_e32 v25, vcc, v21, v64, vcc
	global_load_dwordx2 v[69:70], v[24:25], off
	global_load_dwordx2 v[20:21], v[22:23], off
	v_add_co_u32_e32 v71, vcc, s36, v22
	v_addc_co_u32_e32 v72, vcc, v23, v64, vcc
	v_add_co_u32_e32 v73, vcc, s36, v24
	v_addc_co_u32_e32 v74, vcc, v25, v64, vcc
	global_load_dwordx2 v[75:76], v[73:74], off
	global_load_dwordx2 v[22:23], v[71:72], off
	s_waitcnt vmcnt(12)
	ds_bpermute_b32 v77, v30, v8
	ds_bpermute_b32 v78, v30, v9
	;; [unrolled: 1-line block ×4, first 2 shown]
	s_waitcnt vmcnt(11)
	ds_bpermute_b32 v81, v30, v6
	ds_bpermute_b32 v82, v30, v7
	;; [unrolled: 1-line block ×8, first 2 shown]
	v_add_co_u32_e32 v71, vcc, s36, v71
	v_addc_co_u32_e32 v72, vcc, v72, v64, vcc
	ds_bpermute_b32 v89, v34, v8
	ds_bpermute_b32 v90, v34, v9
	global_load_dwordx2 v[24:25], v[71:72], off
	ds_bpermute_b32 v91, v33, v6
	ds_bpermute_b32 v92, v33, v7
	;; [unrolled: 1-line block ×10, first 2 shown]
	s_waitcnt vmcnt(11) lgkmcnt(14)
	v_add_f64 v[26:27], v[26:27], -v[77:78]
	ds_bpermute_b32 v77, v32, v6
	ds_bpermute_b32 v78, v32, v7
	s_add_u32 s24, s24, s28
	s_addc_u32 s25, s25, 0
	v_add_co_u32_e64 v39, s[4:5], s34, v39
	s_waitcnt vmcnt(10)
	v_mul_f64 v[26:27], v[12:13], v[26:27]
	s_waitcnt vmcnt(9)
	v_add_f64 v[28:29], v[28:29], -v[79:80]
	ds_bpermute_b32 v79, v34, v6
	ds_bpermute_b32 v80, v34, v7
	v_add_f64 v[10:11], v[10:11], v[12:13]
	v_fma_f64 v[16:17], v[26:27], v[81:82], v[16:17]
	v_add_co_u32_e32 v26, vcc, s36, v71
	s_waitcnt vmcnt(7)
	v_add_f64 v[65:66], v[65:66], -v[85:86]
	v_mul_f64 v[28:29], v[14:15], v[28:29]
	v_addc_co_u32_e32 v27, vcc, v72, v64, vcc
	v_add_co_u32_e32 v71, vcc, s36, v73
	v_addc_co_u32_e32 v72, vcc, v74, v64, vcc
	v_add_f64 v[10:11], v[10:11], v[14:15]
	s_waitcnt vmcnt(6)
	v_mul_f64 v[65:66], v[18:19], v[65:66]
	s_waitcnt vmcnt(5) lgkmcnt(14)
	v_add_f64 v[67:68], v[67:68], -v[87:88]
	v_fma_f64 v[28:29], v[28:29], v[83:84], v[16:17]
	global_load_dwordx2 v[73:74], v[71:72], off
	global_load_dwordx2 v[16:17], v[26:27], off
	v_add_f64 v[10:11], v[10:11], v[18:19]
	s_waitcnt vmcnt(6)
	v_add_f64 v[69:70], v[69:70], -v[89:90]
	s_waitcnt vmcnt(5)
	v_mul_f64 v[67:68], v[20:21], v[67:68]
	s_waitcnt lgkmcnt(2)
	v_fma_f64 v[28:29], v[65:66], v[77:78], v[28:29]
	v_add_co_u32_e32 v65, vcc, s36, v71
	v_addc_co_u32_e32 v66, vcc, v72, v64, vcc
	v_add_co_u32_e32 v71, vcc, s36, v26
	v_addc_co_u32_e32 v72, vcc, v27, v64, vcc
	s_waitcnt vmcnt(3)
	v_mul_f64 v[69:70], v[22:23], v[69:70]
	v_fma_f64 v[28:29], v[67:68], v[91:92], v[28:29]
	global_load_dwordx2 v[67:68], v[65:66], off
	global_load_dwordx2 v[26:27], v[71:72], off
	v_add_co_u32_e32 v71, vcc, s36, v71
	v_addc_co_u32_e32 v72, vcc, v72, v64, vcc
	v_add_co_u32_e32 v65, vcc, s36, v65
	v_addc_co_u32_e32 v66, vcc, v66, v64, vcc
	s_waitcnt lgkmcnt(0)
	v_fma_f64 v[69:70], v[69:70], v[79:80], v[28:29]
	global_load_dwordx2 v[77:78], v[65:66], off
	global_load_dwordx2 v[28:29], v[71:72], off
	v_add_co_u32_e32 v65, vcc, s36, v65
	v_addc_co_u32_e32 v66, vcc, v66, v64, vcc
	global_load_dwordx2 v[79:80], v[65:66], off
	v_add_co_u32_e32 v71, vcc, s36, v71
	v_addc_co_u32_e32 v72, vcc, v72, v64, vcc
	v_add_co_u32_e32 v65, vcc, s36, v65
	v_addc_co_u32_e32 v66, vcc, v66, v64, vcc
	global_load_dwordx2 v[81:82], v[71:72], off
	global_load_dwordx2 v[83:84], v[65:66], off
	v_add_co_u32_e32 v71, vcc, s36, v71
	v_addc_co_u32_e32 v72, vcc, v72, v64, vcc
	v_add_co_u32_e32 v65, vcc, s36, v65
	v_addc_co_u32_e32 v66, vcc, v66, v64, vcc
	global_load_dwordx2 v[85:86], v[71:72], off
	;; [unrolled: 6-line block ×3, first 2 shown]
	global_load_dwordx2 v[91:92], v[65:66], off
	v_add_co_u32_e32 v71, vcc, s36, v71
	v_addc_co_u32_e32 v72, vcc, v72, v64, vcc
	v_add_f64 v[75:76], v[75:76], -v[93:94]
	global_load_dwordx2 v[93:94], v[71:72], off
	v_add_co_u32_e32 v65, vcc, s36, v65
	v_addc_co_u32_e32 v66, vcc, v66, v64, vcc
	global_load_dwordx2 v[97:98], v[65:66], off
	v_add_co_u32_e32 v71, vcc, s36, v71
	v_addc_co_u32_e32 v72, vcc, v72, v64, vcc
	v_add_co_u32_e32 v65, vcc, s36, v65
	v_addc_co_u32_e32 v66, vcc, v66, v64, vcc
	global_load_dwordx2 v[101:102], v[65:66], off
	s_waitcnt vmcnt(16)
	v_mul_f64 v[75:76], v[24:25], v[75:76]
	s_waitcnt vmcnt(15)
	v_add_f64 v[73:74], v[73:74], -v[95:96]
	global_load_dwordx2 v[99:100], v[71:72], off
	v_add_co_u32_e32 v71, vcc, s36, v71
	v_addc_co_u32_e32 v72, vcc, v72, v64, vcc
	global_load_dwordx2 v[95:96], v[71:72], off
	v_fma_f64 v[69:70], v[75:76], v[103:104], v[69:70]
	s_waitcnt vmcnt(16)
	v_mul_f64 v[73:74], v[16:17], v[73:74]
	ds_bpermute_b32 v75, v36, v6
	ds_bpermute_b32 v76, v36, v7
	;; [unrolled: 1-line block ×3, first 2 shown]
	s_waitcnt vmcnt(15)
	v_add_f64 v[67:68], v[67:68], -v[105:106]
	ds_bpermute_b32 v104, v38, v9
	v_add_co_u32_e32 v65, vcc, s36, v65
	s_waitcnt lgkmcnt(2)
	v_fma_f64 v[69:70], v[73:74], v[75:76], v[69:70]
	ds_bpermute_b32 v75, v37, v6
	ds_bpermute_b32 v76, v37, v7
	v_addc_co_u32_e32 v66, vcc, v66, v64, vcc
	s_waitcnt vmcnt(14)
	v_mul_f64 v[67:68], v[26:27], v[67:68]
	s_waitcnt vmcnt(13) lgkmcnt(2)
	v_add_f64 v[73:74], v[77:78], -v[103:104]
	ds_bpermute_b32 v77, v41, v8
	ds_bpermute_b32 v78, v41, v9
	v_add_co_u32_e32 v71, vcc, s36, v71
	v_addc_co_u32_e32 v72, vcc, v72, v64, vcc
	s_waitcnt lgkmcnt(2)
	v_fma_f64 v[67:68], v[67:68], v[75:76], v[69:70]
	s_waitcnt vmcnt(12)
	v_mul_f64 v[69:70], v[28:29], v[73:74]
	s_waitcnt vmcnt(11) lgkmcnt(0)
	v_add_f64 v[73:74], v[79:80], -v[77:78]
	ds_bpermute_b32 v75, v38, v6
	ds_bpermute_b32 v76, v38, v7
	;; [unrolled: 1-line block ×4, first 2 shown]
	global_load_dwordx2 v[79:80], v[71:72], off
	v_add_f64 v[10:11], v[10:11], v[20:21]
	s_waitcnt lgkmcnt(2)
	v_fma_f64 v[67:68], v[69:70], v[75:76], v[67:68]
	s_waitcnt vmcnt(11)
	v_mul_f64 v[69:70], v[81:82], v[73:74]
	s_waitcnt vmcnt(10) lgkmcnt(0)
	v_add_f64 v[73:74], v[83:84], -v[77:78]
	ds_bpermute_b32 v75, v41, v6
	ds_bpermute_b32 v76, v41, v7
	ds_bpermute_b32 v77, v43, v8
	ds_bpermute_b32 v78, v43, v9
	v_add_f64 v[10:11], v[10:11], v[22:23]
	s_waitcnt lgkmcnt(2)
	v_fma_f64 v[67:68], v[69:70], v[75:76], v[67:68]
	s_waitcnt vmcnt(9)
	v_mul_f64 v[69:70], v[85:86], v[73:74]
	s_waitcnt vmcnt(8) lgkmcnt(0)
	v_add_f64 v[73:74], v[87:88], -v[77:78]
	ds_bpermute_b32 v75, v42, v6
	ds_bpermute_b32 v76, v42, v7
	ds_bpermute_b32 v77, v44, v8
	ds_bpermute_b32 v78, v44, v9
	;; [unrolled: 11-line block ×3, first 2 shown]
	v_add_f64 v[10:11], v[10:11], v[16:17]
	ds_bpermute_b32 v16, v50, v8
	s_waitcnt lgkmcnt(3)
	v_fma_f64 v[67:68], v[69:70], v[75:76], v[67:68]
	s_waitcnt vmcnt(5)
	v_mul_f64 v[69:70], v[93:94], v[73:74]
	ds_bpermute_b32 v75, v44, v6
	ds_bpermute_b32 v76, v44, v7
	s_waitcnt vmcnt(4) lgkmcnt(3)
	v_add_f64 v[73:74], v[97:98], -v[77:78]
	ds_bpermute_b32 v77, v46, v8
	ds_bpermute_b32 v78, v46, v9
	;; [unrolled: 1-line block ×3, first 2 shown]
	v_add_f64 v[10:11], v[10:11], v[26:27]
	s_waitcnt lgkmcnt(3)
	v_fma_f64 v[67:68], v[69:70], v[75:76], v[67:68]
	s_waitcnt vmcnt(3) lgkmcnt(1)
	v_add_f64 v[75:76], v[101:102], -v[77:78]
	global_load_dwordx2 v[77:78], v[65:66], off
	v_add_co_u32_e32 v65, vcc, s36, v65
	v_addc_co_u32_e32 v66, vcc, v66, v64, vcc
	global_load_dwordx2 v[83:84], v[65:66], off
	v_add_co_u32_e32 v71, vcc, s36, v71
	v_addc_co_u32_e32 v72, vcc, v72, v64, vcc
	;; [unrolled: 3-line block ×3, first 2 shown]
	v_add_co_u32_e32 v65, vcc, s36, v65
	v_addc_co_u32_e32 v66, vcc, v66, v64, vcc
	global_load_dwordx2 v[91:92], v[65:66], off
	global_load_dwordx2 v[97:98], v[71:72], off
	v_add_co_u32_e32 v71, vcc, s36, v71
	v_addc_co_u32_e32 v72, vcc, v72, v64, vcc
	v_add_co_u32_e32 v65, vcc, s36, v65
	v_addc_co_u32_e32 v66, vcc, v66, v64, vcc
	global_load_dwordx2 v[101:102], v[65:66], off
	global_load_dwordx2 v[103:104], v[71:72], off
	v_add_co_u32_e32 v71, vcc, s36, v71
	v_addc_co_u32_e32 v72, vcc, v72, v64, vcc
	;; [unrolled: 6-line block ×3, first 2 shown]
	global_load_dwordx2 v[109:110], v[65:66], off
	v_add_co_u32_e32 v71, vcc, s36, v71
	v_addc_co_u32_e32 v72, vcc, v72, v64, vcc
	v_add_co_u32_e32 v12, vcc, s36, v65
	v_addc_co_u32_e32 v13, vcc, v66, v64, vcc
	global_load_dwordx2 v[111:112], v[71:72], off
	global_load_dwordx2 v[65:66], v[12:13], off
	s_waitcnt vmcnt(14)
	v_mul_f64 v[69:70], v[99:100], v[73:74]
	v_add_co_u32_e32 v71, vcc, s36, v71
	v_addc_co_u32_e32 v72, vcc, v72, v64, vcc
	ds_bpermute_b32 v73, v45, v6
	ds_bpermute_b32 v74, v45, v7
	v_add_co_u32_e32 v12, vcc, s36, v12
	v_addc_co_u32_e32 v13, vcc, v13, v64, vcc
	global_load_dwordx2 v[14:15], v[71:72], off
	global_load_dwordx2 v[113:114], v[12:13], off
	s_waitcnt lgkmcnt(0)
	v_fma_f64 v[67:68], v[69:70], v[73:74], v[67:68]
	s_waitcnt vmcnt(15)
	v_mul_f64 v[69:70], v[95:96], v[75:76]
	ds_bpermute_b32 v75, v47, v8
	ds_bpermute_b32 v76, v47, v9
	v_add_co_u32_e32 v71, vcc, s36, v71
	v_addc_co_u32_e32 v72, vcc, v72, v64, vcc
	ds_bpermute_b32 v73, v46, v6
	ds_bpermute_b32 v74, v46, v7
	v_add_co_u32_e32 v12, vcc, s36, v12
	v_addc_co_u32_e32 v13, vcc, v13, v64, vcc
	s_waitcnt vmcnt(13) lgkmcnt(2)
	v_add_f64 v[18:19], v[77:78], -v[75:76]
	global_load_dwordx2 v[75:76], v[71:72], off
	s_waitcnt lgkmcnt(0)
	v_fma_f64 v[20:21], v[69:70], v[73:74], v[67:68]
	ds_bpermute_b32 v67, v48, v8
	ds_bpermute_b32 v68, v48, v9
	;; [unrolled: 1-line block ×5, first 2 shown]
	v_mul_f64 v[18:19], v[79:80], v[18:19]
	s_waitcnt vmcnt(13) lgkmcnt(3)
	v_add_f64 v[22:23], v[83:84], -v[67:68]
	ds_bpermute_b32 v74, v49, v9
	global_load_dwordx2 v[67:68], v[12:13], off
	v_add_f64 v[10:11], v[10:11], v[28:29]
	s_waitcnt lgkmcnt(2)
	v_fma_f64 v[18:19], v[18:19], v[69:70], v[20:21]
	s_waitcnt vmcnt(13)
	v_mul_f64 v[20:21], v[87:88], v[22:23]
	s_waitcnt vmcnt(12) lgkmcnt(0)
	v_add_f64 v[24:25], v[91:92], -v[73:74]
	ds_bpermute_b32 v22, v48, v6
	ds_bpermute_b32 v23, v48, v7
	v_add_f64 v[10:11], v[10:11], v[81:82]
	s_waitcnt lgkmcnt(0)
	v_fma_f64 v[18:19], v[20:21], v[22:23], v[18:19]
	s_waitcnt vmcnt(11)
	v_mul_f64 v[20:21], v[97:98], v[24:25]
	s_waitcnt vmcnt(10)
	v_add_f64 v[16:17], v[101:102], -v[16:17]
	ds_bpermute_b32 v22, v49, v6
	ds_bpermute_b32 v23, v49, v7
	ds_bpermute_b32 v24, v51, v8
	ds_bpermute_b32 v25, v51, v9
	v_add_f64 v[10:11], v[10:11], v[85:86]
	s_waitcnt lgkmcnt(2)
	v_fma_f64 v[18:19], v[20:21], v[22:23], v[18:19]
	s_waitcnt vmcnt(9)
	v_mul_f64 v[16:17], v[103:104], v[16:17]
	s_waitcnt vmcnt(8) lgkmcnt(0)
	v_add_f64 v[20:21], v[105:106], -v[24:25]
	ds_bpermute_b32 v22, v50, v6
	ds_bpermute_b32 v23, v50, v7
	ds_bpermute_b32 v24, v52, v8
	ds_bpermute_b32 v25, v52, v9
	v_add_f64 v[10:11], v[10:11], v[89:90]
	s_waitcnt lgkmcnt(2)
	v_fma_f64 v[16:17], v[16:17], v[22:23], v[18:19]
	s_waitcnt vmcnt(7)
	v_mul_f64 v[18:19], v[107:108], v[20:21]
	s_waitcnt vmcnt(6) lgkmcnt(0)
	;; [unrolled: 11-line block ×4, first 2 shown]
	v_add_f64 v[22:23], v[113:114], -v[24:25]
	ds_bpermute_b32 v20, v53, v6
	ds_bpermute_b32 v21, v53, v7
	v_add_f64 v[10:11], v[10:11], v[95:96]
	s_waitcnt lgkmcnt(0)
	v_fma_f64 v[16:17], v[18:19], v[20:21], v[16:17]
	ds_bpermute_b32 v20, v54, v6
	ds_bpermute_b32 v21, v54, v7
	v_add_f64 v[10:11], v[10:11], v[79:80]
	s_waitcnt vmcnt(1)
	v_mul_f64 v[18:19], v[75:76], v[22:23]
	v_add_f64 v[10:11], v[10:11], v[87:88]
	s_waitcnt lgkmcnt(0)
	v_fma_f64 v[16:17], v[18:19], v[20:21], v[16:17]
	v_add_co_u32_e32 v20, vcc, s36, v71
	v_addc_co_u32_e32 v21, vcc, v72, v64, vcc
	global_load_dwordx2 v[22:23], v[20:21], off
	v_add_co_u32_e32 v20, vcc, s36, v20
	v_addc_co_u32_e32 v21, vcc, v21, v64, vcc
	v_add_co_u32_e32 v12, vcc, s36, v12
	v_addc_co_u32_e32 v13, vcc, v13, v64, vcc
	global_load_dwordx2 v[24:25], v[12:13], off
	global_load_dwordx2 v[26:27], v[20:21], off
	v_add_co_u32_e32 v12, vcc, s36, v12
	v_addc_co_u32_e32 v13, vcc, v13, v64, vcc
	global_load_dwordx2 v[28:29], v[12:13], off
	ds_bpermute_b32 v18, v55, v8
	ds_bpermute_b32 v19, v55, v9
	v_add_co_u32_e32 v20, vcc, s36, v20
	v_addc_co_u32_e32 v21, vcc, v21, v64, vcc
	v_add_co_u32_e32 v12, vcc, s36, v12
	s_waitcnt vmcnt(4) lgkmcnt(0)
	v_add_f64 v[18:19], v[67:68], -v[18:19]
	v_addc_co_u32_e32 v13, vcc, v13, v64, vcc
	global_load_dwordx2 v[65:66], v[20:21], off
	global_load_dwordx2 v[67:68], v[12:13], off
	v_add_co_u32_e32 v20, vcc, s36, v20
	v_addc_co_u32_e32 v21, vcc, v21, v64, vcc
	v_add_co_u32_e32 v12, vcc, s36, v12
	v_addc_co_u32_e32 v13, vcc, v13, v64, vcc
	global_load_dwordx2 v[69:70], v[20:21], off
	global_load_dwordx2 v[71:72], v[12:13], off
	v_add_co_u32_e32 v20, vcc, s36, v20
	v_addc_co_u32_e32 v21, vcc, v21, v64, vcc
	v_add_co_u32_e32 v12, vcc, s36, v12
	;; [unrolled: 6-line block ×3, first 2 shown]
	v_addc_co_u32_e32 v13, vcc, v13, v64, vcc
	v_add_f64 v[10:11], v[10:11], v[97:98]
	global_load_dwordx2 v[79:80], v[20:21], off
	global_load_dwordx2 v[81:82], v[12:13], off
	v_add_co_u32_e32 v20, vcc, s36, v20
	v_addc_co_u32_e32 v21, vcc, v21, v64, vcc
	v_add_co_u32_e32 v12, vcc, s36, v12
	v_add_f64 v[10:11], v[10:11], v[103:104]
	v_addc_co_u32_e32 v13, vcc, v13, v64, vcc
	global_load_dwordx2 v[83:84], v[20:21], off
	global_load_dwordx2 v[85:86], v[12:13], off
	v_add_co_u32_e32 v20, vcc, s36, v20
	v_addc_co_u32_e32 v21, vcc, v21, v64, vcc
	v_add_co_u32_e32 v12, vcc, s36, v12
	v_add_f64 v[10:11], v[10:11], v[107:108]
	v_addc_co_u32_e32 v13, vcc, v13, v64, vcc
	global_load_dwordx2 v[87:88], v[20:21], off
	global_load_dwordx2 v[89:90], v[12:13], off
	v_add_co_u32_e32 v20, vcc, s36, v20
	v_addc_co_u32_e32 v21, vcc, v21, v64, vcc
	v_add_f64 v[10:11], v[10:11], v[111:112]
	global_load_dwordx2 v[20:21], v[20:21], off
	ds_bpermute_b32 v12, v56, v8
	ds_bpermute_b32 v13, v56, v9
	v_add_co_u32_e32 v4, vcc, s30, v4
	v_add_f64 v[10:11], v[10:11], v[14:15]
	s_waitcnt vmcnt(16)
	v_mul_f64 v[14:15], v[22:23], v[18:19]
	s_waitcnt vmcnt(15) lgkmcnt(0)
	v_add_f64 v[12:13], v[24:25], -v[12:13]
	ds_bpermute_b32 v18, v55, v6
	ds_bpermute_b32 v19, v55, v7
	;; [unrolled: 1-line block ×4, first 2 shown]
	v_add_f64 v[10:11], v[10:11], v[75:76]
	s_waitcnt lgkmcnt(2)
	v_fma_f64 v[14:15], v[14:15], v[18:19], v[16:17]
	s_waitcnt vmcnt(14)
	v_mul_f64 v[12:13], v[26:27], v[12:13]
	s_waitcnt vmcnt(13) lgkmcnt(0)
	v_add_f64 v[18:19], v[28:29], -v[24:25]
	ds_bpermute_b32 v16, v56, v6
	ds_bpermute_b32 v17, v56, v7
	;; [unrolled: 1-line block ×4, first 2 shown]
	v_add_f64 v[10:11], v[10:11], v[22:23]
	ds_bpermute_b32 v22, v59, v8
	s_waitcnt lgkmcnt(3)
	v_fma_f64 v[12:13], v[12:13], v[16:17], v[14:15]
	s_waitcnt vmcnt(12)
	v_mul_f64 v[14:15], v[65:66], v[18:19]
	s_waitcnt vmcnt(11) lgkmcnt(1)
	v_add_f64 v[16:17], v[67:68], -v[24:25]
	ds_bpermute_b32 v18, v57, v6
	ds_bpermute_b32 v19, v57, v7
	;; [unrolled: 1-line block ×3, first 2 shown]
	v_add_f64 v[10:11], v[10:11], v[26:27]
	s_waitcnt lgkmcnt(1)
	v_fma_f64 v[12:13], v[14:15], v[18:19], v[12:13]
	s_waitcnt vmcnt(10)
	v_mul_f64 v[14:15], v[69:70], v[16:17]
	s_waitcnt vmcnt(9) lgkmcnt(0)
	v_add_f64 v[16:17], v[71:72], -v[22:23]
	ds_bpermute_b32 v18, v58, v6
	ds_bpermute_b32 v19, v58, v7
	v_add_f64 v[10:11], v[10:11], v[65:66]
	ds_bpermute_b32 v22, v60, v8
	ds_bpermute_b32 v23, v60, v9
	s_waitcnt lgkmcnt(2)
	v_fma_f64 v[12:13], v[14:15], v[18:19], v[12:13]
	s_waitcnt vmcnt(8)
	v_mul_f64 v[14:15], v[73:74], v[16:17]
	ds_bpermute_b32 v16, v59, v6
	s_waitcnt vmcnt(7) lgkmcnt(1)
	v_add_f64 v[18:19], v[77:78], -v[22:23]
	v_add_f64 v[10:11], v[10:11], v[69:70]
	ds_bpermute_b32 v17, v59, v7
	ds_bpermute_b32 v22, v61, v8
	;; [unrolled: 1-line block ×3, first 2 shown]
	s_waitcnt lgkmcnt(2)
	v_fma_f64 v[12:13], v[14:15], v[16:17], v[12:13]
	s_waitcnt vmcnt(6)
	v_mul_f64 v[14:15], v[79:80], v[18:19]
	v_add_f64 v[10:11], v[10:11], v[73:74]
	s_waitcnt vmcnt(5) lgkmcnt(0)
	v_add_f64 v[18:19], v[81:82], -v[22:23]
	ds_bpermute_b32 v16, v60, v6
	ds_bpermute_b32 v17, v60, v7
	;; [unrolled: 1-line block ×6, first 2 shown]
	s_waitcnt lgkmcnt(4)
	v_fma_f64 v[12:13], v[14:15], v[16:17], v[12:13]
	v_add_f64 v[10:11], v[10:11], v[79:80]
	s_waitcnt vmcnt(4)
	v_mul_f64 v[14:15], v[83:84], v[18:19]
	s_waitcnt vmcnt(3) lgkmcnt(2)
	v_add_f64 v[16:17], v[85:86], -v[22:23]
	ds_bpermute_b32 v18, v61, v6
	ds_bpermute_b32 v19, v61, v7
	v_add_f64 v[10:11], v[10:11], v[83:84]
	s_waitcnt lgkmcnt(0)
	v_fma_f64 v[12:13], v[14:15], v[18:19], v[12:13]
	s_waitcnt vmcnt(2)
	v_mul_f64 v[14:15], v[87:88], v[16:17]
	s_waitcnt vmcnt(1)
	v_add_f64 v[8:9], v[89:90], -v[8:9]
	ds_bpermute_b32 v16, v62, v6
	ds_bpermute_b32 v17, v62, v7
	ds_bpermute_b32 v6, v63, v6
	ds_bpermute_b32 v7, v63, v7
	v_add_f64 v[10:11], v[10:11], v[87:88]
	s_waitcnt lgkmcnt(2)
	v_fma_f64 v[12:13], v[14:15], v[16:17], v[12:13]
	s_waitcnt vmcnt(0)
	v_mul_f64 v[8:9], v[20:21], v[8:9]
	v_add_f64 v[10:11], v[10:11], v[20:21]
	s_waitcnt lgkmcnt(0)
	v_fma_f64 v[16:17], v[8:9], v[6:7], v[12:13]
	v_mov_b32_e32 v6, s31
	v_addc_co_u32_e32 v5, vcc, v5, v6, vcc
	v_add_co_u32_e32 v2, vcc, s28, v2
	v_mov_b32_e32 v6, s16
	v_addc_co_u32_e32 v3, vcc, 0, v3, vcc
	v_mov_b32_e32 v7, s17
	v_cmp_lt_i64_e32 vcc, s[24:25], v[6:7]
	v_mov_b32_e32 v8, s35
	v_addc_co_u32_e64 v40, s[4:5], v40, v8, s[4:5]
	s_cbranch_vccz .LBB27_10
.LBB27_7:                               ; =>This Inner Loop Header: Depth=1
	v_mov_b32_e32 v6, 0
	v_mov_b32_e32 v8, 0
	;; [unrolled: 1-line block ×4, first 2 shown]
	s_and_saveexec_b64 s[4:5], s[0:1]
	s_cbranch_execz .LBB27_6
; %bb.8:                                ;   in Loop: Header=BB27_7 Depth=1
	v_cmp_gt_i64_e32 vcc, s[16:17], v[2:3]
	v_mov_b32_e32 v8, 0
	v_mov_b32_e32 v6, 0
	;; [unrolled: 1-line block ×4, first 2 shown]
	s_and_saveexec_b64 s[38:39], vcc
	s_cbranch_execz .LBB27_5
; %bb.9:                                ;   in Loop: Header=BB27_7 Depth=1
	v_mov_b32_e32 v6, s15
	v_add_co_u32_e32 v12, vcc, s14, v4
	v_addc_co_u32_e32 v13, vcc, v6, v5, vcc
	v_mov_b32_e32 v6, s13
	v_add_co_u32_e32 v14, vcc, s12, v4
	v_addc_co_u32_e32 v15, vcc, v6, v5, vcc
	global_load_dwordx2 v[8:9], v[14:15], off
	global_load_dwordx2 v[6:7], v[12:13], off
	s_branch .LBB27_5
.LBB27_10:
	s_load_dword s0, s[26:27], 0xc
	v_mov_b32_e32 v2, 0
	v_mov_b32_e32 v3, s2
	s_mov_b32 s7, 0
	s_waitcnt lgkmcnt(0)
	s_lshr_b32 s0, s0, 16
	v_mad_u64_u32 v[2:3], s[0:1], s0, v3, v[1:2]
	s_lshl_b64 s[0:1], s[6:7], 6
	v_or_b32_e32 v0, s0, v0
	v_mul_lo_u32 v3, v3, s18
	v_mul_lo_u32 v4, v2, s19
	v_mov_b32_e32 v1, s1
	v_lshlrev_b64 v[0:1], 3, v[0:1]
	s_cmp_eq_u64 s[20:21], 0
	s_cbranch_scc1 .LBB27_12
; %bb.11:
	v_mad_u64_u32 v[5:6], s[0:1], v2, s18, 0
	v_mov_b32_e32 v7, s21
	v_add3_u32 v6, v6, v4, v3
	v_lshlrev_b64 v[5:6], 3, v[5:6]
	v_add_co_u32_e32 v5, vcc, s20, v5
	v_addc_co_u32_e32 v6, vcc, v7, v6, vcc
	v_add_co_u32_e32 v5, vcc, v5, v0
	v_addc_co_u32_e32 v6, vcc, v6, v1, vcc
	global_store_dwordx2 v[5:6], v[16:17], off
.LBB27_12:
	s_cmp_eq_u64 s[22:23], 0
	s_cbranch_scc1 .LBB27_14
; %bb.13:
	v_mad_u64_u32 v[5:6], s[0:1], v2, s18, 0
	v_mov_b32_e32 v7, s23
	v_add3_u32 v6, v6, v4, v3
	v_lshlrev_b64 v[2:3], 3, v[5:6]
	v_add_co_u32_e32 v2, vcc, s22, v2
	v_addc_co_u32_e32 v3, vcc, v7, v3, vcc
	v_add_co_u32_e32 v0, vcc, v2, v0
	v_addc_co_u32_e32 v1, vcc, v3, v1, vcc
	global_store_dwordx2 v[0:1], v[10:11], off
.LBB27_14:
	s_endpgm
	.section	.rodata,"a",@progbits
	.p2align	6, 0x0
	.amdhsa_kernel _ZN2at6native12_GLOBAL__N_135GammaBetaBackwardCUDAKernelTemplateIddLj64ELj1ELj32ELb1ELb1ELb0EEEvllPKT_S5_PKT0_S8_PS3_S9_
		.amdhsa_group_segment_fixed_size 0
		.amdhsa_private_segment_fixed_size 0
		.amdhsa_kernarg_size 320
		.amdhsa_user_sgpr_count 6
		.amdhsa_user_sgpr_private_segment_buffer 1
		.amdhsa_user_sgpr_dispatch_ptr 0
		.amdhsa_user_sgpr_queue_ptr 0
		.amdhsa_user_sgpr_kernarg_segment_ptr 1
		.amdhsa_user_sgpr_dispatch_id 0
		.amdhsa_user_sgpr_flat_scratch_init 0
		.amdhsa_user_sgpr_private_segment_size 0
		.amdhsa_uses_dynamic_stack 0
		.amdhsa_system_sgpr_private_segment_wavefront_offset 0
		.amdhsa_system_sgpr_workgroup_id_x 1
		.amdhsa_system_sgpr_workgroup_id_y 1
		.amdhsa_system_sgpr_workgroup_id_z 0
		.amdhsa_system_sgpr_workgroup_info 0
		.amdhsa_system_vgpr_workitem_id 1
		.amdhsa_next_free_vgpr 115
		.amdhsa_next_free_sgpr 40
		.amdhsa_reserve_vcc 1
		.amdhsa_reserve_flat_scratch 0
		.amdhsa_float_round_mode_32 0
		.amdhsa_float_round_mode_16_64 0
		.amdhsa_float_denorm_mode_32 3
		.amdhsa_float_denorm_mode_16_64 3
		.amdhsa_dx10_clamp 1
		.amdhsa_ieee_mode 1
		.amdhsa_fp16_overflow 0
		.amdhsa_exception_fp_ieee_invalid_op 0
		.amdhsa_exception_fp_denorm_src 0
		.amdhsa_exception_fp_ieee_div_zero 0
		.amdhsa_exception_fp_ieee_overflow 0
		.amdhsa_exception_fp_ieee_underflow 0
		.amdhsa_exception_fp_ieee_inexact 0
		.amdhsa_exception_int_div_zero 0
	.end_amdhsa_kernel
	.section	.text._ZN2at6native12_GLOBAL__N_135GammaBetaBackwardCUDAKernelTemplateIddLj64ELj1ELj32ELb1ELb1ELb0EEEvllPKT_S5_PKT0_S8_PS3_S9_,"axG",@progbits,_ZN2at6native12_GLOBAL__N_135GammaBetaBackwardCUDAKernelTemplateIddLj64ELj1ELj32ELb1ELb1ELb0EEEvllPKT_S5_PKT0_S8_PS3_S9_,comdat
.Lfunc_end27:
	.size	_ZN2at6native12_GLOBAL__N_135GammaBetaBackwardCUDAKernelTemplateIddLj64ELj1ELj32ELb1ELb1ELb0EEEvllPKT_S5_PKT0_S8_PS3_S9_, .Lfunc_end27-_ZN2at6native12_GLOBAL__N_135GammaBetaBackwardCUDAKernelTemplateIddLj64ELj1ELj32ELb1ELb1ELb0EEEvllPKT_S5_PKT0_S8_PS3_S9_
                                        ; -- End function
	.set _ZN2at6native12_GLOBAL__N_135GammaBetaBackwardCUDAKernelTemplateIddLj64ELj1ELj32ELb1ELb1ELb0EEEvllPKT_S5_PKT0_S8_PS3_S9_.num_vgpr, 115
	.set _ZN2at6native12_GLOBAL__N_135GammaBetaBackwardCUDAKernelTemplateIddLj64ELj1ELj32ELb1ELb1ELb0EEEvllPKT_S5_PKT0_S8_PS3_S9_.num_agpr, 0
	.set _ZN2at6native12_GLOBAL__N_135GammaBetaBackwardCUDAKernelTemplateIddLj64ELj1ELj32ELb1ELb1ELb0EEEvllPKT_S5_PKT0_S8_PS3_S9_.numbered_sgpr, 40
	.set _ZN2at6native12_GLOBAL__N_135GammaBetaBackwardCUDAKernelTemplateIddLj64ELj1ELj32ELb1ELb1ELb0EEEvllPKT_S5_PKT0_S8_PS3_S9_.num_named_barrier, 0
	.set _ZN2at6native12_GLOBAL__N_135GammaBetaBackwardCUDAKernelTemplateIddLj64ELj1ELj32ELb1ELb1ELb0EEEvllPKT_S5_PKT0_S8_PS3_S9_.private_seg_size, 0
	.set _ZN2at6native12_GLOBAL__N_135GammaBetaBackwardCUDAKernelTemplateIddLj64ELj1ELj32ELb1ELb1ELb0EEEvllPKT_S5_PKT0_S8_PS3_S9_.uses_vcc, 1
	.set _ZN2at6native12_GLOBAL__N_135GammaBetaBackwardCUDAKernelTemplateIddLj64ELj1ELj32ELb1ELb1ELb0EEEvllPKT_S5_PKT0_S8_PS3_S9_.uses_flat_scratch, 0
	.set _ZN2at6native12_GLOBAL__N_135GammaBetaBackwardCUDAKernelTemplateIddLj64ELj1ELj32ELb1ELb1ELb0EEEvllPKT_S5_PKT0_S8_PS3_S9_.has_dyn_sized_stack, 0
	.set _ZN2at6native12_GLOBAL__N_135GammaBetaBackwardCUDAKernelTemplateIddLj64ELj1ELj32ELb1ELb1ELb0EEEvllPKT_S5_PKT0_S8_PS3_S9_.has_recursion, 0
	.set _ZN2at6native12_GLOBAL__N_135GammaBetaBackwardCUDAKernelTemplateIddLj64ELj1ELj32ELb1ELb1ELb0EEEvllPKT_S5_PKT0_S8_PS3_S9_.has_indirect_call, 0
	.section	.AMDGPU.csdata,"",@progbits
; Kernel info:
; codeLenInByte = 4336
; TotalNumSgprs: 44
; NumVgprs: 115
; ScratchSize: 0
; MemoryBound: 0
; FloatMode: 240
; IeeeMode: 1
; LDSByteSize: 0 bytes/workgroup (compile time only)
; SGPRBlocks: 5
; VGPRBlocks: 28
; NumSGPRsForWavesPerEU: 44
; NumVGPRsForWavesPerEU: 115
; Occupancy: 2
; WaveLimiterHint : 0
; COMPUTE_PGM_RSRC2:SCRATCH_EN: 0
; COMPUTE_PGM_RSRC2:USER_SGPR: 6
; COMPUTE_PGM_RSRC2:TRAP_HANDLER: 0
; COMPUTE_PGM_RSRC2:TGID_X_EN: 1
; COMPUTE_PGM_RSRC2:TGID_Y_EN: 1
; COMPUTE_PGM_RSRC2:TGID_Z_EN: 0
; COMPUTE_PGM_RSRC2:TIDIG_COMP_CNT: 1
	.section	.text._ZN2at6native12_GLOBAL__N_135GammaBetaBackwardCUDAKernelTemplateIddLj64ELj1ELj32ELb1ELb0ELb0EEEvllPKT_S5_PKT0_S8_PS3_S9_,"axG",@progbits,_ZN2at6native12_GLOBAL__N_135GammaBetaBackwardCUDAKernelTemplateIddLj64ELj1ELj32ELb1ELb0ELb0EEEvllPKT_S5_PKT0_S8_PS3_S9_,comdat
	.globl	_ZN2at6native12_GLOBAL__N_135GammaBetaBackwardCUDAKernelTemplateIddLj64ELj1ELj32ELb1ELb0ELb0EEEvllPKT_S5_PKT0_S8_PS3_S9_ ; -- Begin function _ZN2at6native12_GLOBAL__N_135GammaBetaBackwardCUDAKernelTemplateIddLj64ELj1ELj32ELb1ELb0ELb0EEEvllPKT_S5_PKT0_S8_PS3_S9_
	.p2align	8
	.type	_ZN2at6native12_GLOBAL__N_135GammaBetaBackwardCUDAKernelTemplateIddLj64ELj1ELj32ELb1ELb0ELb0EEEvllPKT_S5_PKT0_S8_PS3_S9_,@function
_ZN2at6native12_GLOBAL__N_135GammaBetaBackwardCUDAKernelTemplateIddLj64ELj1ELj32ELb1ELb0ELb0EEEvllPKT_S5_PKT0_S8_PS3_S9_: ; @_ZN2at6native12_GLOBAL__N_135GammaBetaBackwardCUDAKernelTemplateIddLj64ELj1ELj32ELb1ELb0ELb0EEEvllPKT_S5_PKT0_S8_PS3_S9_
; %bb.0:
	s_mov_b64 s[42:43], s[2:3]
	s_mov_b64 s[40:41], s[0:1]
	s_add_u32 s40, s40, s8
	s_addc_u32 s41, s41, 0
	buffer_store_dword v1, off, s[40:43], 0 offset:484 ; 4-byte Folded Spill
	s_nop 0
	buffer_store_dword v2, off, s[40:43], 0 offset:488 ; 4-byte Folded Spill
	buffer_store_dword v0, off, s[40:43], 0 offset:44 ; 4-byte Folded Spill
	s_load_dwordx8 s[12:19], s[4:5], 0x0
	s_load_dwordx4 s[20:23], s[4:5], 0x20
	s_mov_b32 s8, s7
	s_lshl_b32 s7, s6, 6
	s_or_b32 s0, s7, 63
	v_mov_b32_e32 v0, s0
	v_mov_b32_e32 v1, 0
	s_lshl_b32 s24, s8, 5
	s_mov_b32 s25, 0
	s_waitcnt lgkmcnt(0)
	v_cmp_le_i64_e32 vcc, s[14:15], v[0:1]
	v_mov_b32_e32 v0, s24
	v_mov_b32_e32 v1, s25
	v_cmp_gt_i64_e64 s[0:1], s[12:13], v[0:1]
	v_cndmask_b32_e64 v0, 0, 1, s[0:1]
	v_cmp_ne_u32_e64 s[0:1], 1, v0
	s_cbranch_vccz .LBB28_144
; %bb.1:
	v_mov_b32_e32 v0, 0
	v_mov_b32_e32 v1, 0
	buffer_store_dword v0, off, s[40:43], 0 offset:8 ; 4-byte Folded Spill
	s_nop 0
	buffer_store_dword v1, off, s[40:43], 0 offset:12 ; 4-byte Folded Spill
	v_mov_b32_e32 v0, 0
	s_and_b64 vcc, exec, s[0:1]
	v_mov_b32_e32 v1, 0
	buffer_store_dword v0, off, s[40:43], 0 ; 4-byte Folded Spill
	s_nop 0
	buffer_store_dword v1, off, s[40:43], 0 offset:4 ; 4-byte Folded Spill
	s_cbranch_vccnz .LBB28_145
; %bb.2:
	buffer_load_dword v0, off, s[40:43], 0 offset:44 ; 4-byte Folded Reload
	v_mov_b32_e32 v10, 0
	v_mov_b32_e32 v8, v10
	s_add_u32 s26, s4, 64
	v_mov_b32_e32 v5, v10
	s_addc_u32 s27, s5, 0
	v_mov_b32_e32 v12, s19
	s_mov_b64 s[30:31], 31
	s_mov_b64 s[34:35], s[24:25]
	s_waitcnt vmcnt(0)
	v_add_u32_e32 v9, s7, v0
	buffer_load_dword v0, off, s[40:43], 0 offset:484 ; 4-byte Folded Reload
	buffer_load_dword v1, off, s[40:43], 0 offset:488 ; 4-byte Folded Reload
	s_load_dword s9, s[4:5], 0x44
	s_waitcnt lgkmcnt(0)
	s_lshl_b32 s9, s9, 5
	s_mul_i32 s10, s15, s9
	s_mul_hi_u32 s11, s14, s9
	s_add_i32 s11, s11, s10
	s_mul_i32 s10, s14, s9
	s_lshl_b64 s[28:29], s[10:11], 3
	s_waitcnt vmcnt(1)
	v_lshlrev_b32_e32 v0, 5, v0
	v_add_co_u32_e32 v3, vcc, s24, v0
	v_addc_co_u32_e64 v4, s[2:3], 0, 0, vcc
	v_mul_lo_u32 v7, s14, v4
	buffer_store_dword v7, off, s[40:43], 0 offset:80 ; 4-byte Folded Spill
	s_nop 0
	buffer_store_dword v8, off, s[40:43], 0 offset:84 ; 4-byte Folded Spill
	v_mul_lo_u32 v6, s15, v3
	s_waitcnt vmcnt(2)
	v_mad_u64_u32 v[1:2], s[2:3], s14, v3, 0
	v_cmp_gt_i64_e64 s[2:3], s[14:15], v[9:10]
	v_lshlrev_b64 v[8:9], 3, v[9:10]
	v_mov_b32_e32 v10, s17
	v_add3_u32 v2, v2, v7, v6
	v_lshlrev_b64 v[6:7], 3, v[1:2]
	v_add_co_u32_e32 v11, vcc, s16, v6
	v_addc_co_u32_e32 v144, vcc, v10, v7, vcc
	v_add_co_u32_e32 v10, vcc, 31, v3
	buffer_store_dword v11, off, s[40:43], 0 offset:16 ; 4-byte Folded Spill
	v_addc_co_u32_e32 v11, vcc, 0, v4, vcc
	v_mul_lo_u32 v13, s15, v10
	v_mul_lo_u32 v14, s14, v11
	v_mad_u64_u32 v[10:11], s[10:11], s14, v10, 0
	v_add_co_u32_e32 v145, vcc, s18, v6
	v_add3_u32 v11, v11, v14, v13
	v_addc_co_u32_e32 v146, vcc, v12, v7, vcc
	v_lshlrev_b64 v[6:7], 3, v[10:11]
	v_mov_b32_e32 v10, s17
	v_add_co_u32_e32 v147, vcc, s16, v6
	v_addc_co_u32_e32 v148, vcc, v10, v7, vcc
	v_add_co_u32_e32 v10, vcc, 30, v3
	v_addc_co_u32_e32 v11, vcc, 0, v4, vcc
	v_mul_lo_u32 v13, s15, v10
	v_mul_lo_u32 v14, s14, v11
	v_mad_u64_u32 v[10:11], s[10:11], s14, v10, 0
	v_add_co_u32_e32 v149, vcc, s18, v6
	v_add3_u32 v11, v11, v14, v13
	v_addc_co_u32_e32 v150, vcc, v12, v7, vcc
	v_lshlrev_b64 v[6:7], 3, v[10:11]
	v_mov_b32_e32 v10, s17
	v_add_co_u32_e32 v151, vcc, s16, v6
	v_addc_co_u32_e32 v152, vcc, v10, v7, vcc
	v_add_co_u32_e32 v10, vcc, 29, v3
	;; [unrolled: 12-line block ×27, first 2 shown]
	v_addc_co_u32_e32 v11, vcc, 0, v4, vcc
	v_mul_lo_u32 v13, s15, v10
	v_mul_lo_u32 v14, s14, v11
	v_mad_u64_u32 v[10:11], s[10:11], s14, v10, 0
	v_add_co_u32_e32 v253, vcc, s18, v6
	v_add3_u32 v11, v11, v14, v13
	v_lshlrev_b64 v[10:11], 3, v[10:11]
	v_addc_co_u32_e32 v254, vcc, v12, v7, vcc
	v_mov_b32_e32 v6, s17
	v_add_co_u32_e32 v255, vcc, s16, v10
	v_addc_co_u32_e32 v7, vcc, v6, v11, vcc
	v_add_co_u32_e32 v12, vcc, 3, v3
	v_addc_co_u32_e32 v13, vcc, 0, v4, vcc
	v_mul_lo_u32 v16, s15, v12
	v_mul_lo_u32 v17, s14, v13
	v_mad_u64_u32 v[14:15], s[10:11], s14, v12, 0
	v_mov_b32_e32 v6, s19
	v_add_co_u32_e32 v12, vcc, s18, v10
	v_add3_u32 v15, v15, v17, v16
	v_addc_co_u32_e32 v13, vcc, v6, v11, vcc
	v_lshlrev_b64 v[10:11], 3, v[14:15]
	v_mov_b32_e32 v6, s17
	v_add_co_u32_e32 v28, vcc, s16, v10
	v_addc_co_u32_e32 v29, vcc, v6, v11, vcc
	v_add_co_u32_e32 v3, vcc, 2, v3
	v_addc_co_u32_e32 v4, vcc, 0, v4, vcc
	v_mul_lo_u32 v14, s15, v3
	v_mul_lo_u32 v15, s14, v4
	v_mad_u64_u32 v[3:4], s[10:11], s14, v3, 0
	v_mov_b32_e32 v6, s19
	v_add_co_u32_e32 v36, vcc, s18, v10
	v_add3_u32 v4, v4, v15, v14
	v_lshlrev_b64 v[3:4], 3, v[3:4]
	v_addc_co_u32_e32 v37, vcc, v6, v11, vcc
	v_mov_b32_e32 v6, s17
	v_add_co_u32_e32 v44, vcc, s16, v3
	v_addc_co_u32_e32 v45, vcc, v6, v4, vcc
	v_mov_b32_e32 v6, s19
	v_add_co_u32_e32 v52, vcc, s18, v3
	;; [unrolled: 3-line block ×3, first 2 shown]
	v_addc_co_u32_e32 v2, vcc, v2, v3, vcc
	v_lshlrev_b64 v[1:2], 3, v[1:2]
	v_mov_b32_e32 v3, s17
	v_add_co_u32_e32 v60, vcc, s16, v1
	v_addc_co_u32_e32 v61, vcc, v3, v2, vcc
	v_mov_b32_e32 v3, s19
	v_add_co_u32_e32 v68, vcc, s18, v1
	v_addc_co_u32_e32 v69, vcc, v3, v2, vcc
	v_mov_b32_e32 v1, 0
	v_mov_b32_e32 v2, 0
	buffer_store_dword v1, off, s[40:43], 0 ; 4-byte Folded Spill
	s_nop 0
	buffer_store_dword v2, off, s[40:43], 0 offset:4 ; 4-byte Folded Spill
	v_mbcnt_lo_u32_b32 v1, -1, 0
	v_mbcnt_hi_u32_b32 v1, -1, v1
	v_lshlrev_b32_e32 v1, 2, v1
	v_and_b32_e32 v6, 0x100, v1
	v_mov_b32_e32 v1, 0
	v_mov_b32_e32 v2, 0
	buffer_store_dword v1, off, s[40:43], 0 offset:8 ; 4-byte Folded Spill
	s_nop 0
	buffer_store_dword v2, off, s[40:43], 0 offset:12 ; 4-byte Folded Spill
	s_branch .LBB28_5
.LBB28_3:                               ;   in Loop: Header=BB28_5 Depth=1
	s_or_b64 exec, exec, s[10:11]
	ds_bpermute_b32 v140, v6, v16
	ds_bpermute_b32 v141, v6, v17
	;; [unrolled: 1-line block ×4, first 2 shown]
	s_waitcnt lgkmcnt(2)
	v_add_f64 v[134:135], v[134:135], -v[140:141]
	buffer_load_dword v140, off, s[40:43], 0 ; 4-byte Folded Reload
	buffer_load_dword v141, off, s[40:43], 0 offset:4 ; 4-byte Folded Reload
	v_mul_f64 v[134:135], v[120:121], v[134:135]
	s_waitcnt vmcnt(0) lgkmcnt(0)
	v_fma_f64 v[34:35], v[134:135], v[34:35], v[140:141]
	buffer_load_dword v134, off, s[40:43], 0 offset:8 ; 4-byte Folded Reload
	buffer_load_dword v135, off, s[40:43], 0 offset:12 ; 4-byte Folded Reload
	ds_bpermute_b32 v140, v6, v16 offset:4
	ds_bpermute_b32 v141, v6, v17 offset:4
	s_waitcnt lgkmcnt(0)
	v_add_f64 v[136:137], v[136:137], -v[140:141]
	v_mul_f64 v[136:137], v[132:133], v[136:137]
	s_waitcnt vmcnt(0)
	v_add_f64 v[120:121], v[134:135], v[120:121]
	ds_bpermute_b32 v134, v6, v18 offset:4
	ds_bpermute_b32 v135, v6, v19 offset:4
	s_waitcnt lgkmcnt(0)
	v_fma_f64 v[34:35], v[136:137], v[134:135], v[34:35]
	ds_bpermute_b32 v134, v6, v16 offset:8
	ds_bpermute_b32 v135, v6, v17 offset:8
	v_add_f64 v[120:121], v[120:121], v[132:133]
	ds_bpermute_b32 v132, v6, v18 offset:8
	ds_bpermute_b32 v133, v6, v19 offset:8
	s_waitcnt lgkmcnt(2)
	v_add_f64 v[130:131], v[130:131], -v[134:135]
	v_add_f64 v[120:121], v[120:121], v[122:123]
	v_mul_f64 v[130:131], v[122:123], v[130:131]
	ds_bpermute_b32 v122, v6, v18 offset:12
	ds_bpermute_b32 v123, v6, v19 offset:12
	v_add_f64 v[120:121], v[120:121], v[126:127]
	s_waitcnt lgkmcnt(2)
	v_fma_f64 v[34:35], v[130:131], v[132:133], v[34:35]
	ds_bpermute_b32 v130, v6, v16 offset:12
	ds_bpermute_b32 v131, v6, v17 offset:12
	s_waitcnt lgkmcnt(0)
	v_add_f64 v[128:129], v[128:129], -v[130:131]
	v_mul_f64 v[128:129], v[126:127], v[128:129]
	ds_bpermute_b32 v126, v6, v16 offset:16
	ds_bpermute_b32 v127, v6, v17 offset:16
	s_waitcnt lgkmcnt(0)
	v_add_f64 v[124:125], v[124:125], -v[126:127]
	v_fma_f64 v[34:35], v[128:129], v[122:123], v[34:35]
	ds_bpermute_b32 v122, v6, v18 offset:16
	ds_bpermute_b32 v123, v6, v19 offset:16
	v_mul_f64 v[124:125], v[114:115], v[124:125]
	v_add_f64 v[114:115], v[120:121], v[114:115]
	ds_bpermute_b32 v120, v6, v18 offset:20
	ds_bpermute_b32 v121, v6, v19 offset:20
	s_waitcnt lgkmcnt(2)
	v_fma_f64 v[34:35], v[124:125], v[122:123], v[34:35]
	ds_bpermute_b32 v122, v6, v16 offset:20
	ds_bpermute_b32 v123, v6, v17 offset:20
	v_add_f64 v[114:115], v[114:115], v[116:117]
	s_waitcnt lgkmcnt(0)
	v_add_f64 v[118:119], v[118:119], -v[122:123]
	v_mul_f64 v[118:119], v[116:117], v[118:119]
	ds_bpermute_b32 v116, v6, v18 offset:24
	ds_bpermute_b32 v117, v6, v19 offset:24
	v_fma_f64 v[34:35], v[118:119], v[120:121], v[34:35]
	ds_bpermute_b32 v118, v6, v16 offset:24
	ds_bpermute_b32 v119, v6, v17 offset:24
	s_waitcnt lgkmcnt(0)
	v_add_f64 v[112:113], v[112:113], -v[118:119]
	v_mul_f64 v[112:113], v[106:107], v[112:113]
	v_add_f64 v[106:107], v[114:115], v[106:107]
	ds_bpermute_b32 v114, v6, v16 offset:28
	ds_bpermute_b32 v115, v6, v17 offset:28
	s_waitcnt lgkmcnt(0)
	v_add_f64 v[110:111], v[110:111], -v[114:115]
	v_fma_f64 v[34:35], v[112:113], v[116:117], v[34:35]
	ds_bpermute_b32 v112, v6, v18 offset:28
	ds_bpermute_b32 v113, v6, v19 offset:28
	v_add_f64 v[106:107], v[106:107], v[108:109]
	v_mul_f64 v[110:111], v[108:109], v[110:111]
	ds_bpermute_b32 v108, v6, v18 offset:32
	ds_bpermute_b32 v109, v6, v19 offset:32
	s_waitcnt lgkmcnt(2)
	v_fma_f64 v[34:35], v[110:111], v[112:113], v[34:35]
	ds_bpermute_b32 v110, v6, v16 offset:32
	ds_bpermute_b32 v111, v6, v17 offset:32
	s_waitcnt lgkmcnt(0)
	v_add_f64 v[3:4], v[3:4], -v[110:111]
	v_mul_f64 v[3:4], v[1:2], v[3:4]
	v_add_f64 v[1:2], v[106:107], v[1:2]
	ds_bpermute_b32 v106, v6, v16 offset:36
	ds_bpermute_b32 v107, v6, v17 offset:36
	s_waitcnt lgkmcnt(0)
	v_add_f64 v[104:105], v[104:105], -v[106:107]
	v_add_f64 v[1:2], v[1:2], v[102:103]
	v_fma_f64 v[3:4], v[3:4], v[108:109], v[34:35]
	ds_bpermute_b32 v34, v6, v18 offset:36
	ds_bpermute_b32 v35, v6, v19 offset:36
	v_mul_f64 v[104:105], v[102:103], v[104:105]
	ds_bpermute_b32 v102, v6, v16 offset:40
	ds_bpermute_b32 v103, v6, v17 offset:40
	v_add_f64 v[1:2], v[1:2], v[94:95]
	s_waitcnt lgkmcnt(0)
	v_add_f64 v[100:101], v[100:101], -v[102:103]
	v_fma_f64 v[3:4], v[104:105], v[34:35], v[3:4]
	ds_bpermute_b32 v34, v6, v18 offset:40
	ds_bpermute_b32 v35, v6, v19 offset:40
	v_add_f64 v[1:2], v[1:2], v[96:97]
	v_mul_f64 v[100:101], v[94:95], v[100:101]
	ds_bpermute_b32 v94, v6, v16 offset:44
	ds_bpermute_b32 v95, v6, v17 offset:44
	v_add_f64 v[1:2], v[1:2], v[86:87]
	s_waitcnt lgkmcnt(0)
	v_add_f64 v[94:95], v[98:99], -v[94:95]
	v_fma_f64 v[3:4], v[100:101], v[34:35], v[3:4]
	ds_bpermute_b32 v34, v6, v18 offset:44
	ds_bpermute_b32 v35, v6, v19 offset:44
	v_add_f64 v[1:2], v[1:2], v[88:89]
	v_mul_f64 v[94:95], v[96:97], v[94:95]
	v_add_f64 v[1:2], v[1:2], v[78:79]
	s_waitcnt lgkmcnt(0)
	v_fma_f64 v[3:4], v[94:95], v[34:35], v[3:4]
	ds_bpermute_b32 v94, v6, v16 offset:48
	ds_bpermute_b32 v95, v6, v17 offset:48
	;; [unrolled: 1-line block ×4, first 2 shown]
	v_add_f64 v[1:2], v[1:2], v[80:81]
	s_waitcnt lgkmcnt(2)
	v_add_f64 v[92:93], v[92:93], -v[94:95]
	v_add_f64 v[1:2], v[1:2], v[70:71]
	v_mul_f64 v[92:93], v[86:87], v[92:93]
	ds_bpermute_b32 v86, v6, v16 offset:52
	ds_bpermute_b32 v87, v6, v17 offset:52
	v_add_f64 v[1:2], v[1:2], v[72:73]
	s_waitcnt lgkmcnt(0)
	v_add_f64 v[86:87], v[90:91], -v[86:87]
	v_fma_f64 v[3:4], v[92:93], v[34:35], v[3:4]
	ds_bpermute_b32 v34, v6, v18 offset:52
	ds_bpermute_b32 v35, v6, v19 offset:52
	v_add_f64 v[1:2], v[1:2], v[62:63]
	v_mul_f64 v[86:87], v[88:89], v[86:87]
	v_add_f64 v[1:2], v[1:2], v[64:65]
	s_waitcnt lgkmcnt(0)
	v_fma_f64 v[3:4], v[86:87], v[34:35], v[3:4]
	ds_bpermute_b32 v86, v6, v16 offset:56
	ds_bpermute_b32 v87, v6, v17 offset:56
	;; [unrolled: 1-line block ×4, first 2 shown]
	s_waitcnt lgkmcnt(2)
	v_add_f64 v[84:85], v[84:85], -v[86:87]
	v_add_f64 v[1:2], v[1:2], v[54:55]
	v_mul_f64 v[84:85], v[78:79], v[84:85]
	ds_bpermute_b32 v78, v6, v16 offset:60
	ds_bpermute_b32 v79, v6, v17 offset:60
	v_add_f64 v[1:2], v[1:2], v[56:57]
	s_waitcnt lgkmcnt(0)
	v_add_f64 v[78:79], v[82:83], -v[78:79]
	v_fma_f64 v[3:4], v[84:85], v[34:35], v[3:4]
	ds_bpermute_b32 v34, v6, v18 offset:60
	ds_bpermute_b32 v35, v6, v19 offset:60
	v_add_f64 v[1:2], v[1:2], v[46:47]
	v_mul_f64 v[78:79], v[80:81], v[78:79]
	v_add_f64 v[1:2], v[1:2], v[48:49]
	s_waitcnt lgkmcnt(0)
	v_fma_f64 v[3:4], v[78:79], v[34:35], v[3:4]
	ds_bpermute_b32 v78, v6, v16 offset:64
	ds_bpermute_b32 v79, v6, v17 offset:64
	;; [unrolled: 1-line block ×4, first 2 shown]
	v_add_f64 v[1:2], v[1:2], v[38:39]
	s_waitcnt lgkmcnt(2)
	v_add_f64 v[76:77], v[76:77], -v[78:79]
	v_add_f64 v[1:2], v[1:2], v[40:41]
	v_mul_f64 v[76:77], v[70:71], v[76:77]
	ds_bpermute_b32 v70, v6, v16 offset:68
	ds_bpermute_b32 v71, v6, v17 offset:68
	v_add_f64 v[1:2], v[1:2], v[30:31]
	s_waitcnt lgkmcnt(0)
	v_add_f64 v[70:71], v[74:75], -v[70:71]
	v_fma_f64 v[3:4], v[76:77], v[34:35], v[3:4]
	ds_bpermute_b32 v34, v6, v18 offset:68
	ds_bpermute_b32 v35, v6, v19 offset:68
	v_add_f64 v[1:2], v[1:2], v[32:33]
	v_mul_f64 v[70:71], v[72:73], v[70:71]
	v_add_f64 v[1:2], v[1:2], v[22:23]
	s_waitcnt lgkmcnt(0)
	v_fma_f64 v[3:4], v[70:71], v[34:35], v[3:4]
	ds_bpermute_b32 v70, v6, v16 offset:72
	ds_bpermute_b32 v71, v6, v17 offset:72
	;; [unrolled: 1-line block ×4, first 2 shown]
	s_waitcnt lgkmcnt(2)
	v_add_f64 v[70:71], v[138:139], -v[70:71]
	v_mul_f64 v[70:71], v[62:63], v[70:71]
	ds_bpermute_b32 v62, v6, v16 offset:76
	ds_bpermute_b32 v63, v6, v17 offset:76
	s_waitcnt lgkmcnt(0)
	v_add_f64 v[62:63], v[66:67], -v[62:63]
	v_fma_f64 v[3:4], v[70:71], v[34:35], v[3:4]
	ds_bpermute_b32 v34, v6, v18 offset:76
	ds_bpermute_b32 v35, v6, v19 offset:76
	v_mul_f64 v[62:63], v[64:65], v[62:63]
	s_waitcnt lgkmcnt(0)
	v_fma_f64 v[3:4], v[62:63], v[34:35], v[3:4]
	ds_bpermute_b32 v62, v6, v16 offset:80
	ds_bpermute_b32 v63, v6, v17 offset:80
	ds_bpermute_b32 v34, v6, v18 offset:80
	ds_bpermute_b32 v35, v6, v19 offset:80
	s_waitcnt lgkmcnt(2)
	v_add_f64 v[26:27], v[26:27], -v[62:63]
	v_mul_f64 v[26:27], v[54:55], v[26:27]
	s_waitcnt lgkmcnt(0)
	v_fma_f64 v[3:4], v[26:27], v[34:35], v[3:4]
	ds_bpermute_b32 v34, v6, v16 offset:84
	ds_bpermute_b32 v35, v6, v17 offset:84
	ds_bpermute_b32 v26, v6, v18 offset:84
	ds_bpermute_b32 v27, v6, v19 offset:84
	s_waitcnt lgkmcnt(2)
	v_add_f64 v[34:35], v[58:59], -v[34:35]
	;; [unrolled: 9-line block ×3, first 2 shown]
	buffer_load_dword v34, off, s[40:43], 0 offset:36 ; 4-byte Folded Reload
	buffer_load_dword v35, off, s[40:43], 0 offset:40 ; 4-byte Folded Reload
	v_mul_f64 v[20:21], v[46:47], v[20:21]
	s_waitcnt lgkmcnt(0)
	v_fma_f64 v[3:4], v[20:21], v[26:27], v[3:4]
	ds_bpermute_b32 v26, v6, v16 offset:92
	ds_bpermute_b32 v27, v6, v17 offset:92
	ds_bpermute_b32 v20, v6, v18 offset:92
	ds_bpermute_b32 v21, v6, v19 offset:92
	s_waitcnt lgkmcnt(2)
	v_add_f64 v[26:27], v[50:51], -v[26:27]
	v_mul_f64 v[26:27], v[48:49], v[26:27]
	s_waitcnt lgkmcnt(0)
	v_fma_f64 v[3:4], v[26:27], v[20:21], v[3:4]
	ds_bpermute_b32 v26, v6, v16 offset:96
	ds_bpermute_b32 v27, v6, v17 offset:96
	ds_bpermute_b32 v20, v6, v18 offset:96
	ds_bpermute_b32 v21, v6, v19 offset:96
	s_waitcnt lgkmcnt(2)
	v_add_f64 v[26:27], v[142:143], -v[26:27]
	;; [unrolled: 9-line block ×3, first 2 shown]
	v_mul_f64 v[26:27], v[40:41], v[26:27]
	s_waitcnt lgkmcnt(0)
	v_fma_f64 v[3:4], v[26:27], v[20:21], v[3:4]
	ds_bpermute_b32 v26, v6, v16 offset:104
	ds_bpermute_b32 v27, v6, v17 offset:104
	;; [unrolled: 1-line block ×4, first 2 shown]
	s_waitcnt vmcnt(0) lgkmcnt(2)
	v_add_f64 v[26:27], v[34:35], -v[26:27]
	v_mul_f64 v[26:27], v[30:31], v[26:27]
	buffer_load_dword v30, off, s[40:43], 0 offset:28 ; 4-byte Folded Reload
	buffer_load_dword v31, off, s[40:43], 0 offset:32 ; 4-byte Folded Reload
	s_waitcnt lgkmcnt(0)
	v_fma_f64 v[3:4], v[26:27], v[20:21], v[3:4]
	ds_bpermute_b32 v26, v6, v16 offset:108
	ds_bpermute_b32 v27, v6, v17 offset:108
	;; [unrolled: 1-line block ×4, first 2 shown]
	s_waitcnt vmcnt(0) lgkmcnt(2)
	v_add_f64 v[26:27], v[30:31], -v[26:27]
	buffer_load_dword v30, off, s[40:43], 0 offset:64 ; 4-byte Folded Reload
	buffer_load_dword v31, off, s[40:43], 0 offset:68 ; 4-byte Folded Reload
	v_mul_f64 v[26:27], v[32:33], v[26:27]
	s_waitcnt lgkmcnt(0)
	v_fma_f64 v[3:4], v[26:27], v[20:21], v[3:4]
	ds_bpermute_b32 v26, v6, v16 offset:112
	ds_bpermute_b32 v27, v6, v17 offset:112
	ds_bpermute_b32 v20, v6, v18 offset:112
	ds_bpermute_b32 v21, v6, v19 offset:112
	s_waitcnt vmcnt(0) lgkmcnt(2)
	v_add_f64 v[26:27], v[30:31], -v[26:27]
	v_mul_f64 v[26:27], v[22:23], v[26:27]
	ds_bpermute_b32 v22, v6, v16 offset:116
	ds_bpermute_b32 v23, v6, v17 offset:116
	s_waitcnt lgkmcnt(2)
	v_fma_f64 v[3:4], v[26:27], v[20:21], v[3:4]
	buffer_load_dword v26, off, s[40:43], 0 offset:56 ; 4-byte Folded Reload
	buffer_load_dword v27, off, s[40:43], 0 offset:60 ; 4-byte Folded Reload
	ds_bpermute_b32 v20, v6, v18 offset:116
	ds_bpermute_b32 v21, v6, v19 offset:116
	s_waitcnt vmcnt(0) lgkmcnt(2)
	v_add_f64 v[22:23], v[26:27], -v[22:23]
	v_mul_f64 v[22:23], v[24:25], v[22:23]
	s_waitcnt lgkmcnt(0)
	v_fma_f64 v[3:4], v[22:23], v[20:21], v[3:4]
	v_add_f64 v[20:21], v[1:2], v[24:25]
	buffer_load_dword v24, off, s[40:43], 0 offset:48 ; 4-byte Folded Reload
	buffer_load_dword v25, off, s[40:43], 0 offset:52 ; 4-byte Folded Reload
	ds_bpermute_b32 v22, v6, v16 offset:120
	ds_bpermute_b32 v23, v6, v17 offset:120
	;; [unrolled: 1-line block ×6, first 2 shown]
	v_add_f64 v[20:21], v[20:21], v[14:15]
	s_waitcnt vmcnt(0) lgkmcnt(4)
	v_add_f64 v[22:23], v[24:25], -v[22:23]
	v_mul_f64 v[22:23], v[14:15], v[22:23]
	s_waitcnt lgkmcnt(2)
	v_fma_f64 v[1:2], v[22:23], v[1:2], v[3:4]
	ds_bpermute_b32 v3, v6, v18 offset:124
	ds_bpermute_b32 v4, v6, v19 offset:124
.LBB28_4:                               ;   in Loop: Header=BB28_5 Depth=1
	buffer_load_dword v14, off, s[40:43], 0 offset:20 ; 4-byte Folded Reload
	buffer_load_dword v15, off, s[40:43], 0 offset:24 ; 4-byte Folded Reload
	s_add_u32 s34, s34, s9
	s_addc_u32 s35, s35, 0
	s_add_u32 s30, s30, s9
	s_addc_u32 s31, 0, s31
	s_waitcnt vmcnt(0) lgkmcnt(2)
	v_add_f64 v[14:15], v[14:15], -v[16:17]
	v_add_f64 v[16:17], v[20:21], v[10:11]
	buffer_store_dword v16, off, s[40:43], 0 offset:8 ; 4-byte Folded Spill
	s_nop 0
	buffer_store_dword v17, off, s[40:43], 0 offset:12 ; 4-byte Folded Spill
	v_mul_f64 v[10:11], v[10:11], v[14:15]
	buffer_load_dword v14, off, s[40:43], 0 offset:16 ; 4-byte Folded Reload
	v_mov_b32_e32 v16, s29
	s_waitcnt lgkmcnt(0)
	v_fma_f64 v[1:2], v[10:11], v[3:4], v[1:2]
	s_waitcnt vmcnt(0)
	v_add_co_u32_e32 v14, vcc, s28, v14
	v_addc_co_u32_e32 v144, vcc, v144, v16, vcc
	v_add_co_u32_e32 v145, vcc, s28, v145
	v_addc_co_u32_e32 v146, vcc, v146, v16, vcc
	;; [unrolled: 2-line block ×63, first 2 shown]
	v_add_co_u32_e32 v68, vcc, s28, v68
	buffer_store_dword v14, off, s[40:43], 0 offset:16 ; 4-byte Folded Spill
	buffer_store_dword v1, off, s[40:43], 0 ; 4-byte Folded Spill
	s_nop 0
	buffer_store_dword v2, off, s[40:43], 0 offset:4 ; 4-byte Folded Spill
	v_addc_co_u32_e32 v69, vcc, v69, v16, vcc
	v_add_co_u32_e32 v0, vcc, s9, v0
	v_mov_b32_e32 v1, s12
	v_addc_co_u32_e32 v5, vcc, 0, v5, vcc
	v_mov_b32_e32 v2, s13
	v_cmp_lt_i64_e32 vcc, s[34:35], v[1:2]
	s_cbranch_vccz .LBB28_145
.LBB28_5:                               ; =>This Inner Loop Header: Depth=1
	s_add_u32 s10, s24, s30
	v_mov_b32_e32 v1, s12
	s_addc_u32 s11, 0, s31
	v_mov_b32_e32 v2, s13
	v_cmp_ge_i64_e32 vcc, s[10:11], v[1:2]
	v_add_co_u32_e64 v14, s[10:11], s24, v0
	v_addc_co_u32_e64 v15, s[10:11], 0, v5, s[10:11]
	s_mov_b64 s[10:11], -1
	s_and_b64 vcc, exec, vcc
                                        ; implicit-def: $vgpr1_vgpr2
                                        ; implicit-def: $vgpr3_vgpr4
                                        ; implicit-def: $vgpr10_vgpr11
                                        ; kill: killed $vgpr1_vgpr2
                                        ; implicit-def: $vgpr16
                                        ; implicit-def: $vgpr20_vgpr21
                                        ; implicit-def: $vgpr1_vgpr2
	s_cbranch_vccz .LBB28_75
; %bb.6:                                ;   in Loop: Header=BB28_5 Depth=1
	s_load_dword s10, s[26:27], 0xc
	buffer_load_dword v1, off, s[40:43], 0 offset:484 ; 4-byte Folded Reload
	buffer_load_dword v2, off, s[40:43], 0 offset:488 ; 4-byte Folded Reload
	;; [unrolled: 1-line block ×3, first 2 shown]
	v_mov_b32_e32 v118, 0
	v_mov_b32_e32 v18, 0
	s_waitcnt lgkmcnt(0)
	s_and_b32 s10, s10, 0xffff
	v_mov_b32_e32 v16, 0
	v_mov_b32_e32 v119, 0
	;; [unrolled: 1-line block ×4, first 2 shown]
	s_waitcnt vmcnt(0)
	v_mad_u32_u24 v1, v1, s10, v2
	v_and_b32_e32 v1, 63, v1
	v_cmp_gt_u32_e32 vcc, 32, v1
	s_and_saveexec_b64 s[10:11], vcc
	s_cbranch_execz .LBB28_10
; %bb.7:                                ;   in Loop: Header=BB28_5 Depth=1
	v_add_co_u32_e32 v1, vcc, v14, v1
	v_addc_co_u32_e32 v2, vcc, 0, v15, vcc
	v_cmp_gt_i64_e32 vcc, s[12:13], v[1:2]
	v_mov_b32_e32 v16, 0
	v_mov_b32_e32 v18, 0
	;; [unrolled: 1-line block ×4, first 2 shown]
	s_and_saveexec_b64 s[36:37], vcc
	s_cbranch_execz .LBB28_9
; %bb.8:                                ;   in Loop: Header=BB28_5 Depth=1
	v_lshlrev_b64 v[1:2], 3, v[1:2]
	v_mov_b32_e32 v4, s23
	v_add_co_u32_e32 v3, vcc, s22, v1
	v_addc_co_u32_e32 v4, vcc, v4, v2, vcc
	v_mov_b32_e32 v10, s21
	v_add_co_u32_e32 v1, vcc, s20, v1
	v_addc_co_u32_e32 v2, vcc, v10, v2, vcc
	global_load_dwordx2 v[16:17], v[1:2], off
	global_load_dwordx2 v[18:19], v[3:4], off
.LBB28_9:                               ;   in Loop: Header=BB28_5 Depth=1
	s_or_b64 exec, exec, s[36:37]
.LBB28_10:                              ;   in Loop: Header=BB28_5 Depth=1
	s_or_b64 exec, exec, s[10:11]
	v_cmp_gt_i64_e32 vcc, s[12:13], v[14:15]
	v_mov_b32_e32 v140, 0
	v_mov_b32_e32 v141, 0
	s_and_b64 s[36:37], s[2:3], vcc
	s_and_saveexec_b64 s[10:11], s[36:37]
	s_cbranch_execz .LBB28_12
; %bb.11:                               ;   in Loop: Header=BB28_5 Depth=1
	buffer_load_dword v1, off, s[40:43], 0 offset:16 ; 4-byte Folded Reload
	s_waitcnt vmcnt(0)
	v_add_co_u32_e32 v1, vcc, v1, v8
	v_addc_co_u32_e32 v2, vcc, v144, v9, vcc
	global_load_dwordx2 v[118:119], v[1:2], off
	v_add_co_u32_e32 v1, vcc, v145, v8
	v_addc_co_u32_e32 v2, vcc, v146, v9, vcc
	global_load_dwordx2 v[140:141], v[1:2], off
.LBB28_12:                              ;   in Loop: Header=BB28_5 Depth=1
	s_or_b64 exec, exec, s[10:11]
	v_add_co_u32_e32 v1, vcc, 1, v14
	v_addc_co_u32_e32 v2, vcc, 0, v15, vcc
	v_cmp_gt_i64_e32 vcc, s[12:13], v[1:2]
	v_mov_b32_e32 v126, 0
	v_mov_b32_e32 v136, 0
	v_mov_b32_e32 v142, 0
	v_mov_b32_e32 v127, 0
	v_mov_b32_e32 v137, 0
	v_mov_b32_e32 v143, 0
	s_and_b64 s[36:37], s[2:3], vcc
	s_and_saveexec_b64 s[10:11], s[36:37]
	s_cbranch_execz .LBB28_14
; %bb.13:                               ;   in Loop: Header=BB28_5 Depth=1
	v_add_co_u32_e32 v1, vcc, v60, v8
	v_addc_co_u32_e32 v2, vcc, v61, v9, vcc
	global_load_dwordx2 v[136:137], v[1:2], off
	v_add_co_u32_e32 v1, vcc, v68, v8
	v_addc_co_u32_e32 v2, vcc, v69, v9, vcc
	global_load_dwordx2 v[142:143], v[1:2], off
.LBB28_14:                              ;   in Loop: Header=BB28_5 Depth=1
	s_or_b64 exec, exec, s[10:11]
	v_add_co_u32_e32 v1, vcc, 2, v14
	v_addc_co_u32_e32 v2, vcc, 0, v15, vcc
	v_cmp_gt_i64_e32 vcc, s[12:13], v[1:2]
	v_mov_b32_e32 v138, 0
	v_mov_b32_e32 v139, 0
	s_and_b64 s[36:37], s[2:3], vcc
	s_and_saveexec_b64 s[10:11], s[36:37]
	s_cbranch_execz .LBB28_16
; %bb.15:                               ;   in Loop: Header=BB28_5 Depth=1
	v_add_co_u32_e32 v1, vcc, v44, v8
	v_addc_co_u32_e32 v2, vcc, v45, v9, vcc
	global_load_dwordx2 v[126:127], v[1:2], off
	v_add_co_u32_e32 v1, vcc, v52, v8
	v_addc_co_u32_e32 v2, vcc, v53, v9, vcc
	global_load_dwordx2 v[138:139], v[1:2], off
.LBB28_16:                              ;   in Loop: Header=BB28_5 Depth=1
	s_or_b64 exec, exec, s[10:11]
	v_add_co_u32_e32 v1, vcc, 3, v14
	v_addc_co_u32_e32 v2, vcc, 0, v15, vcc
	v_cmp_gt_i64_e32 vcc, s[12:13], v[1:2]
	v_mov_b32_e32 v120, 0
	v_mov_b32_e32 v132, 0
	v_mov_b32_e32 v134, 0
	v_mov_b32_e32 v121, 0
	v_mov_b32_e32 v133, 0
	v_mov_b32_e32 v135, 0
	s_and_b64 s[36:37], s[2:3], vcc
	s_and_saveexec_b64 s[10:11], s[36:37]
	s_cbranch_execz .LBB28_18
; %bb.17:                               ;   in Loop: Header=BB28_5 Depth=1
	v_add_co_u32_e32 v1, vcc, v28, v8
	v_addc_co_u32_e32 v2, vcc, v29, v9, vcc
	global_load_dwordx2 v[132:133], v[1:2], off
	v_add_co_u32_e32 v1, vcc, v36, v8
	v_addc_co_u32_e32 v2, vcc, v37, v9, vcc
	global_load_dwordx2 v[134:135], v[1:2], off
.LBB28_18:                              ;   in Loop: Header=BB28_5 Depth=1
	s_or_b64 exec, exec, s[10:11]
	v_add_co_u32_e32 v1, vcc, 4, v14
	v_addc_co_u32_e32 v2, vcc, 0, v15, vcc
	v_cmp_gt_i64_e32 vcc, s[12:13], v[1:2]
	v_mov_b32_e32 v130, 0
	v_mov_b32_e32 v131, 0
	s_and_b64 s[36:37], s[2:3], vcc
	s_and_saveexec_b64 s[10:11], s[36:37]
	s_cbranch_execz .LBB28_20
; %bb.19:                               ;   in Loop: Header=BB28_5 Depth=1
	v_add_co_u32_e32 v1, vcc, v255, v8
	v_addc_co_u32_e32 v2, vcc, v7, v9, vcc
	global_load_dwordx2 v[120:121], v[1:2], off
	v_add_co_u32_e32 v1, vcc, v12, v8
	v_addc_co_u32_e32 v2, vcc, v13, v9, vcc
	global_load_dwordx2 v[130:131], v[1:2], off
.LBB28_20:                              ;   in Loop: Header=BB28_5 Depth=1
	;; [unrolled: 38-line block ×12, first 2 shown]
	s_or_b64 exec, exec, s[10:11]
	v_add_co_u32_e32 v10, vcc, 25, v14
	v_addc_co_u32_e32 v11, vcc, 0, v15, vcc
	v_cmp_gt_i64_e32 vcc, s[12:13], v[10:11]
	v_mov_b32_e32 v30, 0
	v_mov_b32_e32 v42, 0
	;; [unrolled: 1-line block ×6, first 2 shown]
	s_and_b64 s[36:37], s[2:3], vcc
	buffer_store_dword v10, off, s[40:43], 0 offset:48 ; 4-byte Folded Spill
	s_nop 0
	buffer_store_dword v11, off, s[40:43], 0 offset:52 ; 4-byte Folded Spill
	s_and_saveexec_b64 s[10:11], s[36:37]
	s_cbranch_execz .LBB28_62
; %bb.61:                               ;   in Loop: Header=BB28_5 Depth=1
	v_add_co_u32_e32 v10, vcc, v171, v8
	v_addc_co_u32_e32 v11, vcc, v172, v9, vcc
	global_load_dwordx2 v[42:43], v[10:11], off
	v_add_co_u32_e32 v10, vcc, v173, v8
	v_addc_co_u32_e32 v11, vcc, v174, v9, vcc
	global_load_dwordx2 v[10:11], v[10:11], off
	s_waitcnt vmcnt(0)
	buffer_store_dword v10, off, s[40:43], 0 offset:48 ; 4-byte Folded Spill
	s_nop 0
	buffer_store_dword v11, off, s[40:43], 0 offset:52 ; 4-byte Folded Spill
.LBB28_62:                              ;   in Loop: Header=BB28_5 Depth=1
	s_or_b64 exec, exec, s[10:11]
	v_add_co_u32_e32 v10, vcc, 26, v14
	v_addc_co_u32_e32 v11, vcc, 0, v15, vcc
	v_cmp_gt_i64_e32 vcc, s[12:13], v[10:11]
	v_mov_b32_e32 v10, 0
	v_mov_b32_e32 v11, 0
	s_and_b64 s[36:37], s[2:3], vcc
	buffer_store_dword v10, off, s[40:43], 0 offset:36 ; 4-byte Folded Spill
	s_nop 0
	buffer_store_dword v11, off, s[40:43], 0 offset:40 ; 4-byte Folded Spill
	s_and_saveexec_b64 s[10:11], s[36:37]
	s_cbranch_execz .LBB28_64
; %bb.63:                               ;   in Loop: Header=BB28_5 Depth=1
	v_add_co_u32_e32 v10, vcc, v167, v8
	v_addc_co_u32_e32 v11, vcc, v168, v9, vcc
	global_load_dwordx2 v[30:31], v[10:11], off
	v_add_co_u32_e32 v10, vcc, v169, v8
	v_addc_co_u32_e32 v11, vcc, v170, v9, vcc
	global_load_dwordx2 v[10:11], v[10:11], off
	s_waitcnt vmcnt(0)
	buffer_store_dword v10, off, s[40:43], 0 offset:36 ; 4-byte Folded Spill
	s_nop 0
	buffer_store_dword v11, off, s[40:43], 0 offset:40 ; 4-byte Folded Spill
.LBB28_64:                              ;   in Loop: Header=BB28_5 Depth=1
	s_or_b64 exec, exec, s[10:11]
	v_add_co_u32_e32 v10, vcc, 27, v14
	v_addc_co_u32_e32 v11, vcc, 0, v15, vcc
	v_cmp_gt_i64_e32 vcc, s[12:13], v[10:11]
	v_mov_b32_e32 v24, 0
	v_mov_b32_e32 v34, 0
	;; [unrolled: 1-line block ×6, first 2 shown]
	s_and_b64 s[36:37], s[2:3], vcc
	buffer_store_dword v10, off, s[40:43], 0 offset:28 ; 4-byte Folded Spill
	s_nop 0
	buffer_store_dword v11, off, s[40:43], 0 offset:32 ; 4-byte Folded Spill
	s_and_saveexec_b64 s[10:11], s[36:37]
	s_cbranch_execz .LBB28_66
; %bb.65:                               ;   in Loop: Header=BB28_5 Depth=1
	v_add_co_u32_e32 v10, vcc, v163, v8
	v_addc_co_u32_e32 v11, vcc, v164, v9, vcc
	global_load_dwordx2 v[34:35], v[10:11], off
	v_add_co_u32_e32 v10, vcc, v165, v8
	v_addc_co_u32_e32 v11, vcc, v166, v9, vcc
	global_load_dwordx2 v[10:11], v[10:11], off
	s_waitcnt vmcnt(0)
	buffer_store_dword v10, off, s[40:43], 0 offset:28 ; 4-byte Folded Spill
	s_nop 0
	buffer_store_dword v11, off, s[40:43], 0 offset:32 ; 4-byte Folded Spill
.LBB28_66:                              ;   in Loop: Header=BB28_5 Depth=1
	s_or_b64 exec, exec, s[10:11]
	v_add_co_u32_e32 v10, vcc, 28, v14
	v_addc_co_u32_e32 v11, vcc, 0, v15, vcc
	v_cmp_gt_i64_e32 vcc, s[12:13], v[10:11]
	v_mov_b32_e32 v40, 0
	v_mov_b32_e32 v41, 0
	s_and_b64 s[36:37], s[2:3], vcc
	s_and_saveexec_b64 s[10:11], s[36:37]
	s_cbranch_execz .LBB28_68
; %bb.67:                               ;   in Loop: Header=BB28_5 Depth=1
	v_add_co_u32_e32 v10, vcc, v159, v8
	v_addc_co_u32_e32 v11, vcc, v160, v9, vcc
	global_load_dwordx2 v[24:25], v[10:11], off
	v_add_co_u32_e32 v10, vcc, v161, v8
	v_addc_co_u32_e32 v11, vcc, v162, v9, vcc
	global_load_dwordx2 v[40:41], v[10:11], off
.LBB28_68:                              ;   in Loop: Header=BB28_5 Depth=1
	s_or_b64 exec, exec, s[10:11]
	v_add_co_u32_e32 v10, vcc, 29, v14
	v_addc_co_u32_e32 v11, vcc, 0, v15, vcc
	v_cmp_gt_i64_e32 vcc, s[12:13], v[10:11]
	v_mov_b32_e32 v20, 0
	v_mov_b32_e32 v26, 0
	;; [unrolled: 1-line block ×6, first 2 shown]
	s_and_b64 s[36:37], s[2:3], vcc
	s_and_saveexec_b64 s[10:11], s[36:37]
	s_cbranch_execz .LBB28_70
; %bb.69:                               ;   in Loop: Header=BB28_5 Depth=1
	v_add_co_u32_e32 v10, vcc, v155, v8
	v_addc_co_u32_e32 v11, vcc, v156, v9, vcc
	global_load_dwordx2 v[26:27], v[10:11], off
	v_add_co_u32_e32 v10, vcc, v157, v8
	v_addc_co_u32_e32 v11, vcc, v158, v9, vcc
	global_load_dwordx2 v[22:23], v[10:11], off
.LBB28_70:                              ;   in Loop: Header=BB28_5 Depth=1
	s_or_b64 exec, exec, s[10:11]
	v_add_co_u32_e32 v10, vcc, 30, v14
	v_addc_co_u32_e32 v11, vcc, 0, v15, vcc
	v_cmp_gt_i64_e32 vcc, s[12:13], v[10:11]
	v_mov_b32_e32 v10, 0
	v_mov_b32_e32 v11, 0
	s_and_b64 s[36:37], s[2:3], vcc
	s_and_saveexec_b64 s[10:11], s[36:37]
	s_cbranch_execz .LBB28_72
; %bb.71:                               ;   in Loop: Header=BB28_5 Depth=1
	v_add_co_u32_e32 v10, vcc, v151, v8
	v_addc_co_u32_e32 v11, vcc, v152, v9, vcc
	global_load_dwordx2 v[20:21], v[10:11], off
	v_add_co_u32_e32 v10, vcc, v153, v8
	v_addc_co_u32_e32 v11, vcc, v154, v9, vcc
	global_load_dwordx2 v[10:11], v[10:11], off
.LBB28_72:                              ;   in Loop: Header=BB28_5 Depth=1
	s_or_b64 exec, exec, s[10:11]
	s_waitcnt vmcnt(0)
	buffer_store_dword v40, off, s[40:43], 0 offset:72 ; 4-byte Folded Spill
	s_nop 0
	buffer_store_dword v41, off, s[40:43], 0 offset:76 ; 4-byte Folded Spill
	buffer_store_dword v22, off, s[40:43], 0 offset:64 ; 4-byte Folded Spill
	s_nop 0
	buffer_store_dword v23, off, s[40:43], 0 offset:68 ; 4-byte Folded Spill
	;; [unrolled: 3-line block ×3, first 2 shown]
	v_add_co_u32_e32 v10, vcc, 31, v14
	v_addc_co_u32_e32 v11, vcc, 0, v15, vcc
	v_cmp_gt_i64_e32 vcc, s[12:13], v[10:11]
	v_mov_b32_e32 v10, 0
	v_mov_b32_e32 v22, 0
	;; [unrolled: 1-line block ×4, first 2 shown]
	s_and_b64 s[36:37], s[2:3], vcc
	buffer_store_dword v22, off, s[40:43], 0 offset:20 ; 4-byte Folded Spill
	s_nop 0
	buffer_store_dword v23, off, s[40:43], 0 offset:24 ; 4-byte Folded Spill
	s_and_saveexec_b64 s[10:11], s[36:37]
	s_cbranch_execz .LBB28_74
; %bb.73:                               ;   in Loop: Header=BB28_5 Depth=1
	v_add_co_u32_e32 v10, vcc, v147, v8
	v_addc_co_u32_e32 v11, vcc, v148, v9, vcc
	v_add_co_u32_e32 v40, vcc, v149, v8
	v_addc_co_u32_e32 v41, vcc, v150, v9, vcc
	global_load_dwordx2 v[10:11], v[10:11], off
	s_nop 0
	global_load_dwordx2 v[22:23], v[40:41], off
	s_waitcnt vmcnt(0)
	buffer_store_dword v22, off, s[40:43], 0 offset:20 ; 4-byte Folded Spill
	s_nop 0
	buffer_store_dword v23, off, s[40:43], 0 offset:24 ; 4-byte Folded Spill
.LBB28_74:                              ;   in Loop: Header=BB28_5 Depth=1
	s_or_b64 exec, exec, s[10:11]
	ds_bpermute_b32 v22, v6, v16
	ds_bpermute_b32 v23, v6, v17
	;; [unrolled: 1-line block ×4, first 2 shown]
	s_mov_b64 s[10:11], 0
	s_waitcnt lgkmcnt(2)
	v_add_f64 v[22:23], v[140:141], -v[22:23]
	buffer_load_dword v140, off, s[40:43], 0 ; 4-byte Folded Reload
	buffer_load_dword v141, off, s[40:43], 0 offset:4 ; 4-byte Folded Reload
	v_mul_f64 v[22:23], v[118:119], v[22:23]
	s_waitcnt vmcnt(0) lgkmcnt(0)
	v_fma_f64 v[22:23], v[22:23], v[40:41], v[140:141]
	buffer_load_dword v40, off, s[40:43], 0 offset:8 ; 4-byte Folded Reload
	buffer_load_dword v41, off, s[40:43], 0 offset:12 ; 4-byte Folded Reload
	ds_bpermute_b32 v140, v6, v16 offset:4
	ds_bpermute_b32 v141, v6, v17 offset:4
	s_waitcnt lgkmcnt(0)
	v_add_f64 v[140:141], v[142:143], -v[140:141]
	v_mul_f64 v[140:141], v[136:137], v[140:141]
	s_waitcnt vmcnt(0)
	v_add_f64 v[40:41], v[40:41], v[118:119]
	ds_bpermute_b32 v118, v6, v18 offset:4
	ds_bpermute_b32 v119, v6, v19 offset:4
	s_waitcnt lgkmcnt(0)
	v_fma_f64 v[22:23], v[140:141], v[118:119], v[22:23]
	v_add_f64 v[40:41], v[40:41], v[136:137]
	ds_bpermute_b32 v136, v6, v16 offset:8
	ds_bpermute_b32 v137, v6, v17 offset:8
	;; [unrolled: 1-line block ×4, first 2 shown]
	s_waitcnt lgkmcnt(2)
	v_add_f64 v[136:137], v[138:139], -v[136:137]
	v_add_f64 v[40:41], v[40:41], v[126:127]
	v_mul_f64 v[136:137], v[126:127], v[136:137]
	ds_bpermute_b32 v126, v6, v16 offset:12
	ds_bpermute_b32 v127, v6, v17 offset:12
	v_add_f64 v[40:41], v[40:41], v[132:133]
	s_waitcnt lgkmcnt(0)
	v_add_f64 v[126:127], v[134:135], -v[126:127]
	v_fma_f64 v[22:23], v[136:137], v[118:119], v[22:23]
	ds_bpermute_b32 v118, v6, v18 offset:12
	ds_bpermute_b32 v119, v6, v19 offset:12
	v_add_f64 v[40:41], v[40:41], v[120:121]
	v_mul_f64 v[126:127], v[132:133], v[126:127]
	v_add_f64 v[40:41], v[40:41], v[124:125]
	s_waitcnt lgkmcnt(0)
	v_fma_f64 v[22:23], v[126:127], v[118:119], v[22:23]
	ds_bpermute_b32 v126, v6, v16 offset:16
	ds_bpermute_b32 v127, v6, v17 offset:16
	;; [unrolled: 1-line block ×4, first 2 shown]
	v_add_f64 v[40:41], v[40:41], v[110:111]
	s_waitcnt lgkmcnt(2)
	v_add_f64 v[126:127], v[130:131], -v[126:127]
	v_add_f64 v[40:41], v[40:41], v[114:115]
	v_mul_f64 v[126:127], v[120:121], v[126:127]
	ds_bpermute_b32 v120, v6, v16 offset:20
	ds_bpermute_b32 v121, v6, v17 offset:20
	v_add_f64 v[40:41], v[40:41], v[102:103]
	s_waitcnt lgkmcnt(0)
	v_add_f64 v[120:121], v[128:129], -v[120:121]
	v_fma_f64 v[22:23], v[126:127], v[118:119], v[22:23]
	ds_bpermute_b32 v118, v6, v18 offset:20
	ds_bpermute_b32 v119, v6, v19 offset:20
	v_add_f64 v[40:41], v[40:41], v[106:107]
	v_mul_f64 v[120:121], v[124:125], v[120:121]
	v_add_f64 v[40:41], v[40:41], v[94:95]
	s_waitcnt lgkmcnt(0)
	v_fma_f64 v[22:23], v[120:121], v[118:119], v[22:23]
	ds_bpermute_b32 v120, v6, v16 offset:24
	ds_bpermute_b32 v121, v6, v17 offset:24
	;; [unrolled: 1-line block ×4, first 2 shown]
	s_waitcnt lgkmcnt(2)
	v_add_f64 v[120:121], v[122:123], -v[120:121]
	v_add_f64 v[40:41], v[40:41], v[98:99]
	v_mul_f64 v[120:121], v[110:111], v[120:121]
	ds_bpermute_b32 v110, v6, v18 offset:28
	ds_bpermute_b32 v111, v6, v19 offset:28
	v_add_f64 v[40:41], v[40:41], v[86:87]
	s_waitcnt lgkmcnt(2)
	v_fma_f64 v[22:23], v[120:121], v[118:119], v[22:23]
	ds_bpermute_b32 v118, v6, v16 offset:28
	ds_bpermute_b32 v119, v6, v17 offset:28
	v_add_f64 v[40:41], v[40:41], v[90:91]
	s_waitcnt lgkmcnt(0)
	v_add_f64 v[116:117], v[116:117], -v[118:119]
	v_add_f64 v[40:41], v[40:41], v[78:79]
	v_mul_f64 v[116:117], v[114:115], v[116:117]
	ds_bpermute_b32 v114, v6, v16 offset:32
	ds_bpermute_b32 v115, v6, v17 offset:32
	v_add_f64 v[40:41], v[40:41], v[82:83]
	s_waitcnt lgkmcnt(0)
	v_add_f64 v[112:113], v[112:113], -v[114:115]
	v_fma_f64 v[22:23], v[116:117], v[110:111], v[22:23]
	ds_bpermute_b32 v110, v6, v18 offset:32
	ds_bpermute_b32 v111, v6, v19 offset:32
	v_add_f64 v[40:41], v[40:41], v[70:71]
	v_mul_f64 v[112:113], v[102:103], v[112:113]
	ds_bpermute_b32 v102, v6, v18 offset:36
	ds_bpermute_b32 v103, v6, v19 offset:36
	v_add_f64 v[40:41], v[40:41], v[74:75]
	s_waitcnt lgkmcnt(2)
	v_fma_f64 v[22:23], v[112:113], v[110:111], v[22:23]
	ds_bpermute_b32 v110, v6, v16 offset:36
	ds_bpermute_b32 v111, v6, v17 offset:36
	v_add_f64 v[40:41], v[40:41], v[62:63]
	s_waitcnt lgkmcnt(0)
	v_add_f64 v[108:109], v[108:109], -v[110:111]
	v_mul_f64 v[108:109], v[106:107], v[108:109]
	ds_bpermute_b32 v106, v6, v16 offset:40
	ds_bpermute_b32 v107, v6, v17 offset:40
	s_waitcnt lgkmcnt(0)
	v_add_f64 v[104:105], v[104:105], -v[106:107]
	v_fma_f64 v[22:23], v[108:109], v[102:103], v[22:23]
	ds_bpermute_b32 v102, v6, v18 offset:40
	ds_bpermute_b32 v103, v6, v19 offset:40
	v_mul_f64 v[104:105], v[94:95], v[104:105]
	ds_bpermute_b32 v94, v6, v18 offset:44
	ds_bpermute_b32 v95, v6, v19 offset:44
	s_waitcnt lgkmcnt(2)
	v_fma_f64 v[22:23], v[104:105], v[102:103], v[22:23]
	ds_bpermute_b32 v102, v6, v16 offset:44
	ds_bpermute_b32 v103, v6, v17 offset:44
	s_waitcnt lgkmcnt(0)
	v_add_f64 v[100:101], v[100:101], -v[102:103]
	v_mul_f64 v[100:101], v[98:99], v[100:101]
	ds_bpermute_b32 v98, v6, v16 offset:48
	ds_bpermute_b32 v99, v6, v17 offset:48
	s_waitcnt lgkmcnt(0)
	v_add_f64 v[96:97], v[96:97], -v[98:99]
	v_fma_f64 v[22:23], v[100:101], v[94:95], v[22:23]
	ds_bpermute_b32 v94, v6, v18 offset:48
	ds_bpermute_b32 v95, v6, v19 offset:48
	v_mul_f64 v[96:97], v[86:87], v[96:97]
	ds_bpermute_b32 v86, v6, v18 offset:52
	ds_bpermute_b32 v87, v6, v19 offset:52
	s_waitcnt lgkmcnt(2)
	v_fma_f64 v[22:23], v[96:97], v[94:95], v[22:23]
	ds_bpermute_b32 v94, v6, v16 offset:52
	ds_bpermute_b32 v95, v6, v17 offset:52
	;; [unrolled: 17-line block ×5, first 2 shown]
	s_waitcnt lgkmcnt(0)
	v_add_f64 v[3:4], v[3:4], -v[70:71]
	v_mul_f64 v[3:4], v[66:67], v[3:4]
	v_fma_f64 v[3:4], v[3:4], v[62:63], v[22:23]
	ds_bpermute_b32 v62, v6, v16 offset:80
	ds_bpermute_b32 v63, v6, v17 offset:80
	v_add_f64 v[22:23], v[40:41], v[66:67]
	ds_bpermute_b32 v40, v6, v18 offset:80
	ds_bpermute_b32 v41, v6, v19 offset:80
	s_waitcnt lgkmcnt(2)
	v_add_f64 v[62:63], v[64:65], -v[62:63]
	v_add_f64 v[22:23], v[22:23], v[54:55]
	v_mul_f64 v[62:63], v[54:55], v[62:63]
	ds_bpermute_b32 v54, v6, v16 offset:84
	ds_bpermute_b32 v55, v6, v17 offset:84
	v_add_f64 v[22:23], v[22:23], v[58:59]
	s_waitcnt lgkmcnt(0)
	v_add_f64 v[32:33], v[32:33], -v[54:55]
	v_fma_f64 v[3:4], v[62:63], v[40:41], v[3:4]
	ds_bpermute_b32 v40, v6, v18 offset:84
	ds_bpermute_b32 v41, v6, v19 offset:84
	v_add_f64 v[22:23], v[22:23], v[46:47]
	v_mul_f64 v[32:33], v[58:59], v[32:33]
	s_waitcnt lgkmcnt(0)
	v_fma_f64 v[3:4], v[32:33], v[40:41], v[3:4]
	ds_bpermute_b32 v40, v6, v16 offset:88
	ds_bpermute_b32 v41, v6, v17 offset:88
	;; [unrolled: 1-line block ×4, first 2 shown]
	s_waitcnt lgkmcnt(2)
	v_add_f64 v[40:41], v[56:57], -v[40:41]
	v_mul_f64 v[40:41], v[46:47], v[40:41]
	s_waitcnt lgkmcnt(0)
	v_fma_f64 v[3:4], v[40:41], v[32:33], v[3:4]
	ds_bpermute_b32 v40, v6, v16 offset:92
	ds_bpermute_b32 v41, v6, v17 offset:92
	;; [unrolled: 1-line block ×4, first 2 shown]
	s_waitcnt lgkmcnt(2)
	v_add_f64 v[1:2], v[1:2], -v[40:41]
	v_mul_f64 v[1:2], v[50:51], v[1:2]
	s_waitcnt lgkmcnt(0)
	v_fma_f64 v[1:2], v[1:2], v[32:33], v[3:4]
	ds_bpermute_b32 v32, v6, v16 offset:96
	ds_bpermute_b32 v33, v6, v17 offset:96
	v_add_f64 v[3:4], v[22:23], v[50:51]
	ds_bpermute_b32 v22, v6, v18 offset:96
	ds_bpermute_b32 v23, v6, v19 offset:96
	s_waitcnt lgkmcnt(2)
	v_add_f64 v[32:33], v[48:49], -v[32:33]
	v_add_f64 v[3:4], v[3:4], v[38:39]
	v_mul_f64 v[32:33], v[38:39], v[32:33]
	buffer_load_dword v38, off, s[40:43], 0 offset:48 ; 4-byte Folded Reload
	buffer_load_dword v39, off, s[40:43], 0 offset:52 ; 4-byte Folded Reload
	v_add_f64 v[3:4], v[3:4], v[42:43]
	s_waitcnt lgkmcnt(0)
	v_fma_f64 v[1:2], v[32:33], v[22:23], v[1:2]
	ds_bpermute_b32 v32, v6, v16 offset:100
	ds_bpermute_b32 v33, v6, v17 offset:100
	;; [unrolled: 1-line block ×4, first 2 shown]
	v_add_f64 v[3:4], v[3:4], v[30:31]
	v_add_f64 v[3:4], v[3:4], v[34:35]
	v_add_f64 v[3:4], v[3:4], v[24:25]
	v_add_f64 v[3:4], v[3:4], v[26:27]
	s_waitcnt vmcnt(0) lgkmcnt(2)
	v_add_f64 v[32:33], v[38:39], -v[32:33]
	buffer_load_dword v38, off, s[40:43], 0 offset:36 ; 4-byte Folded Reload
	buffer_load_dword v39, off, s[40:43], 0 offset:40 ; 4-byte Folded Reload
	v_mul_f64 v[32:33], v[42:43], v[32:33]
	s_waitcnt lgkmcnt(0)
	v_fma_f64 v[1:2], v[32:33], v[22:23], v[1:2]
	ds_bpermute_b32 v32, v6, v16 offset:104
	ds_bpermute_b32 v33, v6, v17 offset:104
	;; [unrolled: 1-line block ×4, first 2 shown]
	s_waitcnt vmcnt(0) lgkmcnt(2)
	v_add_f64 v[32:33], v[38:39], -v[32:33]
	v_mul_f64 v[32:33], v[30:31], v[32:33]
	ds_bpermute_b32 v30, v6, v16 offset:108
	ds_bpermute_b32 v31, v6, v17 offset:108
	s_waitcnt lgkmcnt(2)
	v_fma_f64 v[1:2], v[32:33], v[22:23], v[1:2]
	buffer_load_dword v32, off, s[40:43], 0 offset:28 ; 4-byte Folded Reload
	buffer_load_dword v33, off, s[40:43], 0 offset:32 ; 4-byte Folded Reload
	ds_bpermute_b32 v22, v6, v18 offset:108
	ds_bpermute_b32 v23, v6, v19 offset:108
	s_waitcnt vmcnt(0) lgkmcnt(2)
	v_add_f64 v[30:31], v[32:33], -v[30:31]
	buffer_load_dword v32, off, s[40:43], 0 offset:72 ; 4-byte Folded Reload
	buffer_load_dword v33, off, s[40:43], 0 offset:76 ; 4-byte Folded Reload
	v_mul_f64 v[30:31], v[34:35], v[30:31]
	s_waitcnt lgkmcnt(0)
	v_fma_f64 v[1:2], v[30:31], v[22:23], v[1:2]
	ds_bpermute_b32 v30, v6, v16 offset:112
	ds_bpermute_b32 v31, v6, v17 offset:112
	;; [unrolled: 1-line block ×4, first 2 shown]
	s_waitcnt vmcnt(0) lgkmcnt(2)
	v_add_f64 v[30:31], v[32:33], -v[30:31]
	v_mul_f64 v[30:31], v[24:25], v[30:31]
	ds_bpermute_b32 v24, v6, v16 offset:116
	ds_bpermute_b32 v25, v6, v17 offset:116
	s_waitcnt lgkmcnt(2)
	v_fma_f64 v[1:2], v[30:31], v[22:23], v[1:2]
	buffer_load_dword v30, off, s[40:43], 0 offset:64 ; 4-byte Folded Reload
	buffer_load_dword v31, off, s[40:43], 0 offset:68 ; 4-byte Folded Reload
	ds_bpermute_b32 v22, v6, v18 offset:116
	ds_bpermute_b32 v23, v6, v19 offset:116
	s_waitcnt vmcnt(0) lgkmcnt(2)
	v_add_f64 v[24:25], v[30:31], -v[24:25]
	v_mul_f64 v[24:25], v[26:27], v[24:25]
	buffer_load_dword v26, off, s[40:43], 0 offset:56 ; 4-byte Folded Reload
	buffer_load_dword v27, off, s[40:43], 0 offset:60 ; 4-byte Folded Reload
	s_waitcnt lgkmcnt(0)
	v_fma_f64 v[1:2], v[24:25], v[22:23], v[1:2]
	ds_bpermute_b32 v24, v6, v16 offset:120
	ds_bpermute_b32 v25, v6, v17 offset:120
	;; [unrolled: 1-line block ×6, first 2 shown]
	s_waitcnt vmcnt(0) lgkmcnt(4)
	v_add_f64 v[24:25], v[26:27], -v[24:25]
	v_mul_f64 v[24:25], v[20:21], v[24:25]
	v_add_f64 v[20:21], v[3:4], v[20:21]
	ds_bpermute_b32 v3, v6, v18 offset:124
	ds_bpermute_b32 v4, v6, v19 offset:124
	s_waitcnt lgkmcnt(4)
	v_fma_f64 v[1:2], v[24:25], v[22:23], v[1:2]
.LBB28_75:                              ;   in Loop: Header=BB28_5 Depth=1
	s_and_b64 vcc, exec, s[10:11]
	s_cbranch_vccz .LBB28_4
; %bb.76:                               ;   in Loop: Header=BB28_5 Depth=1
	s_load_dword s10, s[26:27], 0x0
	buffer_load_dword v1, off, s[40:43], 0 offset:80 ; 4-byte Folded Reload
	buffer_load_dword v2, off, s[40:43], 0 offset:84 ; 4-byte Folded Reload
	v_mov_b32_e32 v120, 0
	v_mov_b32_e32 v18, 0
	s_waitcnt lgkmcnt(0)
	v_mov_b32_e32 v16, 0
	s_cmp_lt_u32 s6, s10
	s_cselect_b32 s10, 12, 18
	s_add_u32 s10, s26, s10
	s_addc_u32 s11, s27, 0
	v_mov_b32_e32 v121, 0
	v_mov_b32_e32 v19, 0
	;; [unrolled: 1-line block ×3, first 2 shown]
	s_waitcnt vmcnt(0)
	global_load_ushort v1, v2, s[10:11]
	s_nop 0
	buffer_load_dword v2, off, s[40:43], 0 offset:484 ; 4-byte Folded Reload
	buffer_load_dword v3, off, s[40:43], 0 offset:488 ; 4-byte Folded Reload
	;; [unrolled: 1-line block ×3, first 2 shown]
	s_waitcnt vmcnt(0)
	v_mad_u32_u24 v1, v2, v1, v3
	v_and_b32_e32 v1, 63, v1
	v_cmp_gt_u32_e32 vcc, 32, v1
	s_and_saveexec_b64 s[10:11], vcc
	s_cbranch_execz .LBB28_80
; %bb.77:                               ;   in Loop: Header=BB28_5 Depth=1
	v_add_co_u32_e32 v1, vcc, v14, v1
	v_addc_co_u32_e32 v2, vcc, 0, v15, vcc
	v_cmp_gt_i64_e32 vcc, s[12:13], v[1:2]
	v_mov_b32_e32 v16, 0
	v_mov_b32_e32 v18, 0
	;; [unrolled: 1-line block ×4, first 2 shown]
	s_and_saveexec_b64 s[36:37], vcc
	s_cbranch_execz .LBB28_79
; %bb.78:                               ;   in Loop: Header=BB28_5 Depth=1
	v_lshlrev_b64 v[1:2], 3, v[1:2]
	v_mov_b32_e32 v4, s23
	v_add_co_u32_e32 v3, vcc, s22, v1
	v_addc_co_u32_e32 v4, vcc, v4, v2, vcc
	v_mov_b32_e32 v10, s21
	v_add_co_u32_e32 v1, vcc, s20, v1
	v_addc_co_u32_e32 v2, vcc, v10, v2, vcc
	global_load_dwordx2 v[16:17], v[1:2], off
	global_load_dwordx2 v[18:19], v[3:4], off
.LBB28_79:                              ;   in Loop: Header=BB28_5 Depth=1
	s_or_b64 exec, exec, s[36:37]
.LBB28_80:                              ;   in Loop: Header=BB28_5 Depth=1
	s_or_b64 exec, exec, s[10:11]
	v_mov_b32_e32 v134, 0
	v_mov_b32_e32 v135, 0
	s_and_saveexec_b64 s[10:11], s[2:3]
	s_cbranch_execz .LBB28_82
; %bb.81:                               ;   in Loop: Header=BB28_5 Depth=1
	buffer_load_dword v1, off, s[40:43], 0 offset:16 ; 4-byte Folded Reload
	s_waitcnt vmcnt(0)
	v_add_co_u32_e32 v1, vcc, v1, v8
	v_addc_co_u32_e32 v2, vcc, v144, v9, vcc
	global_load_dwordx2 v[120:121], v[1:2], off
	v_add_co_u32_e32 v1, vcc, v145, v8
	v_addc_co_u32_e32 v2, vcc, v146, v9, vcc
	global_load_dwordx2 v[134:135], v[1:2], off
.LBB28_82:                              ;   in Loop: Header=BB28_5 Depth=1
	s_or_b64 exec, exec, s[10:11]
	v_mov_b32_e32 v122, 0
	v_mov_b32_e32 v132, 0
	v_mov_b32_e32 v136, 0
	v_mov_b32_e32 v123, 0
	v_mov_b32_e32 v133, 0
	v_mov_b32_e32 v137, 0
	s_and_saveexec_b64 s[10:11], s[2:3]
	s_cbranch_execz .LBB28_84
; %bb.83:                               ;   in Loop: Header=BB28_5 Depth=1
	v_add_co_u32_e32 v1, vcc, v60, v8
	v_addc_co_u32_e32 v2, vcc, v61, v9, vcc
	global_load_dwordx2 v[132:133], v[1:2], off
	v_add_co_u32_e32 v1, vcc, v68, v8
	v_addc_co_u32_e32 v2, vcc, v69, v9, vcc
	global_load_dwordx2 v[136:137], v[1:2], off
.LBB28_84:                              ;   in Loop: Header=BB28_5 Depth=1
	s_or_b64 exec, exec, s[10:11]
	v_mov_b32_e32 v130, 0
	v_mov_b32_e32 v131, 0
	s_and_saveexec_b64 s[10:11], s[2:3]
	s_cbranch_execz .LBB28_86
; %bb.85:                               ;   in Loop: Header=BB28_5 Depth=1
	v_add_co_u32_e32 v1, vcc, v44, v8
	v_addc_co_u32_e32 v2, vcc, v45, v9, vcc
	global_load_dwordx2 v[122:123], v[1:2], off
	v_add_co_u32_e32 v1, vcc, v52, v8
	v_addc_co_u32_e32 v2, vcc, v53, v9, vcc
	global_load_dwordx2 v[130:131], v[1:2], off
.LBB28_86:                              ;   in Loop: Header=BB28_5 Depth=1
	s_or_b64 exec, exec, s[10:11]
	v_mov_b32_e32 v114, 0
	v_mov_b32_e32 v126, 0
	v_mov_b32_e32 v128, 0
	v_mov_b32_e32 v115, 0
	v_mov_b32_e32 v127, 0
	v_mov_b32_e32 v129, 0
	s_and_saveexec_b64 s[10:11], s[2:3]
	s_cbranch_execz .LBB28_88
; %bb.87:                               ;   in Loop: Header=BB28_5 Depth=1
	v_add_co_u32_e32 v1, vcc, v28, v8
	v_addc_co_u32_e32 v2, vcc, v29, v9, vcc
	global_load_dwordx2 v[126:127], v[1:2], off
	v_add_co_u32_e32 v1, vcc, v36, v8
	v_addc_co_u32_e32 v2, vcc, v37, v9, vcc
	global_load_dwordx2 v[128:129], v[1:2], off
.LBB28_88:                              ;   in Loop: Header=BB28_5 Depth=1
	s_or_b64 exec, exec, s[10:11]
	v_mov_b32_e32 v124, 0
	v_mov_b32_e32 v125, 0
	s_and_saveexec_b64 s[10:11], s[2:3]
	s_cbranch_execz .LBB28_90
; %bb.89:                               ;   in Loop: Header=BB28_5 Depth=1
	v_add_co_u32_e32 v1, vcc, v255, v8
	v_addc_co_u32_e32 v2, vcc, v7, v9, vcc
	global_load_dwordx2 v[114:115], v[1:2], off
	v_add_co_u32_e32 v1, vcc, v12, v8
	v_addc_co_u32_e32 v2, vcc, v13, v9, vcc
	global_load_dwordx2 v[124:125], v[1:2], off
.LBB28_90:                              ;   in Loop: Header=BB28_5 Depth=1
	;; [unrolled: 30-line block ×3, first 2 shown]
	s_or_b64 exec, exec, s[10:11]
	v_mov_b32_e32 v1, 0
	v_mov_b32_e32 v108, 0
	;; [unrolled: 1-line block ×6, first 2 shown]
	s_and_saveexec_b64 s[10:11], s[2:3]
	s_cbranch_execz .LBB28_96
; %bb.95:                               ;   in Loop: Header=BB28_5 Depth=1
	v_add_co_u32_e32 v3, vcc, v243, v8
	v_addc_co_u32_e32 v4, vcc, v244, v9, vcc
	global_load_dwordx2 v[108:109], v[3:4], off
	v_add_co_u32_e32 v3, vcc, v245, v8
	v_addc_co_u32_e32 v4, vcc, v246, v9, vcc
	global_load_dwordx2 v[110:111], v[3:4], off
.LBB28_96:                              ;   in Loop: Header=BB28_5 Depth=1
	s_or_b64 exec, exec, s[10:11]
	v_mov_b32_e32 v3, 0
	v_mov_b32_e32 v4, 0
	s_and_saveexec_b64 s[10:11], s[2:3]
	s_cbranch_execz .LBB28_98
; %bb.97:                               ;   in Loop: Header=BB28_5 Depth=1
	v_add_co_u32_e32 v1, vcc, v239, v8
	v_addc_co_u32_e32 v2, vcc, v240, v9, vcc
	v_add_co_u32_e32 v3, vcc, v241, v8
	v_addc_co_u32_e32 v4, vcc, v242, v9, vcc
	global_load_dwordx2 v[1:2], v[1:2], off
	s_nop 0
	global_load_dwordx2 v[3:4], v[3:4], off
.LBB28_98:                              ;   in Loop: Header=BB28_5 Depth=1
	s_or_b64 exec, exec, s[10:11]
	v_mov_b32_e32 v94, 0
	v_mov_b32_e32 v102, 0
	;; [unrolled: 1-line block ×6, first 2 shown]
	s_and_saveexec_b64 s[10:11], s[2:3]
	s_cbranch_execz .LBB28_100
; %bb.99:                               ;   in Loop: Header=BB28_5 Depth=1
	v_add_co_u32_e32 v10, vcc, v235, v8
	v_addc_co_u32_e32 v11, vcc, v236, v9, vcc
	global_load_dwordx2 v[102:103], v[10:11], off
	v_add_co_u32_e32 v10, vcc, v237, v8
	v_addc_co_u32_e32 v11, vcc, v238, v9, vcc
	global_load_dwordx2 v[104:105], v[10:11], off
.LBB28_100:                             ;   in Loop: Header=BB28_5 Depth=1
	s_or_b64 exec, exec, s[10:11]
	v_mov_b32_e32 v100, 0
	v_mov_b32_e32 v101, 0
	s_and_saveexec_b64 s[10:11], s[2:3]
	s_cbranch_execz .LBB28_102
; %bb.101:                              ;   in Loop: Header=BB28_5 Depth=1
	v_add_co_u32_e32 v10, vcc, v231, v8
	v_addc_co_u32_e32 v11, vcc, v232, v9, vcc
	global_load_dwordx2 v[94:95], v[10:11], off
	v_add_co_u32_e32 v10, vcc, v233, v8
	v_addc_co_u32_e32 v11, vcc, v234, v9, vcc
	global_load_dwordx2 v[100:101], v[10:11], off
.LBB28_102:                             ;   in Loop: Header=BB28_5 Depth=1
	s_or_b64 exec, exec, s[10:11]
	v_mov_b32_e32 v86, 0
	v_mov_b32_e32 v96, 0
	v_mov_b32_e32 v98, 0
	v_mov_b32_e32 v87, 0
	v_mov_b32_e32 v97, 0
	v_mov_b32_e32 v99, 0
	s_and_saveexec_b64 s[10:11], s[2:3]
	s_cbranch_execz .LBB28_104
; %bb.103:                              ;   in Loop: Header=BB28_5 Depth=1
	v_add_co_u32_e32 v10, vcc, v227, v8
	v_addc_co_u32_e32 v11, vcc, v228, v9, vcc
	global_load_dwordx2 v[96:97], v[10:11], off
	v_add_co_u32_e32 v10, vcc, v229, v8
	v_addc_co_u32_e32 v11, vcc, v230, v9, vcc
	global_load_dwordx2 v[98:99], v[10:11], off
.LBB28_104:                             ;   in Loop: Header=BB28_5 Depth=1
	s_or_b64 exec, exec, s[10:11]
	v_mov_b32_e32 v92, 0
	v_mov_b32_e32 v93, 0
	s_and_saveexec_b64 s[10:11], s[2:3]
	s_cbranch_execz .LBB28_106
; %bb.105:                              ;   in Loop: Header=BB28_5 Depth=1
	v_add_co_u32_e32 v10, vcc, v223, v8
	v_addc_co_u32_e32 v11, vcc, v224, v9, vcc
	global_load_dwordx2 v[86:87], v[10:11], off
	v_add_co_u32_e32 v10, vcc, v225, v8
	v_addc_co_u32_e32 v11, vcc, v226, v9, vcc
	global_load_dwordx2 v[92:93], v[10:11], off
.LBB28_106:                             ;   in Loop: Header=BB28_5 Depth=1
	s_or_b64 exec, exec, s[10:11]
	v_mov_b32_e32 v78, 0
	v_mov_b32_e32 v88, 0
	v_mov_b32_e32 v90, 0
	v_mov_b32_e32 v79, 0
	v_mov_b32_e32 v89, 0
	v_mov_b32_e32 v91, 0
	s_and_saveexec_b64 s[10:11], s[2:3]
	s_cbranch_execz .LBB28_108
; %bb.107:                              ;   in Loop: Header=BB28_5 Depth=1
	v_add_co_u32_e32 v10, vcc, v219, v8
	v_addc_co_u32_e32 v11, vcc, v220, v9, vcc
	global_load_dwordx2 v[88:89], v[10:11], off
	v_add_co_u32_e32 v10, vcc, v221, v8
	v_addc_co_u32_e32 v11, vcc, v222, v9, vcc
	global_load_dwordx2 v[90:91], v[10:11], off
.LBB28_108:                             ;   in Loop: Header=BB28_5 Depth=1
	;; [unrolled: 30-line block ×8, first 2 shown]
	s_or_b64 exec, exec, s[10:11]
	v_mov_b32_e32 v10, 0
	v_mov_b32_e32 v11, 0
	buffer_store_dword v10, off, s[40:43], 0 offset:36 ; 4-byte Folded Spill
	s_nop 0
	buffer_store_dword v11, off, s[40:43], 0 offset:40 ; 4-byte Folded Spill
	s_and_saveexec_b64 s[10:11], s[2:3]
	s_cbranch_execz .LBB28_134
; %bb.133:                              ;   in Loop: Header=BB28_5 Depth=1
	v_add_co_u32_e32 v10, vcc, v167, v8
	v_addc_co_u32_e32 v11, vcc, v168, v9, vcc
	global_load_dwordx2 v[30:31], v[10:11], off
	v_add_co_u32_e32 v10, vcc, v169, v8
	v_addc_co_u32_e32 v11, vcc, v170, v9, vcc
	global_load_dwordx2 v[10:11], v[10:11], off
	s_waitcnt vmcnt(0)
	buffer_store_dword v10, off, s[40:43], 0 offset:36 ; 4-byte Folded Spill
	s_nop 0
	buffer_store_dword v11, off, s[40:43], 0 offset:40 ; 4-byte Folded Spill
.LBB28_134:                             ;   in Loop: Header=BB28_5 Depth=1
	s_or_b64 exec, exec, s[10:11]
	v_mov_b32_e32 v22, 0
	v_mov_b32_e32 v32, 0
	;; [unrolled: 1-line block ×6, first 2 shown]
	buffer_store_dword v10, off, s[40:43], 0 offset:28 ; 4-byte Folded Spill
	s_nop 0
	buffer_store_dword v11, off, s[40:43], 0 offset:32 ; 4-byte Folded Spill
	s_and_saveexec_b64 s[10:11], s[2:3]
	s_cbranch_execz .LBB28_136
; %bb.135:                              ;   in Loop: Header=BB28_5 Depth=1
	v_add_co_u32_e32 v10, vcc, v163, v8
	v_addc_co_u32_e32 v11, vcc, v164, v9, vcc
	global_load_dwordx2 v[32:33], v[10:11], off
	v_add_co_u32_e32 v10, vcc, v165, v8
	v_addc_co_u32_e32 v11, vcc, v166, v9, vcc
	global_load_dwordx2 v[10:11], v[10:11], off
	s_waitcnt vmcnt(0)
	buffer_store_dword v10, off, s[40:43], 0 offset:28 ; 4-byte Folded Spill
	s_nop 0
	buffer_store_dword v11, off, s[40:43], 0 offset:32 ; 4-byte Folded Spill
.LBB28_136:                             ;   in Loop: Header=BB28_5 Depth=1
	s_or_b64 exec, exec, s[10:11]
	v_mov_b32_e32 v140, 0
	v_mov_b32_e32 v141, 0
	s_and_saveexec_b64 s[10:11], s[2:3]
	s_cbranch_execz .LBB28_138
; %bb.137:                              ;   in Loop: Header=BB28_5 Depth=1
	v_add_co_u32_e32 v10, vcc, v159, v8
	v_addc_co_u32_e32 v11, vcc, v160, v9, vcc
	global_load_dwordx2 v[22:23], v[10:11], off
	v_add_co_u32_e32 v10, vcc, v161, v8
	v_addc_co_u32_e32 v11, vcc, v162, v9, vcc
	global_load_dwordx2 v[140:141], v[10:11], off
.LBB28_138:                             ;   in Loop: Header=BB28_5 Depth=1
	s_or_b64 exec, exec, s[10:11]
	v_mov_b32_e32 v14, 0
	v_mov_b32_e32 v24, 0
	;; [unrolled: 1-line block ×6, first 2 shown]
	s_and_saveexec_b64 s[10:11], s[2:3]
	s_cbranch_execz .LBB28_140
; %bb.139:                              ;   in Loop: Header=BB28_5 Depth=1
	v_add_co_u32_e32 v10, vcc, v155, v8
	v_addc_co_u32_e32 v11, vcc, v156, v9, vcc
	global_load_dwordx2 v[24:25], v[10:11], off
	v_add_co_u32_e32 v10, vcc, v157, v8
	v_addc_co_u32_e32 v11, vcc, v158, v9, vcc
	global_load_dwordx2 v[34:35], v[10:11], off
.LBB28_140:                             ;   in Loop: Header=BB28_5 Depth=1
	s_or_b64 exec, exec, s[10:11]
	v_mov_b32_e32 v10, 0
	v_mov_b32_e32 v11, 0
	s_and_saveexec_b64 s[10:11], s[2:3]
	s_cbranch_execz .LBB28_142
; %bb.141:                              ;   in Loop: Header=BB28_5 Depth=1
	v_add_co_u32_e32 v10, vcc, v151, v8
	v_addc_co_u32_e32 v11, vcc, v152, v9, vcc
	global_load_dwordx2 v[14:15], v[10:11], off
	v_add_co_u32_e32 v10, vcc, v153, v8
	v_addc_co_u32_e32 v11, vcc, v154, v9, vcc
	global_load_dwordx2 v[10:11], v[10:11], off
.LBB28_142:                             ;   in Loop: Header=BB28_5 Depth=1
	s_or_b64 exec, exec, s[10:11]
	s_waitcnt vmcnt(0)
	buffer_store_dword v140, off, s[40:43], 0 offset:64 ; 4-byte Folded Spill
	s_nop 0
	buffer_store_dword v141, off, s[40:43], 0 offset:68 ; 4-byte Folded Spill
	buffer_store_dword v34, off, s[40:43], 0 offset:56 ; 4-byte Folded Spill
	s_nop 0
	buffer_store_dword v35, off, s[40:43], 0 offset:60 ; 4-byte Folded Spill
	;; [unrolled: 3-line block ×3, first 2 shown]
	v_mov_b32_e32 v10, 0
	v_mov_b32_e32 v34, 0
	;; [unrolled: 1-line block ×4, first 2 shown]
	buffer_store_dword v34, off, s[40:43], 0 offset:20 ; 4-byte Folded Spill
	s_nop 0
	buffer_store_dword v35, off, s[40:43], 0 offset:24 ; 4-byte Folded Spill
	s_and_saveexec_b64 s[10:11], s[2:3]
	s_cbranch_execz .LBB28_3
; %bb.143:                              ;   in Loop: Header=BB28_5 Depth=1
	v_add_co_u32_e32 v10, vcc, v147, v8
	v_addc_co_u32_e32 v11, vcc, v148, v9, vcc
	v_add_co_u32_e32 v34, vcc, v149, v8
	v_addc_co_u32_e32 v35, vcc, v150, v9, vcc
	global_load_dwordx2 v[10:11], v[10:11], off
	s_nop 0
	global_load_dwordx2 v[34:35], v[34:35], off
	s_waitcnt vmcnt(0)
	buffer_store_dword v34, off, s[40:43], 0 offset:20 ; 4-byte Folded Spill
	s_nop 0
	buffer_store_dword v35, off, s[40:43], 0 offset:24 ; 4-byte Folded Spill
	s_branch .LBB28_3
.LBB28_144:
                                        ; implicit-def: $vgpr0_vgpr1
                                        ; kill: killed $vgpr0_vgpr1
                                        ; implicit-def: $vgpr0_vgpr1
                                        ; kill: killed $vgpr0_vgpr1
	s_branch .LBB28_146
.LBB28_145:
	s_cbranch_execnz .LBB28_225
.LBB28_146:
	v_mov_b32_e32 v0, 0
	v_mov_b32_e32 v1, 0
	buffer_store_dword v0, off, s[40:43], 0 offset:8 ; 4-byte Folded Spill
	s_nop 0
	buffer_store_dword v1, off, s[40:43], 0 offset:12 ; 4-byte Folded Spill
	v_mov_b32_e32 v0, 0
	s_and_b64 vcc, exec, s[0:1]
	v_mov_b32_e32 v1, 0
	buffer_store_dword v0, off, s[40:43], 0 ; 4-byte Folded Spill
	s_nop 0
	buffer_store_dword v1, off, s[40:43], 0 offset:4 ; 4-byte Folded Spill
	s_cbranch_vccnz .LBB28_225
; %bb.147:
	buffer_load_dword v0, off, s[40:43], 0 offset:484 ; 4-byte Folded Reload
	buffer_load_dword v1, off, s[40:43], 0 offset:488 ; 4-byte Folded Reload
	s_add_u32 s2, s4, 64
	s_addc_u32 s3, s5, 0
	v_mov_b32_e32 v128, s17
	v_mov_b32_e32 v130, s19
	;; [unrolled: 1-line block ×5, first 2 shown]
	s_waitcnt vmcnt(1)
	v_mov_b32_e32 v7, v0
	v_lshlrev_b32_e32 v136, 5, v7
	v_add_co_u32_e32 v0, vcc, s24, v136
	v_addc_co_u32_e64 v4, s[0:1], 0, 0, vcc
	s_waitcnt vmcnt(0)
	v_mul_lo_u32 v1, s15, v0
	v_mul_lo_u32 v5, s14, v4
	v_mad_u64_u32 v[2:3], s[0:1], s14, v0, 0
	s_lshl_b64 s[0:1], s[24:25], 3
	v_add3_u32 v3, v3, v5, v1
	v_lshlrev_b64 v[5:6], 3, v[2:3]
	v_mov_b32_e32 v1, s17
	v_add_co_u32_e32 v8, vcc, s16, v5
	v_addc_co_u32_e32 v1, vcc, v1, v6, vcc
	buffer_store_dword v1, off, s[40:43], 0 offset:20 ; 4-byte Folded Spill
	v_mov_b32_e32 v1, s19
	v_add_co_u32_e32 v5, vcc, s18, v5
	v_addc_co_u32_e32 v1, vcc, v1, v6, vcc
	buffer_store_dword v1, off, s[40:43], 0 offset:36 ; 4-byte Folded Spill
	v_lshlrev_b32_e32 v1, 8, v7
	buffer_store_dword v5, off, s[40:43], 0 offset:28 ; 4-byte Folded Spill
	v_mov_b32_e32 v6, s1
	v_add_co_u32_e32 v5, vcc, s0, v1
	v_addc_co_u32_e32 v6, vcc, 0, v6, vcc
	v_add_co_u32_e32 v1, vcc, 8, v5
	v_addc_co_u32_e32 v9, vcc, 0, v6, vcc
	v_add_co_u32_e32 v16, vcc, 16, v5
	buffer_store_dword v8, off, s[40:43], 0 offset:16 ; 4-byte Folded Spill
	v_mad_u64_u32 v[7:8], s[0:1], s14, v1, v[127:128]
	v_mul_lo_u32 v14, s14, v9
	v_mul_lo_u32 v15, s15, v1
	v_mad_u64_u32 v[9:10], s[0:1], s14, v1, v[129:130]
	v_addc_co_u32_e32 v1, vcc, 0, v6, vcc
	v_mul_lo_u32 v21, s14, v1
	v_add_co_u32_e32 v1, vcc, s14, v2
	v_addc_co_u32_e32 v2, vcc, v3, v13, vcc
	v_add_co_u32_e32 v3, vcc, 24, v5
	v_mul_lo_u32 v22, s15, v16
	v_mad_u64_u32 v[11:12], s[0:1], s14, v16, v[127:128]
	v_add3_u32 v8, v15, v8, v14
	v_add3_u32 v10, v15, v10, v14
	v_mad_u64_u32 v[13:14], s[0:1], s14, v16, v[129:130]
	v_addc_co_u32_e32 v15, vcc, 0, v6, vcc
	v_mul_lo_u32 v23, s14, v15
	v_mul_lo_u32 v24, s15, v3
	v_mad_u64_u32 v[15:16], s[0:1], s14, v3, v[127:128]
	v_mad_u64_u32 v[17:18], s[0:1], s14, v3, v[129:130]
	v_add_co_u32_e32 v3, vcc, 32, v5
	v_addc_co_u32_e32 v19, vcc, 0, v6, vcc
	v_add3_u32 v12, v22, v12, v21
	v_mul_lo_u32 v29, s14, v19
	v_mul_lo_u32 v30, s15, v3
	v_mad_u64_u32 v[19:20], s[0:1], s14, v3, v[127:128]
	v_add3_u32 v14, v22, v14, v21
	v_mad_u64_u32 v[21:22], s[0:1], s14, v3, v[129:130]
	v_add_co_u32_e32 v3, vcc, 40, v5
	v_add3_u32 v16, v24, v16, v23
	v_add3_u32 v18, v24, v18, v23
	v_addc_co_u32_e32 v23, vcc, 0, v6, vcc
	v_mul_lo_u32 v31, s14, v23
	v_mul_lo_u32 v32, s15, v3
	v_mad_u64_u32 v[23:24], s[0:1], s14, v3, v[127:128]
	v_mad_u64_u32 v[25:26], s[0:1], s14, v3, v[129:130]
	v_add_co_u32_e32 v3, vcc, 48, v5
	v_addc_co_u32_e32 v27, vcc, 0, v6, vcc
	v_add3_u32 v20, v30, v20, v29
	v_mul_lo_u32 v37, s14, v27
	v_mul_lo_u32 v38, s15, v3
	v_mad_u64_u32 v[27:28], s[0:1], s14, v3, v[127:128]
	v_add3_u32 v22, v30, v22, v29
	v_mad_u64_u32 v[29:30], s[0:1], s14, v3, v[129:130]
	v_add_co_u32_e32 v3, vcc, 56, v5
	v_add3_u32 v24, v32, v24, v31
	v_add3_u32 v26, v32, v26, v31
	v_addc_co_u32_e32 v31, vcc, 0, v6, vcc
	v_mul_lo_u32 v39, s14, v31
	v_mul_lo_u32 v40, s15, v3
	v_mad_u64_u32 v[31:32], s[0:1], s14, v3, v[127:128]
	v_mad_u64_u32 v[33:34], s[0:1], s14, v3, v[129:130]
	v_add_co_u32_e32 v3, vcc, 64, v5
	v_addc_co_u32_e32 v35, vcc, 0, v6, vcc
	v_add3_u32 v28, v38, v28, v37
	v_mul_lo_u32 v45, s14, v35
	v_mad_u64_u32 v[35:36], s[0:1], s14, v3, v[127:128]
	v_add3_u32 v30, v38, v30, v37
	v_mad_u64_u32 v[37:38], s[0:1], s14, v3, v[129:130]
	s_movk_i32 s0, 0x48
	v_mul_lo_u32 v46, s15, v3
	v_add_co_u32_e32 v3, vcc, s0, v5
	v_add3_u32 v32, v40, v32, v39
	v_add3_u32 v34, v40, v34, v39
	v_addc_co_u32_e32 v39, vcc, 0, v6, vcc
	v_mul_lo_u32 v47, s14, v39
	v_mad_u64_u32 v[39:40], s[0:1], s14, v3, v[127:128]
	v_mad_u64_u32 v[41:42], s[0:1], s14, v3, v[129:130]
	s_movk_i32 s0, 0x50
	v_mul_lo_u32 v48, s15, v3
	v_add_co_u32_e32 v3, vcc, s0, v5
	v_addc_co_u32_e32 v43, vcc, 0, v6, vcc
	v_add3_u32 v36, v46, v36, v45
	v_mul_lo_u32 v53, s14, v43
	v_mad_u64_u32 v[43:44], s[0:1], s14, v3, v[127:128]
	v_add3_u32 v38, v46, v38, v45
	v_mad_u64_u32 v[45:46], s[0:1], s14, v3, v[129:130]
	s_movk_i32 s0, 0x58
	v_mul_lo_u32 v54, s15, v3
	v_add_co_u32_e32 v3, vcc, s0, v5
	v_add3_u32 v40, v48, v40, v47
	v_add3_u32 v42, v48, v42, v47
	v_addc_co_u32_e32 v47, vcc, 0, v6, vcc
	v_mul_lo_u32 v55, s14, v47
	v_mad_u64_u32 v[47:48], s[0:1], s14, v3, v[127:128]
	v_mad_u64_u32 v[49:50], s[0:1], s14, v3, v[129:130]
	s_movk_i32 s0, 0x60
	v_mul_lo_u32 v56, s15, v3
	v_add_co_u32_e32 v3, vcc, s0, v5
	v_addc_co_u32_e32 v51, vcc, 0, v6, vcc
	v_add3_u32 v44, v54, v44, v53
	v_mul_lo_u32 v61, s14, v51
	v_mad_u64_u32 v[51:52], s[0:1], s14, v3, v[127:128]
	v_add3_u32 v46, v54, v46, v53
	v_mad_u64_u32 v[53:54], s[0:1], s14, v3, v[129:130]
	s_movk_i32 s0, 0x68
	v_mul_lo_u32 v62, s15, v3
	v_add_co_u32_e32 v3, vcc, s0, v5
	v_add3_u32 v48, v56, v48, v55
	v_add3_u32 v50, v56, v50, v55
	v_addc_co_u32_e32 v55, vcc, 0, v6, vcc
	v_mul_lo_u32 v63, s14, v55
	v_mad_u64_u32 v[55:56], s[0:1], s14, v3, v[127:128]
	v_mad_u64_u32 v[57:58], s[0:1], s14, v3, v[129:130]
	s_movk_i32 s0, 0x70
	v_mul_lo_u32 v64, s15, v3
	v_add_co_u32_e32 v3, vcc, s0, v5
	v_addc_co_u32_e32 v59, vcc, 0, v6, vcc
	v_add3_u32 v52, v62, v52, v61
	v_mul_lo_u32 v69, s14, v59
	v_mad_u64_u32 v[59:60], s[0:1], s14, v3, v[127:128]
	v_add3_u32 v54, v62, v54, v61
	v_mad_u64_u32 v[61:62], s[0:1], s14, v3, v[129:130]
	s_movk_i32 s0, 0x78
	v_mul_lo_u32 v70, s15, v3
	v_add_co_u32_e32 v3, vcc, s0, v5
	v_add3_u32 v56, v64, v56, v63
	v_add3_u32 v58, v64, v58, v63
	v_addc_co_u32_e32 v63, vcc, 0, v6, vcc
	v_mul_lo_u32 v71, s14, v63
	v_mad_u64_u32 v[63:64], s[0:1], s14, v3, v[127:128]
	v_mad_u64_u32 v[65:66], s[0:1], s14, v3, v[129:130]
	s_movk_i32 s0, 0x80
	v_mul_lo_u32 v72, s15, v3
	v_add_co_u32_e32 v3, vcc, s0, v5
	v_addc_co_u32_e32 v67, vcc, 0, v6, vcc
	v_add3_u32 v60, v70, v60, v69
	v_mul_lo_u32 v77, s14, v67
	v_mad_u64_u32 v[67:68], s[0:1], s14, v3, v[127:128]
	v_add3_u32 v62, v70, v62, v69
	v_mad_u64_u32 v[69:70], s[0:1], s14, v3, v[129:130]
	s_movk_i32 s0, 0x88
	v_mul_lo_u32 v78, s15, v3
	v_add_co_u32_e32 v3, vcc, s0, v5
	v_add3_u32 v64, v72, v64, v71
	v_add3_u32 v66, v72, v66, v71
	v_addc_co_u32_e32 v71, vcc, 0, v6, vcc
	v_mul_lo_u32 v79, s14, v71
	v_mad_u64_u32 v[71:72], s[0:1], s14, v3, v[127:128]
	v_mad_u64_u32 v[73:74], s[0:1], s14, v3, v[129:130]
	s_movk_i32 s0, 0x90
	v_mul_lo_u32 v80, s15, v3
	v_add_co_u32_e32 v3, vcc, s0, v5
	v_addc_co_u32_e32 v75, vcc, 0, v6, vcc
	v_add3_u32 v68, v78, v68, v77
	v_mul_lo_u32 v85, s14, v75
	v_mad_u64_u32 v[75:76], s[0:1], s14, v3, v[127:128]
	v_add3_u32 v70, v78, v70, v77
	v_mad_u64_u32 v[77:78], s[0:1], s14, v3, v[129:130]
	s_movk_i32 s0, 0x98
	v_mul_lo_u32 v86, s15, v3
	v_add_co_u32_e32 v3, vcc, s0, v5
	v_add3_u32 v72, v80, v72, v79
	v_add3_u32 v74, v80, v74, v79
	v_addc_co_u32_e32 v79, vcc, 0, v6, vcc
	v_mul_lo_u32 v87, s14, v79
	v_mad_u64_u32 v[79:80], s[0:1], s14, v3, v[127:128]
	v_mad_u64_u32 v[81:82], s[0:1], s14, v3, v[129:130]
	s_movk_i32 s0, 0xa0
	v_mul_lo_u32 v88, s15, v3
	v_add_co_u32_e32 v3, vcc, s0, v5
	v_addc_co_u32_e32 v83, vcc, 0, v6, vcc
	v_add3_u32 v76, v86, v76, v85
	v_mul_lo_u32 v93, s14, v83
	v_mad_u64_u32 v[83:84], s[0:1], s14, v3, v[127:128]
	v_add3_u32 v78, v86, v78, v85
	v_mad_u64_u32 v[85:86], s[0:1], s14, v3, v[129:130]
	s_movk_i32 s0, 0xa8
	v_mul_lo_u32 v94, s15, v3
	v_add_co_u32_e32 v3, vcc, s0, v5
	v_add3_u32 v80, v88, v80, v87
	v_add3_u32 v82, v88, v82, v87
	v_addc_co_u32_e32 v87, vcc, 0, v6, vcc
	v_mul_lo_u32 v95, s14, v87
	v_mad_u64_u32 v[87:88], s[0:1], s14, v3, v[127:128]
	v_mad_u64_u32 v[89:90], s[0:1], s14, v3, v[129:130]
	s_movk_i32 s0, 0xb0
	v_mul_lo_u32 v96, s15, v3
	v_add_co_u32_e32 v3, vcc, s0, v5
	v_addc_co_u32_e32 v91, vcc, 0, v6, vcc
	v_add3_u32 v84, v94, v84, v93
	v_mul_lo_u32 v101, s14, v91
	v_mad_u64_u32 v[91:92], s[0:1], s14, v3, v[127:128]
	v_add3_u32 v86, v94, v86, v93
	v_mad_u64_u32 v[93:94], s[0:1], s14, v3, v[129:130]
	s_movk_i32 s0, 0xb8
	v_mul_lo_u32 v102, s15, v3
	v_add_co_u32_e32 v3, vcc, s0, v5
	v_add3_u32 v88, v96, v88, v95
	v_add3_u32 v90, v96, v90, v95
	v_addc_co_u32_e32 v95, vcc, 0, v6, vcc
	v_mul_lo_u32 v103, s14, v95
	v_mad_u64_u32 v[95:96], s[0:1], s14, v3, v[127:128]
	v_mad_u64_u32 v[97:98], s[0:1], s14, v3, v[129:130]
	s_movk_i32 s0, 0xc0
	v_mul_lo_u32 v104, s15, v3
	v_add_co_u32_e32 v3, vcc, s0, v5
	v_addc_co_u32_e32 v99, vcc, 0, v6, vcc
	v_add3_u32 v92, v102, v92, v101
	v_mul_lo_u32 v109, s14, v99
	v_mad_u64_u32 v[99:100], s[0:1], s14, v3, v[127:128]
	v_add3_u32 v94, v102, v94, v101
	v_mad_u64_u32 v[101:102], s[0:1], s14, v3, v[129:130]
	s_movk_i32 s0, 0xc8
	v_mul_lo_u32 v110, s15, v3
	v_add_co_u32_e32 v3, vcc, s0, v5
	v_add3_u32 v96, v104, v96, v103
	v_add3_u32 v98, v104, v98, v103
	v_addc_co_u32_e32 v103, vcc, 0, v6, vcc
	v_mul_lo_u32 v111, s14, v103
	v_mad_u64_u32 v[103:104], s[0:1], s14, v3, v[127:128]
	v_mad_u64_u32 v[105:106], s[0:1], s14, v3, v[129:130]
	s_movk_i32 s0, 0xd0
	v_mul_lo_u32 v112, s15, v3
	v_add_co_u32_e32 v3, vcc, s0, v5
	v_addc_co_u32_e32 v107, vcc, 0, v6, vcc
	v_add3_u32 v100, v110, v100, v109
	v_mul_lo_u32 v117, s14, v107
	v_mad_u64_u32 v[107:108], s[0:1], s14, v3, v[127:128]
	v_add3_u32 v102, v110, v102, v109
	v_mad_u64_u32 v[109:110], s[0:1], s14, v3, v[129:130]
	s_movk_i32 s0, 0xd8
	v_mul_lo_u32 v118, s15, v3
	v_add_co_u32_e32 v3, vcc, s0, v5
	v_add3_u32 v104, v112, v104, v111
	v_add3_u32 v106, v112, v106, v111
	v_addc_co_u32_e32 v111, vcc, 0, v6, vcc
	v_mul_lo_u32 v119, s14, v111
	v_mad_u64_u32 v[111:112], s[0:1], s14, v3, v[127:128]
	v_mad_u64_u32 v[113:114], s[0:1], s14, v3, v[129:130]
	s_movk_i32 s0, 0xe0
	v_mul_lo_u32 v120, s15, v3
	v_add_co_u32_e32 v3, vcc, s0, v5
	v_addc_co_u32_e32 v115, vcc, 0, v6, vcc
	v_add3_u32 v108, v118, v108, v117
	v_mul_lo_u32 v125, s14, v115
	v_mad_u64_u32 v[115:116], s[0:1], s14, v3, v[127:128]
	v_add3_u32 v110, v118, v110, v117
	v_mad_u64_u32 v[117:118], s[0:1], s14, v3, v[129:130]
	s_movk_i32 s0, 0xe8
	v_mul_lo_u32 v126, s15, v3
	v_add_co_u32_e32 v3, vcc, s0, v5
	v_add3_u32 v112, v120, v112, v119
	v_add3_u32 v114, v120, v114, v119
	v_addc_co_u32_e32 v119, vcc, 0, v6, vcc
	v_mul_lo_u32 v131, s14, v119
	v_mad_u64_u32 v[119:120], s[0:1], s14, v3, v[127:128]
	v_mad_u64_u32 v[121:122], s[0:1], s14, v3, v[129:130]
	s_movk_i32 s0, 0xf0
	v_mul_lo_u32 v132, s15, v3
	v_add_co_u32_e32 v3, vcc, s0, v5
	v_addc_co_u32_e32 v123, vcc, 0, v6, vcc
	v_add3_u32 v116, v126, v116, v125
	v_mul_lo_u32 v133, s14, v123
	v_mad_u64_u32 v[123:124], s[0:1], s14, v3, v[127:128]
	v_add3_u32 v118, v126, v118, v125
	v_mad_u64_u32 v[125:126], s[0:1], s14, v3, v[129:130]
	s_movk_i32 s0, 0xf8
	v_mul_lo_u32 v134, s15, v3
	v_add_co_u32_e32 v3, vcc, s0, v5
	v_addc_co_u32_e32 v5, vcc, 0, v6, vcc
	v_add3_u32 v120, v132, v120, v131
	v_add3_u32 v122, v132, v122, v131
	v_mul_lo_u32 v131, s14, v5
	v_add_co_u32_e32 v5, vcc, 31, v0
	v_addc_co_u32_e32 v6, vcc, 0, v4, vcc
	v_mul_lo_u32 v132, s14, v6
	v_mul_lo_u32 v135, s15, v5
	v_mad_u64_u32 v[5:6], s[0:1], s14, v5, 0
	v_mad_u64_u32 v[127:128], s[0:1], s14, v3, v[127:128]
	;; [unrolled: 1-line block ×3, first 2 shown]
	v_mul_lo_u32 v3, s15, v3
	v_add3_u32 v6, v6, v132, v135
	v_lshlrev_b64 v[5:6], 3, v[5:6]
	v_add3_u32 v124, v134, v124, v133
	v_add3_u32 v128, v3, v128, v131
	;; [unrolled: 1-line block ×3, first 2 shown]
	v_mov_b32_e32 v3, s17
	v_add_co_u32_e32 v131, vcc, s16, v5
	v_addc_co_u32_e32 v3, vcc, v3, v6, vcc
	buffer_store_dword v131, off, s[40:43], 0 offset:48 ; 4-byte Folded Spill
	v_add_co_u32_e32 v131, vcc, 30, v0
	v_addc_co_u32_e32 v132, vcc, 0, v4, vcc
	v_add3_u32 v126, v134, v126, v133
	v_mul_lo_u32 v133, s14, v132
	v_mul_lo_u32 v134, s15, v131
	v_mad_u64_u32 v[131:132], s[0:1], s14, v131, 0
	buffer_store_dword v3, off, s[40:43], 0 offset:56 ; 4-byte Folded Spill
	v_mov_b32_e32 v3, s19
	v_add_co_u32_e32 v5, vcc, s18, v5
	v_add3_u32 v132, v132, v133, v134
	buffer_store_dword v5, off, s[40:43], 0 offset:64 ; 4-byte Folded Spill
	v_addc_co_u32_e32 v3, vcc, v3, v6, vcc
	v_lshlrev_b64 v[5:6], 3, v[131:132]
	buffer_store_dword v3, off, s[40:43], 0 offset:72 ; 4-byte Folded Spill
	v_mov_b32_e32 v3, s17
	v_add_co_u32_e32 v131, vcc, s16, v5
	v_addc_co_u32_e32 v3, vcc, v3, v6, vcc
	buffer_store_dword v131, off, s[40:43], 0 offset:80 ; 4-byte Folded Spill
	v_add_co_u32_e32 v131, vcc, 29, v0
	v_addc_co_u32_e32 v132, vcc, 0, v4, vcc
	v_mul_lo_u32 v133, s14, v132
	v_mul_lo_u32 v134, s15, v131
	v_mad_u64_u32 v[131:132], s[0:1], s14, v131, 0
	buffer_store_dword v3, off, s[40:43], 0 offset:88 ; 4-byte Folded Spill
	v_mov_b32_e32 v3, s19
	v_add_co_u32_e32 v5, vcc, s18, v5
	v_add3_u32 v132, v132, v133, v134
	buffer_store_dword v5, off, s[40:43], 0 offset:92 ; 4-byte Folded Spill
	v_addc_co_u32_e32 v3, vcc, v3, v6, vcc
	v_lshlrev_b64 v[5:6], 3, v[131:132]
	buffer_store_dword v3, off, s[40:43], 0 offset:96 ; 4-byte Folded Spill
	v_mov_b32_e32 v3, s17
	v_add_co_u32_e32 v131, vcc, s16, v5
	v_addc_co_u32_e32 v3, vcc, v3, v6, vcc
	buffer_store_dword v131, off, s[40:43], 0 offset:100 ; 4-byte Folded Spill
	v_add_co_u32_e32 v131, vcc, 28, v0
	v_addc_co_u32_e32 v132, vcc, 0, v4, vcc
	v_mul_lo_u32 v133, s14, v132
	v_mul_lo_u32 v134, s15, v131
	v_mad_u64_u32 v[131:132], s[0:1], s14, v131, 0
	buffer_store_dword v3, off, s[40:43], 0 offset:104 ; 4-byte Folded Spill
	v_mov_b32_e32 v3, s19
	v_add_co_u32_e32 v5, vcc, s18, v5
	v_add3_u32 v132, v132, v133, v134
	buffer_store_dword v5, off, s[40:43], 0 offset:108 ; 4-byte Folded Spill
	v_addc_co_u32_e32 v3, vcc, v3, v6, vcc
	v_lshlrev_b64 v[5:6], 3, v[131:132]
	buffer_store_dword v3, off, s[40:43], 0 offset:112 ; 4-byte Folded Spill
	v_mov_b32_e32 v3, s17
	v_add_co_u32_e32 v131, vcc, s16, v5
	v_addc_co_u32_e32 v3, vcc, v3, v6, vcc
	buffer_store_dword v131, off, s[40:43], 0 offset:116 ; 4-byte Folded Spill
	v_add_co_u32_e32 v131, vcc, 27, v0
	v_addc_co_u32_e32 v132, vcc, 0, v4, vcc
	v_mul_lo_u32 v133, s14, v132
	v_mul_lo_u32 v134, s15, v131
	v_mad_u64_u32 v[131:132], s[0:1], s14, v131, 0
	buffer_store_dword v3, off, s[40:43], 0 offset:120 ; 4-byte Folded Spill
	v_mov_b32_e32 v3, s19
	v_add_co_u32_e32 v5, vcc, s18, v5
	v_add3_u32 v132, v132, v133, v134
	buffer_store_dword v5, off, s[40:43], 0 offset:124 ; 4-byte Folded Spill
	v_addc_co_u32_e32 v3, vcc, v3, v6, vcc
	v_lshlrev_b64 v[5:6], 3, v[131:132]
	buffer_store_dword v3, off, s[40:43], 0 offset:128 ; 4-byte Folded Spill
	v_mov_b32_e32 v3, s17
	v_add_co_u32_e32 v131, vcc, s16, v5
	v_addc_co_u32_e32 v3, vcc, v3, v6, vcc
	buffer_store_dword v131, off, s[40:43], 0 offset:132 ; 4-byte Folded Spill
	v_add_co_u32_e32 v131, vcc, 26, v0
	v_addc_co_u32_e32 v132, vcc, 0, v4, vcc
	v_mul_lo_u32 v133, s14, v132
	v_mul_lo_u32 v134, s15, v131
	v_mad_u64_u32 v[131:132], s[0:1], s14, v131, 0
	buffer_store_dword v3, off, s[40:43], 0 offset:136 ; 4-byte Folded Spill
	v_mov_b32_e32 v3, s19
	v_add_co_u32_e32 v5, vcc, s18, v5
	v_add3_u32 v132, v132, v133, v134
	buffer_store_dword v5, off, s[40:43], 0 offset:140 ; 4-byte Folded Spill
	v_addc_co_u32_e32 v3, vcc, v3, v6, vcc
	v_lshlrev_b64 v[5:6], 3, v[131:132]
	buffer_store_dword v3, off, s[40:43], 0 offset:144 ; 4-byte Folded Spill
	v_mov_b32_e32 v3, s17
	v_add_co_u32_e32 v131, vcc, s16, v5
	v_addc_co_u32_e32 v3, vcc, v3, v6, vcc
	buffer_store_dword v131, off, s[40:43], 0 offset:148 ; 4-byte Folded Spill
	v_add_co_u32_e32 v131, vcc, 25, v0
	v_addc_co_u32_e32 v132, vcc, 0, v4, vcc
	v_mul_lo_u32 v133, s14, v132
	v_mul_lo_u32 v134, s15, v131
	v_mad_u64_u32 v[131:132], s[0:1], s14, v131, 0
	buffer_store_dword v3, off, s[40:43], 0 offset:152 ; 4-byte Folded Spill
	v_mov_b32_e32 v3, s19
	v_add_co_u32_e32 v5, vcc, s18, v5
	v_add3_u32 v132, v132, v133, v134
	buffer_store_dword v5, off, s[40:43], 0 offset:156 ; 4-byte Folded Spill
	v_addc_co_u32_e32 v3, vcc, v3, v6, vcc
	v_lshlrev_b64 v[5:6], 3, v[131:132]
	buffer_store_dword v3, off, s[40:43], 0 offset:160 ; 4-byte Folded Spill
	v_mov_b32_e32 v3, s17
	v_add_co_u32_e32 v131, vcc, s16, v5
	v_addc_co_u32_e32 v3, vcc, v3, v6, vcc
	buffer_store_dword v131, off, s[40:43], 0 offset:164 ; 4-byte Folded Spill
	v_add_co_u32_e32 v131, vcc, 24, v0
	v_addc_co_u32_e32 v132, vcc, 0, v4, vcc
	v_mul_lo_u32 v133, s14, v132
	v_mul_lo_u32 v134, s15, v131
	v_mad_u64_u32 v[131:132], s[0:1], s14, v131, 0
	buffer_store_dword v3, off, s[40:43], 0 offset:168 ; 4-byte Folded Spill
	v_mov_b32_e32 v3, s19
	v_add_co_u32_e32 v5, vcc, s18, v5
	v_add3_u32 v132, v132, v133, v134
	buffer_store_dword v5, off, s[40:43], 0 offset:172 ; 4-byte Folded Spill
	v_addc_co_u32_e32 v3, vcc, v3, v6, vcc
	v_lshlrev_b64 v[5:6], 3, v[131:132]
	buffer_store_dword v3, off, s[40:43], 0 offset:176 ; 4-byte Folded Spill
	v_mov_b32_e32 v3, s17
	v_add_co_u32_e32 v131, vcc, s16, v5
	v_addc_co_u32_e32 v3, vcc, v3, v6, vcc
	buffer_store_dword v131, off, s[40:43], 0 offset:180 ; 4-byte Folded Spill
	v_add_co_u32_e32 v131, vcc, 23, v0
	v_addc_co_u32_e32 v132, vcc, 0, v4, vcc
	v_mul_lo_u32 v133, s14, v132
	v_mul_lo_u32 v134, s15, v131
	v_mad_u64_u32 v[131:132], s[0:1], s14, v131, 0
	buffer_store_dword v3, off, s[40:43], 0 offset:184 ; 4-byte Folded Spill
	v_mov_b32_e32 v3, s19
	v_add_co_u32_e32 v5, vcc, s18, v5
	v_add3_u32 v132, v132, v133, v134
	buffer_store_dword v5, off, s[40:43], 0 offset:188 ; 4-byte Folded Spill
	v_addc_co_u32_e32 v3, vcc, v3, v6, vcc
	v_lshlrev_b64 v[5:6], 3, v[131:132]
	buffer_store_dword v3, off, s[40:43], 0 offset:192 ; 4-byte Folded Spill
	v_mov_b32_e32 v3, s17
	v_add_co_u32_e32 v131, vcc, s16, v5
	v_addc_co_u32_e32 v3, vcc, v3, v6, vcc
	buffer_store_dword v131, off, s[40:43], 0 offset:196 ; 4-byte Folded Spill
	v_add_co_u32_e32 v131, vcc, 22, v0
	v_addc_co_u32_e32 v132, vcc, 0, v4, vcc
	v_mul_lo_u32 v133, s14, v132
	v_mul_lo_u32 v134, s15, v131
	v_mad_u64_u32 v[131:132], s[0:1], s14, v131, 0
	buffer_store_dword v3, off, s[40:43], 0 offset:200 ; 4-byte Folded Spill
	v_mov_b32_e32 v3, s19
	v_add_co_u32_e32 v5, vcc, s18, v5
	v_add3_u32 v132, v132, v133, v134
	buffer_store_dword v5, off, s[40:43], 0 offset:204 ; 4-byte Folded Spill
	v_addc_co_u32_e32 v3, vcc, v3, v6, vcc
	v_lshlrev_b64 v[5:6], 3, v[131:132]
	buffer_store_dword v3, off, s[40:43], 0 offset:208 ; 4-byte Folded Spill
	v_mov_b32_e32 v3, s17
	v_add_co_u32_e32 v131, vcc, s16, v5
	v_addc_co_u32_e32 v3, vcc, v3, v6, vcc
	buffer_store_dword v131, off, s[40:43], 0 offset:212 ; 4-byte Folded Spill
	v_add_co_u32_e32 v131, vcc, 21, v0
	v_addc_co_u32_e32 v132, vcc, 0, v4, vcc
	v_mul_lo_u32 v133, s14, v132
	v_mul_lo_u32 v134, s15, v131
	v_mad_u64_u32 v[131:132], s[0:1], s14, v131, 0
	buffer_store_dword v3, off, s[40:43], 0 offset:216 ; 4-byte Folded Spill
	v_mov_b32_e32 v3, s19
	v_add_co_u32_e32 v5, vcc, s18, v5
	v_add3_u32 v132, v132, v133, v134
	buffer_store_dword v5, off, s[40:43], 0 offset:220 ; 4-byte Folded Spill
	v_addc_co_u32_e32 v3, vcc, v3, v6, vcc
	v_lshlrev_b64 v[5:6], 3, v[131:132]
	buffer_store_dword v3, off, s[40:43], 0 offset:224 ; 4-byte Folded Spill
	v_mov_b32_e32 v3, s17
	v_add_co_u32_e32 v131, vcc, s16, v5
	v_addc_co_u32_e32 v3, vcc, v3, v6, vcc
	buffer_store_dword v131, off, s[40:43], 0 offset:228 ; 4-byte Folded Spill
	v_add_co_u32_e32 v131, vcc, 20, v0
	v_addc_co_u32_e32 v132, vcc, 0, v4, vcc
	v_mul_lo_u32 v133, s14, v132
	v_mul_lo_u32 v134, s15, v131
	v_mad_u64_u32 v[131:132], s[0:1], s14, v131, 0
	buffer_store_dword v3, off, s[40:43], 0 offset:232 ; 4-byte Folded Spill
	v_mov_b32_e32 v3, s19
	v_add_co_u32_e32 v5, vcc, s18, v5
	v_add3_u32 v132, v132, v133, v134
	buffer_store_dword v5, off, s[40:43], 0 offset:236 ; 4-byte Folded Spill
	v_addc_co_u32_e32 v3, vcc, v3, v6, vcc
	v_lshlrev_b64 v[5:6], 3, v[131:132]
	buffer_store_dword v3, off, s[40:43], 0 offset:240 ; 4-byte Folded Spill
	v_mov_b32_e32 v3, s17
	v_add_co_u32_e32 v131, vcc, s16, v5
	v_addc_co_u32_e32 v3, vcc, v3, v6, vcc
	buffer_store_dword v131, off, s[40:43], 0 offset:244 ; 4-byte Folded Spill
	v_add_co_u32_e32 v131, vcc, 19, v0
	v_addc_co_u32_e32 v132, vcc, 0, v4, vcc
	v_mul_lo_u32 v133, s14, v132
	v_mul_lo_u32 v134, s15, v131
	v_mad_u64_u32 v[131:132], s[0:1], s14, v131, 0
	buffer_store_dword v3, off, s[40:43], 0 offset:248 ; 4-byte Folded Spill
	v_mov_b32_e32 v3, s19
	v_add_co_u32_e32 v5, vcc, s18, v5
	v_add3_u32 v132, v132, v133, v134
	buffer_store_dword v5, off, s[40:43], 0 offset:252 ; 4-byte Folded Spill
	v_addc_co_u32_e32 v3, vcc, v3, v6, vcc
	v_lshlrev_b64 v[5:6], 3, v[131:132]
	buffer_store_dword v3, off, s[40:43], 0 offset:256 ; 4-byte Folded Spill
	v_mov_b32_e32 v3, s17
	v_add_co_u32_e32 v131, vcc, s16, v5
	v_addc_co_u32_e32 v3, vcc, v3, v6, vcc
	buffer_store_dword v131, off, s[40:43], 0 offset:260 ; 4-byte Folded Spill
	v_add_co_u32_e32 v131, vcc, 18, v0
	v_addc_co_u32_e32 v132, vcc, 0, v4, vcc
	v_mul_lo_u32 v133, s14, v132
	v_mul_lo_u32 v134, s15, v131
	v_mad_u64_u32 v[131:132], s[0:1], s14, v131, 0
	buffer_store_dword v3, off, s[40:43], 0 offset:264 ; 4-byte Folded Spill
	v_mov_b32_e32 v3, s19
	v_add_co_u32_e32 v5, vcc, s18, v5
	v_add3_u32 v132, v132, v133, v134
	buffer_store_dword v5, off, s[40:43], 0 offset:268 ; 4-byte Folded Spill
	v_addc_co_u32_e32 v3, vcc, v3, v6, vcc
	v_lshlrev_b64 v[5:6], 3, v[131:132]
	buffer_store_dword v3, off, s[40:43], 0 offset:272 ; 4-byte Folded Spill
	v_mov_b32_e32 v3, s17
	v_add_co_u32_e32 v131, vcc, s16, v5
	v_addc_co_u32_e32 v3, vcc, v3, v6, vcc
	buffer_store_dword v131, off, s[40:43], 0 offset:276 ; 4-byte Folded Spill
	v_add_co_u32_e32 v131, vcc, 17, v0
	v_addc_co_u32_e32 v132, vcc, 0, v4, vcc
	v_mul_lo_u32 v133, s14, v132
	v_mul_lo_u32 v134, s15, v131
	v_mad_u64_u32 v[131:132], s[0:1], s14, v131, 0
	buffer_store_dword v3, off, s[40:43], 0 offset:280 ; 4-byte Folded Spill
	v_mov_b32_e32 v3, s19
	v_add_co_u32_e32 v5, vcc, s18, v5
	v_add3_u32 v132, v132, v133, v134
	buffer_store_dword v5, off, s[40:43], 0 offset:284 ; 4-byte Folded Spill
	v_addc_co_u32_e32 v3, vcc, v3, v6, vcc
	v_lshlrev_b64 v[5:6], 3, v[131:132]
	buffer_store_dword v3, off, s[40:43], 0 offset:288 ; 4-byte Folded Spill
	v_mov_b32_e32 v3, s17
	v_add_co_u32_e32 v131, vcc, s16, v5
	v_addc_co_u32_e32 v3, vcc, v3, v6, vcc
	buffer_store_dword v131, off, s[40:43], 0 offset:292 ; 4-byte Folded Spill
	v_add_co_u32_e32 v131, vcc, 16, v0
	v_addc_co_u32_e32 v132, vcc, 0, v4, vcc
	v_mul_lo_u32 v133, s14, v132
	v_mul_lo_u32 v134, s15, v131
	v_mad_u64_u32 v[131:132], s[0:1], s14, v131, 0
	buffer_store_dword v3, off, s[40:43], 0 offset:296 ; 4-byte Folded Spill
	v_mov_b32_e32 v3, s19
	v_add_co_u32_e32 v5, vcc, s18, v5
	v_add3_u32 v132, v132, v133, v134
	buffer_store_dword v5, off, s[40:43], 0 offset:300 ; 4-byte Folded Spill
	v_addc_co_u32_e32 v3, vcc, v3, v6, vcc
	v_lshlrev_b64 v[5:6], 3, v[131:132]
	buffer_store_dword v3, off, s[40:43], 0 offset:304 ; 4-byte Folded Spill
	v_mov_b32_e32 v3, s17
	v_add_co_u32_e32 v131, vcc, s16, v5
	v_addc_co_u32_e32 v3, vcc, v3, v6, vcc
	buffer_store_dword v131, off, s[40:43], 0 offset:308 ; 4-byte Folded Spill
	v_add_co_u32_e32 v131, vcc, 15, v0
	v_addc_co_u32_e32 v132, vcc, 0, v4, vcc
	v_mul_lo_u32 v133, s14, v132
	v_mul_lo_u32 v134, s15, v131
	v_mad_u64_u32 v[131:132], s[0:1], s14, v131, 0
	buffer_store_dword v3, off, s[40:43], 0 offset:312 ; 4-byte Folded Spill
	v_mov_b32_e32 v3, s19
	v_add_co_u32_e32 v5, vcc, s18, v5
	v_add3_u32 v132, v132, v133, v134
	buffer_store_dword v5, off, s[40:43], 0 offset:316 ; 4-byte Folded Spill
	v_addc_co_u32_e32 v3, vcc, v3, v6, vcc
	v_lshlrev_b64 v[5:6], 3, v[131:132]
	buffer_store_dword v3, off, s[40:43], 0 offset:320 ; 4-byte Folded Spill
	v_mov_b32_e32 v3, s17
	v_add_co_u32_e32 v131, vcc, s16, v5
	v_addc_co_u32_e32 v3, vcc, v3, v6, vcc
	buffer_store_dword v131, off, s[40:43], 0 offset:324 ; 4-byte Folded Spill
	v_add_co_u32_e32 v131, vcc, 14, v0
	v_addc_co_u32_e32 v132, vcc, 0, v4, vcc
	v_mul_lo_u32 v133, s14, v132
	v_mul_lo_u32 v134, s15, v131
	v_mad_u64_u32 v[131:132], s[0:1], s14, v131, 0
	buffer_store_dword v3, off, s[40:43], 0 offset:328 ; 4-byte Folded Spill
	v_mov_b32_e32 v3, s19
	v_add_co_u32_e32 v5, vcc, s18, v5
	v_add3_u32 v132, v132, v133, v134
	buffer_store_dword v5, off, s[40:43], 0 offset:332 ; 4-byte Folded Spill
	v_addc_co_u32_e32 v3, vcc, v3, v6, vcc
	v_lshlrev_b64 v[5:6], 3, v[131:132]
	buffer_store_dword v3, off, s[40:43], 0 offset:336 ; 4-byte Folded Spill
	v_mov_b32_e32 v3, s17
	v_add_co_u32_e32 v131, vcc, s16, v5
	v_addc_co_u32_e32 v3, vcc, v3, v6, vcc
	buffer_store_dword v131, off, s[40:43], 0 offset:340 ; 4-byte Folded Spill
	v_add_co_u32_e32 v131, vcc, 13, v0
	v_addc_co_u32_e32 v132, vcc, 0, v4, vcc
	v_mul_lo_u32 v133, s14, v132
	v_mul_lo_u32 v134, s15, v131
	v_mad_u64_u32 v[131:132], s[0:1], s14, v131, 0
	buffer_store_dword v3, off, s[40:43], 0 offset:344 ; 4-byte Folded Spill
	v_mov_b32_e32 v3, s19
	v_add_co_u32_e32 v5, vcc, s18, v5
	v_add3_u32 v132, v132, v133, v134
	buffer_store_dword v5, off, s[40:43], 0 offset:348 ; 4-byte Folded Spill
	v_addc_co_u32_e32 v3, vcc, v3, v6, vcc
	v_lshlrev_b64 v[5:6], 3, v[131:132]
	buffer_store_dword v3, off, s[40:43], 0 offset:352 ; 4-byte Folded Spill
	v_mov_b32_e32 v3, s17
	v_add_co_u32_e32 v131, vcc, s16, v5
	v_addc_co_u32_e32 v3, vcc, v3, v6, vcc
	buffer_store_dword v131, off, s[40:43], 0 offset:356 ; 4-byte Folded Spill
	v_add_co_u32_e32 v131, vcc, 12, v0
	v_addc_co_u32_e32 v132, vcc, 0, v4, vcc
	v_mul_lo_u32 v133, s14, v132
	v_mul_lo_u32 v134, s15, v131
	v_mad_u64_u32 v[131:132], s[0:1], s14, v131, 0
	buffer_store_dword v3, off, s[40:43], 0 offset:360 ; 4-byte Folded Spill
	v_mov_b32_e32 v3, s19
	v_add_co_u32_e32 v5, vcc, s18, v5
	v_add3_u32 v132, v132, v133, v134
	buffer_store_dword v5, off, s[40:43], 0 offset:364 ; 4-byte Folded Spill
	v_addc_co_u32_e32 v3, vcc, v3, v6, vcc
	v_lshlrev_b64 v[5:6], 3, v[131:132]
	buffer_store_dword v3, off, s[40:43], 0 offset:368 ; 4-byte Folded Spill
	v_mov_b32_e32 v3, s17
	v_add_co_u32_e32 v131, vcc, s16, v5
	v_addc_co_u32_e32 v3, vcc, v3, v6, vcc
	buffer_store_dword v131, off, s[40:43], 0 offset:372 ; 4-byte Folded Spill
	v_add_co_u32_e32 v131, vcc, 11, v0
	v_addc_co_u32_e32 v132, vcc, 0, v4, vcc
	v_mul_lo_u32 v133, s14, v132
	v_mul_lo_u32 v134, s15, v131
	v_mad_u64_u32 v[131:132], s[0:1], s14, v131, 0
	buffer_store_dword v3, off, s[40:43], 0 offset:376 ; 4-byte Folded Spill
	v_mov_b32_e32 v3, s19
	v_add_co_u32_e32 v5, vcc, s18, v5
	v_add3_u32 v132, v132, v133, v134
	buffer_store_dword v5, off, s[40:43], 0 offset:380 ; 4-byte Folded Spill
	v_addc_co_u32_e32 v3, vcc, v3, v6, vcc
	v_lshlrev_b64 v[5:6], 3, v[131:132]
	buffer_store_dword v3, off, s[40:43], 0 offset:384 ; 4-byte Folded Spill
	v_mov_b32_e32 v3, s17
	v_add_co_u32_e32 v131, vcc, s16, v5
	v_addc_co_u32_e32 v3, vcc, v3, v6, vcc
	buffer_store_dword v131, off, s[40:43], 0 offset:388 ; 4-byte Folded Spill
	v_add_co_u32_e32 v131, vcc, 10, v0
	v_addc_co_u32_e32 v132, vcc, 0, v4, vcc
	v_mul_lo_u32 v133, s14, v132
	v_mul_lo_u32 v134, s15, v131
	v_mad_u64_u32 v[131:132], s[0:1], s14, v131, 0
	buffer_store_dword v3, off, s[40:43], 0 offset:392 ; 4-byte Folded Spill
	v_mov_b32_e32 v3, s19
	v_add_co_u32_e32 v5, vcc, s18, v5
	v_add3_u32 v132, v132, v133, v134
	buffer_store_dword v5, off, s[40:43], 0 offset:396 ; 4-byte Folded Spill
	v_addc_co_u32_e32 v3, vcc, v3, v6, vcc
	v_lshlrev_b64 v[5:6], 3, v[131:132]
	buffer_store_dword v3, off, s[40:43], 0 offset:400 ; 4-byte Folded Spill
	v_mov_b32_e32 v3, s17
	v_add_co_u32_e32 v131, vcc, s16, v5
	v_addc_co_u32_e32 v3, vcc, v3, v6, vcc
	buffer_store_dword v131, off, s[40:43], 0 offset:404 ; 4-byte Folded Spill
	v_add_co_u32_e32 v131, vcc, 9, v0
	v_addc_co_u32_e32 v132, vcc, 0, v4, vcc
	v_mul_lo_u32 v133, s14, v132
	v_mul_lo_u32 v134, s15, v131
	v_mad_u64_u32 v[131:132], s[0:1], s14, v131, 0
	buffer_store_dword v3, off, s[40:43], 0 offset:408 ; 4-byte Folded Spill
	v_mov_b32_e32 v3, s19
	v_add_co_u32_e32 v5, vcc, s18, v5
	v_add3_u32 v132, v132, v133, v134
	buffer_store_dword v5, off, s[40:43], 0 offset:412 ; 4-byte Folded Spill
	v_addc_co_u32_e32 v3, vcc, v3, v6, vcc
	v_lshlrev_b64 v[5:6], 3, v[131:132]
	buffer_store_dword v3, off, s[40:43], 0 offset:416 ; 4-byte Folded Spill
	v_mov_b32_e32 v3, s17
	v_add_co_u32_e32 v131, vcc, s16, v5
	v_addc_co_u32_e32 v3, vcc, v3, v6, vcc
	buffer_store_dword v131, off, s[40:43], 0 offset:420 ; 4-byte Folded Spill
	v_add_co_u32_e32 v131, vcc, 8, v0
	v_addc_co_u32_e32 v132, vcc, 0, v4, vcc
	v_mul_lo_u32 v133, s14, v132
	v_mul_lo_u32 v134, s15, v131
	v_mad_u64_u32 v[131:132], s[0:1], s14, v131, 0
	buffer_store_dword v3, off, s[40:43], 0 offset:424 ; 4-byte Folded Spill
	v_mov_b32_e32 v3, s19
	v_add_co_u32_e32 v5, vcc, s18, v5
	v_add3_u32 v132, v132, v133, v134
	buffer_store_dword v5, off, s[40:43], 0 offset:428 ; 4-byte Folded Spill
	v_addc_co_u32_e32 v3, vcc, v3, v6, vcc
	v_lshlrev_b64 v[5:6], 3, v[131:132]
	buffer_store_dword v3, off, s[40:43], 0 offset:432 ; 4-byte Folded Spill
	v_mov_b32_e32 v3, s17
	v_add_co_u32_e32 v131, vcc, s16, v5
	v_addc_co_u32_e32 v3, vcc, v3, v6, vcc
	buffer_store_dword v131, off, s[40:43], 0 offset:436 ; 4-byte Folded Spill
	v_add_co_u32_e32 v131, vcc, 7, v0
	v_addc_co_u32_e32 v132, vcc, 0, v4, vcc
	v_mul_lo_u32 v133, s14, v132
	v_mul_lo_u32 v134, s15, v131
	v_mad_u64_u32 v[131:132], s[0:1], s14, v131, 0
	buffer_store_dword v3, off, s[40:43], 0 offset:440 ; 4-byte Folded Spill
	v_mov_b32_e32 v3, s19
	v_add_co_u32_e32 v5, vcc, s18, v5
	v_add3_u32 v132, v132, v133, v134
	buffer_store_dword v5, off, s[40:43], 0 offset:444 ; 4-byte Folded Spill
	v_addc_co_u32_e32 v3, vcc, v3, v6, vcc
	v_lshlrev_b64 v[5:6], 3, v[131:132]
	buffer_store_dword v3, off, s[40:43], 0 offset:448 ; 4-byte Folded Spill
	v_mov_b32_e32 v3, s17
	v_add_co_u32_e32 v131, vcc, s16, v5
	v_addc_co_u32_e32 v3, vcc, v3, v6, vcc
	buffer_store_dword v131, off, s[40:43], 0 offset:452 ; 4-byte Folded Spill
	v_add_co_u32_e32 v131, vcc, 6, v0
	v_addc_co_u32_e32 v132, vcc, 0, v4, vcc
	v_mul_lo_u32 v133, s14, v132
	v_mul_lo_u32 v134, s15, v131
	v_mad_u64_u32 v[131:132], s[0:1], s14, v131, 0
	buffer_store_dword v3, off, s[40:43], 0 offset:456 ; 4-byte Folded Spill
	v_mov_b32_e32 v3, s19
	v_add_co_u32_e32 v5, vcc, s18, v5
	v_add3_u32 v132, v132, v133, v134
	buffer_store_dword v5, off, s[40:43], 0 offset:460 ; 4-byte Folded Spill
	v_addc_co_u32_e32 v3, vcc, v3, v6, vcc
	v_lshlrev_b64 v[5:6], 3, v[131:132]
	buffer_store_dword v3, off, s[40:43], 0 offset:464 ; 4-byte Folded Spill
	v_mov_b32_e32 v3, s17
	v_add_co_u32_e32 v131, vcc, s16, v5
	v_addc_co_u32_e32 v3, vcc, v3, v6, vcc
	buffer_store_dword v131, off, s[40:43], 0 offset:468 ; 4-byte Folded Spill
	v_add_co_u32_e32 v131, vcc, 5, v0
	v_addc_co_u32_e32 v132, vcc, 0, v4, vcc
	v_mul_lo_u32 v133, s14, v132
	v_mul_lo_u32 v134, s15, v131
	v_mad_u64_u32 v[131:132], s[0:1], s14, v131, 0
	buffer_store_dword v3, off, s[40:43], 0 offset:472 ; 4-byte Folded Spill
	v_mov_b32_e32 v3, s19
	v_add_co_u32_e32 v5, vcc, s18, v5
	v_add3_u32 v132, v132, v133, v134
	buffer_store_dword v5, off, s[40:43], 0 offset:476 ; 4-byte Folded Spill
	v_addc_co_u32_e32 v3, vcc, v3, v6, vcc
	v_lshlrev_b64 v[5:6], 3, v[131:132]
	buffer_store_dword v3, off, s[40:43], 0 offset:480 ; 4-byte Folded Spill
	v_mov_b32_e32 v3, s17
	v_add_co_u32_e32 v165, vcc, s16, v5
	v_addc_co_u32_e32 v166, vcc, v3, v6, vcc
	v_add_co_u32_e32 v131, vcc, 4, v0
	v_addc_co_u32_e32 v132, vcc, 0, v4, vcc
	v_mul_lo_u32 v133, s14, v132
	v_mul_lo_u32 v134, s15, v131
	v_mad_u64_u32 v[131:132], s[0:1], s14, v131, 0
	v_mov_b32_e32 v3, s19
	v_add_co_u32_e32 v189, vcc, s18, v5
	v_add3_u32 v132, v132, v133, v134
	v_addc_co_u32_e32 v190, vcc, v3, v6, vcc
	v_lshlrev_b64 v[5:6], 3, v[131:132]
	v_mov_b32_e32 v3, s17
	v_add_co_u32_e32 v169, vcc, s16, v5
	v_addc_co_u32_e32 v170, vcc, v3, v6, vcc
	v_mov_b32_e32 v3, s19
	v_add_co_u32_e32 v173, vcc, s18, v5
	v_addc_co_u32_e32 v174, vcc, v3, v6, vcc
	v_add_co_u32_e32 v3, vcc, 3, v0
	v_addc_co_u32_e32 v5, vcc, 0, v4, vcc
	v_mul_lo_u32 v131, s14, v5
	v_mul_lo_u32 v132, s15, v3
	v_mad_u64_u32 v[5:6], s[0:1], s14, v3, 0
	v_mov_b32_e32 v3, s17
	v_add3_u32 v6, v6, v131, v132
	v_lshlrev_b64 v[5:6], 3, v[5:6]
	v_add_co_u32_e32 v177, vcc, s16, v5
	v_addc_co_u32_e32 v178, vcc, v3, v6, vcc
	v_mov_b32_e32 v3, s19
	v_add_co_u32_e32 v193, vcc, s18, v5
	v_addc_co_u32_e32 v194, vcc, v3, v6, vcc
	v_add_co_u32_e32 v0, vcc, 2, v0
	v_addc_co_u32_e32 v3, vcc, 0, v4, vcc
	v_mul_lo_u32 v5, s14, v3
	v_mul_lo_u32 v6, s15, v0
	v_mad_u64_u32 v[3:4], s[0:1], s14, v0, 0
	v_mov_b32_e32 v0, s17
	s_load_dword s0, s[4:5], 0x44
	v_add3_u32 v4, v4, v5, v6
	v_lshlrev_b64 v[3:4], 3, v[3:4]
	v_add_co_u32_e32 v181, vcc, s16, v3
	v_addc_co_u32_e32 v182, vcc, v0, v4, vcc
	v_mov_b32_e32 v0, s19
	v_add_co_u32_e32 v185, vcc, s18, v3
	v_addc_co_u32_e32 v186, vcc, v0, v4, vcc
	v_lshlrev_b64 v[0:1], 3, v[1:2]
	v_mov_b32_e32 v2, s17
	v_add_co_u32_e32 v197, vcc, s16, v0
	v_addc_co_u32_e32 v198, vcc, v2, v1, vcc
	v_mov_b32_e32 v2, s19
	v_add_co_u32_e32 v0, vcc, s18, v0
	v_addc_co_u32_e32 v5, vcc, v2, v1, vcc
	buffer_load_dword v1, off, s[40:43], 0 offset:44 ; 4-byte Folded Reload
	v_mov_b32_e32 v3, 0
	s_mov_b64 s[16:17], 31
	s_mov_b64 s[18:19], s[24:25]
	v_mov_b32_e32 v255, v3
	s_waitcnt vmcnt(0)
	v_add_u32_e32 v2, s7, v1
	v_mbcnt_lo_u32_b32 v1, -1, 0
	v_mbcnt_hi_u32_b32 v1, -1, v1
	v_lshlrev_b32_e32 v1, 2, v1
	v_and_b32_e32 v6, 0x100, v1
	v_mov_b32_e32 v1, v3
	buffer_store_dword v0, off, s[40:43], 0 offset:616 ; 4-byte Folded Spill
	s_nop 0
	buffer_store_dword v1, off, s[40:43], 0 offset:620 ; 4-byte Folded Spill
	v_lshlrev_b64 v[133:134], 3, v[2:3]
	v_mov_b32_e32 v1, 0
	s_waitcnt lgkmcnt(0)
	s_lshl_b32 s7, s0, 5
	v_mov_b32_e32 v2, 0
	s_mul_i32 s0, s15, s7
	s_mul_hi_u32 s1, s14, s7
	buffer_store_dword v1, off, s[40:43], 0 ; 4-byte Folded Spill
	s_nop 0
	buffer_store_dword v2, off, s[40:43], 0 offset:4 ; 4-byte Folded Spill
	s_add_i32 s1, s1, s0
	s_mul_i32 s0, s14, s7
	v_mov_b32_e32 v1, 0
	s_lshl_b64 s[10:11], s[0:1], 3
	v_mov_b32_e32 v2, 0
	buffer_store_dword v1, off, s[40:43], 0 offset:8 ; 4-byte Folded Spill
	s_nop 0
	buffer_store_dword v2, off, s[40:43], 0 offset:12 ; 4-byte Folded Spill
	s_branch .LBB28_151
.LBB28_148:                             ;   in Loop: Header=BB28_151 Depth=1
	s_or_b64 exec, exec, s[26:27]
.LBB28_149:                             ;   in Loop: Header=BB28_151 Depth=1
	s_or_b64 exec, exec, s[0:1]
	buffer_load_dword v3, off, s[40:43], 0 offset:16 ; 4-byte Folded Reload
	buffer_load_dword v4, off, s[40:43], 0 offset:20 ; 4-byte Folded Reload
	s_waitcnt vmcnt(3)
	ds_bpermute_b32 v229, v6, v1
	ds_bpermute_b32 v230, v6, v2
	ds_bpermute_b32 v233, v6, v1 offset:4
	ds_bpermute_b32 v234, v6, v2 offset:4
	s_waitcnt vmcnt(2)
	ds_bpermute_b32 v235, v6, v131
	ds_bpermute_b32 v236, v6, v132
	ds_bpermute_b32 v237, v6, v131 offset:4
	ds_bpermute_b32 v238, v6, v132 offset:4
	s_waitcnt vmcnt(1)
	v_add_co_u32_e32 v3, vcc, v3, v133
	s_waitcnt vmcnt(0)
	v_addc_co_u32_e32 v4, vcc, v4, v134, vcc
	global_load_dwordx2 v[139:140], v[3:4], off
	s_nop 0
	buffer_load_dword v3, off, s[40:43], 0 offset:28 ; 4-byte Folded Reload
	buffer_load_dword v4, off, s[40:43], 0 offset:36 ; 4-byte Folded Reload
	s_waitcnt vmcnt(1)
	v_add_co_u32_e32 v3, vcc, v3, v133
	s_waitcnt vmcnt(0)
	v_addc_co_u32_e32 v4, vcc, v4, v134, vcc
	global_load_dwordx2 v[141:142], v[3:4], off
	v_add_co_u32_e32 v3, vcc, v7, v133
	v_addc_co_u32_e32 v4, vcc, v8, v134, vcc
	global_load_dwordx2 v[143:144], v[3:4], off
	v_add_co_u32_e32 v3, vcc, v9, v133
	;; [unrolled: 3-line block ×35, first 2 shown]
	v_addc_co_u32_e32 v4, vcc, v76, v134, vcc
	v_add_co_u32_e32 v227, vcc, v77, v133
	v_addc_co_u32_e32 v228, vcc, v78, v134, vcc
	v_add_co_u32_e32 v231, vcc, v79, v133
	v_addc_co_u32_e32 v232, vcc, v80, v134, vcc
	s_waitcnt vmcnt(34) lgkmcnt(6)
	v_add_f64 v[141:142], v[141:142], -v[229:230]
	v_add_co_u32_e32 v229, vcc, v81, v133
	v_addc_co_u32_e32 v230, vcc, v82, v134, vcc
	s_waitcnt vmcnt(32) lgkmcnt(4)
	v_add_f64 v[145:146], v[145:146], -v[233:234]
	v_add_co_u32_e32 v233, vcc, v83, v133
	v_addc_co_u32_e32 v234, vcc, v84, v134, vcc
	global_load_dwordx2 v[3:4], v[3:4], off
	v_mul_f64 v[141:142], v[139:140], v[141:142]
	global_load_dwordx2 v[227:228], v[227:228], off
	v_mul_f64 v[145:146], v[143:144], v[145:146]
	global_load_dwordx2 v[231:232], v[231:232], off
	s_nop 0
	global_load_dwordx2 v[229:230], v[229:230], off
	s_nop 0
	;; [unrolled: 2-line block ×3, first 2 shown]
	buffer_load_dword v201, off, s[40:43], 0 ; 4-byte Folded Reload
	buffer_load_dword v202, off, s[40:43], 0 offset:4 ; 4-byte Folded Reload
	s_waitcnt vmcnt(0) lgkmcnt(2)
	v_fma_f64 v[141:142], v[141:142], v[235:236], v[201:202]
	buffer_load_dword v201, off, s[40:43], 0 offset:8 ; 4-byte Folded Reload
	buffer_load_dword v202, off, s[40:43], 0 offset:12 ; 4-byte Folded Reload
	ds_bpermute_b32 v235, v6, v1 offset:8
	ds_bpermute_b32 v236, v6, v2 offset:8
	s_waitcnt lgkmcnt(0)
	v_add_f64 v[149:150], v[149:150], -v[235:236]
	v_fma_f64 v[141:142], v[145:146], v[237:238], v[141:142]
	ds_bpermute_b32 v145, v6, v1 offset:12
	ds_bpermute_b32 v146, v6, v2 offset:12
	v_add_co_u32_e32 v235, vcc, v85, v133
	v_addc_co_u32_e32 v236, vcc, v86, v134, vcc
	v_mul_f64 v[149:150], v[147:148], v[149:150]
	s_waitcnt lgkmcnt(0)
	v_add_f64 v[145:146], v[153:154], -v[145:146]
	global_load_dwordx2 v[235:236], v[235:236], off
	v_add_co_u32_e32 v153, vcc, v87, v133
	v_addc_co_u32_e32 v154, vcc, v88, v134, vcc
	global_load_dwordx2 v[153:154], v[153:154], off
	v_mul_f64 v[145:146], v[151:152], v[145:146]
	s_waitcnt vmcnt(2)
	v_add_f64 v[139:140], v[201:202], v[139:140]
	v_add_f64 v[139:140], v[139:140], v[143:144]
	ds_bpermute_b32 v143, v6, v131 offset:8
	ds_bpermute_b32 v144, v6, v132 offset:8
	s_waitcnt lgkmcnt(0)
	v_fma_f64 v[141:142], v[149:150], v[143:144], v[141:142]
	ds_bpermute_b32 v143, v6, v1 offset:16
	ds_bpermute_b32 v144, v6, v2 offset:16
	v_add_f64 v[139:140], v[139:140], v[147:148]
	ds_bpermute_b32 v147, v6, v131 offset:12
	ds_bpermute_b32 v148, v6, v132 offset:12
	v_add_co_u32_e32 v149, vcc, v89, v133
	s_waitcnt lgkmcnt(2)
	v_add_f64 v[143:144], v[157:158], -v[143:144]
	v_addc_co_u32_e32 v150, vcc, v90, v134, vcc
	s_waitcnt lgkmcnt(0)
	v_fma_f64 v[141:142], v[145:146], v[147:148], v[141:142]
	ds_bpermute_b32 v145, v6, v1 offset:20
	ds_bpermute_b32 v146, v6, v2 offset:20
	;; [unrolled: 1-line block ×4, first 2 shown]
	v_mul_f64 v[143:144], v[155:156], v[143:144]
	v_add_f64 v[139:140], v[139:140], v[151:152]
	s_waitcnt lgkmcnt(2)
	v_add_f64 v[145:146], v[161:162], -v[145:146]
	v_add_co_u32_e32 v151, vcc, v91, v133
	v_addc_co_u32_e32 v152, vcc, v92, v134, vcc
	global_load_dwordx2 v[149:150], v[149:150], off
	s_waitcnt lgkmcnt(0)
	v_fma_f64 v[141:142], v[143:144], v[147:148], v[141:142]
	ds_bpermute_b32 v143, v6, v1 offset:24
	ds_bpermute_b32 v144, v6, v2 offset:24
	v_mul_f64 v[145:146], v[159:160], v[145:146]
	ds_bpermute_b32 v147, v6, v131 offset:20
	ds_bpermute_b32 v148, v6, v132 offset:20
	v_add_f64 v[139:140], v[139:140], v[155:156]
	s_waitcnt lgkmcnt(2)
	v_add_f64 v[143:144], v[167:168], -v[143:144]
	v_add_co_u32_e32 v155, vcc, v93, v133
	v_addc_co_u32_e32 v156, vcc, v94, v134, vcc
	s_waitcnt lgkmcnt(0)
	v_fma_f64 v[141:142], v[145:146], v[147:148], v[141:142]
	ds_bpermute_b32 v145, v6, v1 offset:28
	ds_bpermute_b32 v146, v6, v2 offset:28
	v_mul_f64 v[143:144], v[163:164], v[143:144]
	ds_bpermute_b32 v147, v6, v131 offset:24
	ds_bpermute_b32 v148, v6, v132 offset:24
	v_add_f64 v[139:140], v[139:140], v[159:160]
	s_waitcnt lgkmcnt(2)
	v_add_f64 v[145:146], v[175:176], -v[145:146]
	global_load_dwordx2 v[155:156], v[155:156], off
	v_add_co_u32_e32 v157, vcc, v95, v133
	s_waitcnt lgkmcnt(0)
	v_fma_f64 v[141:142], v[143:144], v[147:148], v[141:142]
	ds_bpermute_b32 v143, v6, v1 offset:32
	ds_bpermute_b32 v144, v6, v2 offset:32
	;; [unrolled: 1-line block ×3, first 2 shown]
	v_mul_f64 v[145:146], v[171:172], v[145:146]
	ds_bpermute_b32 v148, v6, v132 offset:28
	v_add_f64 v[139:140], v[139:140], v[163:164]
	s_waitcnt lgkmcnt(2)
	v_add_f64 v[143:144], v[183:184], -v[143:144]
	global_load_dwordx2 v[151:152], v[151:152], off
	v_addc_co_u32_e32 v158, vcc, v96, v134, vcc
	v_add_co_u32_e32 v159, vcc, v97, v133
	s_waitcnt lgkmcnt(0)
	v_fma_f64 v[141:142], v[145:146], v[147:148], v[141:142]
	ds_bpermute_b32 v145, v6, v1 offset:36
	ds_bpermute_b32 v146, v6, v2 offset:36
	v_mul_f64 v[143:144], v[179:180], v[143:144]
	ds_bpermute_b32 v147, v6, v131 offset:32
	ds_bpermute_b32 v148, v6, v132 offset:32
	v_add_f64 v[139:140], v[139:140], v[171:172]
	s_waitcnt lgkmcnt(2)
	v_add_f64 v[145:146], v[191:192], -v[145:146]
	v_addc_co_u32_e32 v160, vcc, v98, v134, vcc
	global_load_dwordx2 v[159:160], v[159:160], off
	s_waitcnt lgkmcnt(0)
	v_fma_f64 v[141:142], v[143:144], v[147:148], v[141:142]
	ds_bpermute_b32 v143, v6, v1 offset:40
	ds_bpermute_b32 v144, v6, v2 offset:40
	;; [unrolled: 1-line block ×3, first 2 shown]
	v_mul_f64 v[145:146], v[187:188], v[145:146]
	ds_bpermute_b32 v148, v6, v132 offset:36
	v_add_f64 v[139:140], v[139:140], v[179:180]
	s_waitcnt lgkmcnt(2)
	v_add_f64 v[143:144], v[199:200], -v[143:144]
	v_add_co_u32_e32 v161, vcc, v99, v133
	v_addc_co_u32_e32 v162, vcc, v100, v134, vcc
	s_waitcnt lgkmcnt(0)
	v_fma_f64 v[141:142], v[145:146], v[147:148], v[141:142]
	ds_bpermute_b32 v145, v6, v1 offset:44
	ds_bpermute_b32 v146, v6, v2 offset:44
	v_mul_f64 v[143:144], v[195:196], v[143:144]
	ds_bpermute_b32 v147, v6, v131 offset:40
	ds_bpermute_b32 v148, v6, v132 offset:40
	v_add_f64 v[139:140], v[139:140], v[187:188]
	s_waitcnt lgkmcnt(2)
	v_add_f64 v[145:146], v[205:206], -v[145:146]
	v_add_co_u32_e32 v163, vcc, v101, v133
	v_addc_co_u32_e32 v164, vcc, v102, v134, vcc
	s_waitcnt lgkmcnt(0)
	v_fma_f64 v[141:142], v[143:144], v[147:148], v[141:142]
	ds_bpermute_b32 v143, v6, v1 offset:48
	ds_bpermute_b32 v144, v6, v2 offset:48
	v_mul_f64 v[145:146], v[203:204], v[145:146]
	ds_bpermute_b32 v147, v6, v131 offset:44
	ds_bpermute_b32 v148, v6, v132 offset:44
	v_add_f64 v[139:140], v[139:140], v[195:196]
	s_waitcnt lgkmcnt(2)
	v_add_f64 v[143:144], v[209:210], -v[143:144]
	global_load_dwordx2 v[157:158], v[157:158], off
	v_add_co_u32_e32 v167, vcc, v103, v133
	s_waitcnt lgkmcnt(0)
	v_fma_f64 v[141:142], v[145:146], v[147:148], v[141:142]
	ds_bpermute_b32 v145, v6, v1 offset:52
	ds_bpermute_b32 v146, v6, v2 offset:52
	;; [unrolled: 1-line block ×3, first 2 shown]
	v_mul_f64 v[143:144], v[207:208], v[143:144]
	ds_bpermute_b32 v148, v6, v132 offset:48
	v_add_f64 v[139:140], v[139:140], v[203:204]
	s_waitcnt lgkmcnt(2)
	v_add_f64 v[145:146], v[213:214], -v[145:146]
	global_load_dwordx2 v[163:164], v[163:164], off
	v_addc_co_u32_e32 v168, vcc, v104, v134, vcc
	v_add_co_u32_e32 v171, vcc, v105, v133
	s_waitcnt lgkmcnt(0)
	v_fma_f64 v[141:142], v[143:144], v[147:148], v[141:142]
	ds_bpermute_b32 v143, v6, v1 offset:56
	ds_bpermute_b32 v144, v6, v2 offset:56
	v_mul_f64 v[145:146], v[211:212], v[145:146]
	ds_bpermute_b32 v147, v6, v131 offset:52
	ds_bpermute_b32 v148, v6, v132 offset:52
	v_add_f64 v[139:140], v[139:140], v[207:208]
	s_waitcnt lgkmcnt(2)
	v_add_f64 v[143:144], v[217:218], -v[143:144]
	v_addc_co_u32_e32 v172, vcc, v106, v134, vcc
	global_load_dwordx2 v[161:162], v[161:162], off
	s_waitcnt lgkmcnt(0)
	v_fma_f64 v[141:142], v[145:146], v[147:148], v[141:142]
	ds_bpermute_b32 v145, v6, v1 offset:60
	ds_bpermute_b32 v146, v6, v2 offset:60
	;; [unrolled: 1-line block ×3, first 2 shown]
	v_mul_f64 v[143:144], v[215:216], v[143:144]
	ds_bpermute_b32 v148, v6, v132 offset:56
	v_add_f64 v[139:140], v[139:140], v[211:212]
	s_waitcnt lgkmcnt(2)
	v_add_f64 v[145:146], v[221:222], -v[145:146]
	global_load_dwordx2 v[171:172], v[171:172], off
	v_add_co_u32_e32 v175, vcc, v107, v133
	v_addc_co_u32_e32 v176, vcc, v108, v134, vcc
	s_waitcnt lgkmcnt(0)
	v_fma_f64 v[141:142], v[143:144], v[147:148], v[141:142]
	ds_bpermute_b32 v143, v6, v1 offset:64
	ds_bpermute_b32 v144, v6, v2 offset:64
	v_mul_f64 v[145:146], v[219:220], v[145:146]
	ds_bpermute_b32 v147, v6, v131 offset:60
	ds_bpermute_b32 v148, v6, v132 offset:60
	v_add_f64 v[139:140], v[139:140], v[215:216]
	s_waitcnt lgkmcnt(2)
	v_add_f64 v[143:144], v[223:224], -v[143:144]
	v_add_co_u32_e32 v179, vcc, v109, v133
	v_addc_co_u32_e32 v180, vcc, v110, v134, vcc
	s_waitcnt lgkmcnt(0)
	v_fma_f64 v[141:142], v[145:146], v[147:148], v[141:142]
	ds_bpermute_b32 v145, v6, v1 offset:68
	ds_bpermute_b32 v146, v6, v2 offset:68
	v_mul_f64 v[143:144], v[137:138], v[143:144]
	ds_bpermute_b32 v147, v6, v131 offset:64
	ds_bpermute_b32 v148, v6, v132 offset:64
	v_add_f64 v[139:140], v[139:140], v[219:220]
	s_waitcnt lgkmcnt(2)
	v_add_f64 v[145:146], v[225:226], -v[145:146]
	global_load_dwordx2 v[167:168], v[167:168], off
	v_add_co_u32_e32 v183, vcc, v111, v133
	s_waitcnt lgkmcnt(0)
	v_fma_f64 v[141:142], v[143:144], v[147:148], v[141:142]
	ds_bpermute_b32 v143, v6, v1 offset:72
	ds_bpermute_b32 v144, v6, v2 offset:72
	v_add_f64 v[137:138], v[139:140], v[137:138]
	v_mul_f64 v[145:146], v[135:136], v[145:146]
	ds_bpermute_b32 v139, v6, v131 offset:68
	ds_bpermute_b32 v140, v6, v132 offset:68
	s_waitcnt lgkmcnt(2)
	v_add_f64 v[143:144], v[227:228], -v[143:144]
	global_load_dwordx2 v[179:180], v[179:180], off
	v_addc_co_u32_e32 v184, vcc, v112, v134, vcc
	v_add_f64 v[135:136], v[137:138], v[135:136]
	s_waitcnt lgkmcnt(0)
	v_fma_f64 v[139:140], v[145:146], v[139:140], v[141:142]
	ds_bpermute_b32 v141, v6, v1 offset:76
	ds_bpermute_b32 v142, v6, v2 offset:76
	v_mul_f64 v[143:144], v[3:4], v[143:144]
	ds_bpermute_b32 v137, v6, v131 offset:72
	ds_bpermute_b32 v138, v6, v132 offset:72
	v_add_co_u32_e32 v187, vcc, v113, v133
	s_waitcnt lgkmcnt(2)
	v_add_f64 v[141:142], v[229:230], -v[141:142]
	v_addc_co_u32_e32 v188, vcc, v114, v134, vcc
	s_waitcnt lgkmcnt(0)
	v_fma_f64 v[137:138], v[143:144], v[137:138], v[139:140]
	ds_bpermute_b32 v139, v6, v1 offset:80
	ds_bpermute_b32 v140, v6, v2 offset:80
	global_load_dwordx2 v[175:176], v[175:176], off
	v_add_co_u32_e32 v191, vcc, v115, v133
	global_load_dwordx2 v[187:188], v[187:188], off
	v_mul_f64 v[141:142], v[231:232], v[141:142]
	s_waitcnt vmcnt(13) lgkmcnt(0)
	v_add_f64 v[139:140], v[235:236], -v[139:140]
	v_addc_co_u32_e32 v192, vcc, v116, v134, vcc
	v_add_co_u32_e32 v147, vcc, v117, v133
	v_add_f64 v[3:4], v[135:136], v[3:4]
	ds_bpermute_b32 v135, v6, v131 offset:76
	ds_bpermute_b32 v136, v6, v132 offset:76
	v_addc_co_u32_e32 v148, vcc, v118, v134, vcc
	global_load_dwordx2 v[183:184], v[183:184], off
	v_mul_f64 v[139:140], v[233:234], v[139:140]
	global_load_dwordx2 v[147:148], v[147:148], off
	s_waitcnt lgkmcnt(0)
	v_fma_f64 v[135:136], v[141:142], v[135:136], v[137:138]
	v_add_co_u32_e32 v145, vcc, v119, v133
	v_addc_co_u32_e32 v146, vcc, v120, v134, vcc
	v_add_co_u32_e32 v143, vcc, v121, v133
	ds_bpermute_b32 v141, v6, v131 offset:80
	ds_bpermute_b32 v142, v6, v132 offset:80
	v_addc_co_u32_e32 v144, vcc, v122, v134, vcc
	global_load_dwordx2 v[191:192], v[191:192], off
	ds_bpermute_b32 v137, v6, v1 offset:84
	global_load_dwordx2 v[195:196], v[143:144], off
	ds_bpermute_b32 v138, v6, v2 offset:84
	s_waitcnt lgkmcnt(2)
	v_fma_f64 v[135:136], v[139:140], v[141:142], v[135:136]
	ds_bpermute_b32 v139, v6, v1 offset:88
	ds_bpermute_b32 v140, v6, v2 offset:88
	v_add_co_u32_e32 v143, vcc, v123, v133
	v_addc_co_u32_e32 v144, vcc, v124, v134, vcc
	s_waitcnt vmcnt(15) lgkmcnt(2)
	v_add_f64 v[137:138], v[149:150], -v[137:138]
	global_load_dwordx2 v[149:150], v[143:144], off
	v_add_co_u32_e32 v143, vcc, v125, v133
	v_addc_co_u32_e32 v144, vcc, v126, v134, vcc
	global_load_dwordx2 v[145:146], v[145:146], off
	s_waitcnt vmcnt(16) lgkmcnt(0)
	v_add_f64 v[139:140], v[155:156], -v[139:140]
	global_load_dwordx2 v[155:156], v[143:144], off
	v_add_f64 v[3:4], v[3:4], v[231:232]
	v_mul_f64 v[137:138], v[153:154], v[137:138]
	ds_bpermute_b32 v141, v6, v131 offset:84
	ds_bpermute_b32 v142, v6, v132 offset:84
	v_add_co_u32_e32 v143, vcc, v127, v133
	s_waitcnt vmcnt(16)
	v_mul_f64 v[139:140], v[151:152], v[139:140]
	v_addc_co_u32_e32 v144, vcc, v128, v134, vcc
	v_add_f64 v[3:4], v[3:4], v[233:234]
	s_waitcnt lgkmcnt(0)
	v_fma_f64 v[135:136], v[137:138], v[141:142], v[135:136]
	ds_bpermute_b32 v141, v6, v1 offset:92
	ds_bpermute_b32 v142, v6, v2 offset:92
	;; [unrolled: 1-line block ×4, first 2 shown]
	v_add_f64 v[3:4], v[3:4], v[153:154]
	s_waitcnt vmcnt(15) lgkmcnt(2)
	v_add_f64 v[153:154], v[159:160], -v[141:142]
	global_load_dwordx2 v[141:142], v[143:144], off
	v_add_co_u32_e32 v143, vcc, v129, v133
	v_addc_co_u32_e32 v144, vcc, v130, v134, vcc
	global_load_dwordx2 v[143:144], v[143:144], off
	s_waitcnt lgkmcnt(0)
	v_fma_f64 v[135:136], v[139:140], v[137:138], v[135:136]
	ds_bpermute_b32 v137, v6, v1 offset:96
	ds_bpermute_b32 v138, v6, v2 offset:96
	v_add_f64 v[3:4], v[3:4], v[151:152]
	s_waitcnt vmcnt(16)
	v_mul_f64 v[151:152], v[157:158], v[153:154]
	ds_bpermute_b32 v139, v6, v131 offset:92
	ds_bpermute_b32 v140, v6, v132 offset:92
	s_waitcnt vmcnt(15) lgkmcnt(2)
	v_add_f64 v[137:138], v[163:164], -v[137:138]
	ds_bpermute_b32 v153, v6, v1 offset:100
	ds_bpermute_b32 v154, v6, v2 offset:100
	v_add_f64 v[3:4], v[3:4], v[157:158]
	s_waitcnt lgkmcnt(2)
	v_fma_f64 v[135:136], v[151:152], v[139:140], v[135:136]
	ds_bpermute_b32 v139, v6, v131 offset:96
	s_waitcnt vmcnt(13) lgkmcnt(1)
	v_add_f64 v[151:152], v[171:172], -v[153:154]
	v_mul_f64 v[137:138], v[161:162], v[137:138]
	ds_bpermute_b32 v140, v6, v132 offset:96
	ds_bpermute_b32 v153, v6, v1 offset:104
	ds_bpermute_b32 v154, v6, v2 offset:104
	v_add_f64 v[3:4], v[3:4], v[161:162]
	s_waitcnt lgkmcnt(2)
	v_fma_f64 v[135:136], v[137:138], v[139:140], v[135:136]
	s_waitcnt vmcnt(12)
	v_mul_f64 v[137:138], v[167:168], v[151:152]
	s_waitcnt vmcnt(11) lgkmcnt(0)
	v_add_f64 v[151:152], v[179:180], -v[153:154]
	ds_bpermute_b32 v139, v6, v131 offset:100
	ds_bpermute_b32 v140, v6, v132 offset:100
	ds_bpermute_b32 v153, v6, v1 offset:108
	ds_bpermute_b32 v154, v6, v2 offset:108
	v_add_f64 v[3:4], v[3:4], v[167:168]
	s_waitcnt lgkmcnt(2)
	v_fma_f64 v[135:136], v[137:138], v[139:140], v[135:136]
	s_waitcnt vmcnt(10)
	v_mul_f64 v[137:138], v[175:176], v[151:152]
	s_waitcnt vmcnt(9) lgkmcnt(0)
	v_add_f64 v[151:152], v[187:188], -v[153:154]
	ds_bpermute_b32 v139, v6, v131 offset:104
	;; [unrolled: 11-line block ×4, first 2 shown]
	ds_bpermute_b32 v140, v6, v132 offset:112
	ds_bpermute_b32 v151, v6, v1 offset:120
	;; [unrolled: 1-line block ×3, first 2 shown]
	v_add_f64 v[3:4], v[3:4], v[191:192]
	ds_bpermute_b32 v1, v6, v1 offset:124
	s_waitcnt lgkmcnt(3)
	v_fma_f64 v[135:136], v[137:138], v[139:140], v[135:136]
	s_waitcnt vmcnt(3)
	v_mul_f64 v[137:138], v[145:146], v[147:148]
	s_waitcnt vmcnt(2) lgkmcnt(1)
	v_add_f64 v[139:140], v[155:156], -v[151:152]
	ds_bpermute_b32 v147, v6, v131 offset:116
	ds_bpermute_b32 v148, v6, v132 offset:116
	ds_bpermute_b32 v2, v6, v2 offset:124
	s_waitcnt lgkmcnt(1)
	v_fma_f64 v[135:136], v[137:138], v[147:148], v[135:136]
	v_mul_f64 v[137:138], v[149:150], v[139:140]
	v_add_f64 v[139:140], v[3:4], v[145:146]
	ds_bpermute_b32 v3, v6, v131 offset:120
	ds_bpermute_b32 v4, v6, v132 offset:120
	;; [unrolled: 1-line block ×4, first 2 shown]
	s_waitcnt lgkmcnt(2)
	v_fma_f64 v[3:4], v[137:138], v[3:4], v[135:136]
	v_add_f64 v[145:146], v[139:140], v[149:150]
.LBB28_150:                             ;   in Loop: Header=BB28_151 Depth=1
	s_waitcnt vmcnt(0) lgkmcnt(0)
	v_add_f64 v[1:2], v[143:144], -v[1:2]
	s_add_u32 s18, s18, s7
	s_addc_u32 s19, s19, 0
	s_add_u32 s16, s16, s7
	s_addc_u32 s17, 0, s17
	v_mul_f64 v[1:2], v[141:142], v[1:2]
	v_fma_f64 v[1:2], v[1:2], v[131:132], v[3:4]
	buffer_store_dword v1, off, s[40:43], 0 ; 4-byte Folded Spill
	s_nop 0
	buffer_store_dword v2, off, s[40:43], 0 offset:4 ; 4-byte Folded Spill
	v_add_f64 v[1:2], v[145:146], v[141:142]
	buffer_store_dword v1, off, s[40:43], 0 offset:8 ; 4-byte Folded Spill
	s_nop 0
	buffer_store_dword v2, off, s[40:43], 0 offset:12 ; 4-byte Folded Spill
	buffer_load_dword v1, off, s[40:43], 0 offset:16 ; 4-byte Folded Reload
	s_nop 0
	buffer_load_dword v2, off, s[40:43], 0 offset:20 ; 4-byte Folded Reload
	buffer_load_dword v136, off, s[40:43], 0 offset:492 ; 4-byte Folded Reload
	s_waitcnt vmcnt(2)
	v_add_co_u32_e32 v1, vcc, s10, v1
	buffer_store_dword v1, off, s[40:43], 0 offset:16 ; 4-byte Folded Spill
	v_mov_b32_e32 v1, s11
	s_waitcnt vmcnt(2)
	v_addc_co_u32_e32 v2, vcc, v2, v1, vcc
	buffer_store_dword v2, off, s[40:43], 0 offset:20 ; 4-byte Folded Spill
	buffer_load_dword v2, off, s[40:43], 0 offset:28 ; 4-byte Folded Reload
	s_waitcnt vmcnt(0)
	v_add_co_u32_e32 v2, vcc, s10, v2
	buffer_store_dword v2, off, s[40:43], 0 offset:28 ; 4-byte Folded Spill
	buffer_load_dword v2, off, s[40:43], 0 offset:36 ; 4-byte Folded Reload
	s_waitcnt vmcnt(0)
	v_addc_co_u32_e32 v2, vcc, v2, v1, vcc
	v_add_co_u32_e32 v136, vcc, s7, v136
	v_addc_co_u32_e32 v255, vcc, 0, v255, vcc
	v_add_co_u32_e32 v7, vcc, s10, v7
	;; [unrolled: 2-line block ×23, first 2 shown]
	v_addc_co_u32_e32 v92, vcc, v92, v1, vcc
	buffer_store_dword v2, off, s[40:43], 0 offset:36 ; 4-byte Folded Spill
	v_add_co_u32_e32 v95, vcc, s10, v95
	buffer_load_dword v2, off, s[40:43], 0 offset:48 ; 4-byte Folded Reload
	v_addc_co_u32_e32 v96, vcc, v96, v1, vcc
	v_add_co_u32_e32 v99, vcc, s10, v99
	v_addc_co_u32_e32 v100, vcc, v100, v1, vcc
	v_add_co_u32_e32 v103, vcc, s10, v103
	;; [unrolled: 2-line block ×39, first 2 shown]
	v_addc_co_u32_e32 v130, vcc, v130, v1, vcc
	s_waitcnt vmcnt(0)
	v_add_co_u32_e32 v2, vcc, s10, v2
	buffer_store_dword v2, off, s[40:43], 0 offset:48 ; 4-byte Folded Spill
	buffer_load_dword v2, off, s[40:43], 0 offset:56 ; 4-byte Folded Reload
	s_waitcnt vmcnt(0)
	v_addc_co_u32_e32 v2, vcc, v2, v1, vcc
	buffer_store_dword v2, off, s[40:43], 0 offset:56 ; 4-byte Folded Spill
	buffer_load_dword v2, off, s[40:43], 0 offset:64 ; 4-byte Folded Reload
	s_waitcnt vmcnt(0)
	v_add_co_u32_e32 v2, vcc, s10, v2
	buffer_store_dword v2, off, s[40:43], 0 offset:64 ; 4-byte Folded Spill
	buffer_load_dword v2, off, s[40:43], 0 offset:72 ; 4-byte Folded Reload
	s_waitcnt vmcnt(0)
	v_addc_co_u32_e32 v2, vcc, v2, v1, vcc
	buffer_store_dword v2, off, s[40:43], 0 offset:72 ; 4-byte Folded Spill
	buffer_load_dword v2, off, s[40:43], 0 offset:80 ; 4-byte Folded Reload
	s_waitcnt vmcnt(0)
	v_add_co_u32_e32 v2, vcc, s10, v2
	buffer_store_dword v2, off, s[40:43], 0 offset:80 ; 4-byte Folded Spill
	buffer_load_dword v2, off, s[40:43], 0 offset:88 ; 4-byte Folded Reload
	s_waitcnt vmcnt(0)
	v_addc_co_u32_e32 v2, vcc, v2, v1, vcc
	buffer_store_dword v2, off, s[40:43], 0 offset:88 ; 4-byte Folded Spill
	buffer_load_dword v2, off, s[40:43], 0 offset:92 ; 4-byte Folded Reload
	s_waitcnt vmcnt(0)
	v_add_co_u32_e32 v2, vcc, s10, v2
	buffer_store_dword v2, off, s[40:43], 0 offset:92 ; 4-byte Folded Spill
	buffer_load_dword v2, off, s[40:43], 0 offset:96 ; 4-byte Folded Reload
	s_waitcnt vmcnt(0)
	v_addc_co_u32_e32 v2, vcc, v2, v1, vcc
	buffer_store_dword v2, off, s[40:43], 0 offset:96 ; 4-byte Folded Spill
	buffer_load_dword v2, off, s[40:43], 0 offset:100 ; 4-byte Folded Reload
	s_waitcnt vmcnt(0)
	v_add_co_u32_e32 v2, vcc, s10, v2
	buffer_store_dword v2, off, s[40:43], 0 offset:100 ; 4-byte Folded Spill
	buffer_load_dword v2, off, s[40:43], 0 offset:104 ; 4-byte Folded Reload
	s_waitcnt vmcnt(0)
	v_addc_co_u32_e32 v2, vcc, v2, v1, vcc
	buffer_store_dword v2, off, s[40:43], 0 offset:104 ; 4-byte Folded Spill
	buffer_load_dword v2, off, s[40:43], 0 offset:108 ; 4-byte Folded Reload
	s_waitcnt vmcnt(0)
	v_add_co_u32_e32 v2, vcc, s10, v2
	buffer_store_dword v2, off, s[40:43], 0 offset:108 ; 4-byte Folded Spill
	buffer_load_dword v2, off, s[40:43], 0 offset:112 ; 4-byte Folded Reload
	s_waitcnt vmcnt(0)
	v_addc_co_u32_e32 v2, vcc, v2, v1, vcc
	buffer_store_dword v2, off, s[40:43], 0 offset:112 ; 4-byte Folded Spill
	buffer_load_dword v2, off, s[40:43], 0 offset:116 ; 4-byte Folded Reload
	s_waitcnt vmcnt(0)
	v_add_co_u32_e32 v2, vcc, s10, v2
	buffer_store_dword v2, off, s[40:43], 0 offset:116 ; 4-byte Folded Spill
	buffer_load_dword v2, off, s[40:43], 0 offset:120 ; 4-byte Folded Reload
	s_waitcnt vmcnt(0)
	v_addc_co_u32_e32 v2, vcc, v2, v1, vcc
	buffer_store_dword v2, off, s[40:43], 0 offset:120 ; 4-byte Folded Spill
	buffer_load_dword v2, off, s[40:43], 0 offset:124 ; 4-byte Folded Reload
	s_waitcnt vmcnt(0)
	v_add_co_u32_e32 v2, vcc, s10, v2
	buffer_store_dword v2, off, s[40:43], 0 offset:124 ; 4-byte Folded Spill
	buffer_load_dword v2, off, s[40:43], 0 offset:128 ; 4-byte Folded Reload
	s_waitcnt vmcnt(0)
	v_addc_co_u32_e32 v2, vcc, v2, v1, vcc
	buffer_store_dword v2, off, s[40:43], 0 offset:128 ; 4-byte Folded Spill
	buffer_load_dword v2, off, s[40:43], 0 offset:132 ; 4-byte Folded Reload
	s_waitcnt vmcnt(0)
	v_add_co_u32_e32 v2, vcc, s10, v2
	buffer_store_dword v2, off, s[40:43], 0 offset:132 ; 4-byte Folded Spill
	buffer_load_dword v2, off, s[40:43], 0 offset:136 ; 4-byte Folded Reload
	s_waitcnt vmcnt(0)
	v_addc_co_u32_e32 v2, vcc, v2, v1, vcc
	buffer_store_dword v2, off, s[40:43], 0 offset:136 ; 4-byte Folded Spill
	buffer_load_dword v2, off, s[40:43], 0 offset:140 ; 4-byte Folded Reload
	s_waitcnt vmcnt(0)
	v_add_co_u32_e32 v2, vcc, s10, v2
	buffer_store_dword v2, off, s[40:43], 0 offset:140 ; 4-byte Folded Spill
	buffer_load_dword v2, off, s[40:43], 0 offset:144 ; 4-byte Folded Reload
	s_waitcnt vmcnt(0)
	v_addc_co_u32_e32 v2, vcc, v2, v1, vcc
	buffer_store_dword v2, off, s[40:43], 0 offset:144 ; 4-byte Folded Spill
	buffer_load_dword v2, off, s[40:43], 0 offset:148 ; 4-byte Folded Reload
	s_waitcnt vmcnt(0)
	v_add_co_u32_e32 v2, vcc, s10, v2
	buffer_store_dword v2, off, s[40:43], 0 offset:148 ; 4-byte Folded Spill
	buffer_load_dword v2, off, s[40:43], 0 offset:152 ; 4-byte Folded Reload
	s_waitcnt vmcnt(0)
	v_addc_co_u32_e32 v2, vcc, v2, v1, vcc
	buffer_store_dword v2, off, s[40:43], 0 offset:152 ; 4-byte Folded Spill
	buffer_load_dword v2, off, s[40:43], 0 offset:156 ; 4-byte Folded Reload
	s_waitcnt vmcnt(0)
	v_add_co_u32_e32 v2, vcc, s10, v2
	buffer_store_dword v2, off, s[40:43], 0 offset:156 ; 4-byte Folded Spill
	buffer_load_dword v2, off, s[40:43], 0 offset:160 ; 4-byte Folded Reload
	s_waitcnt vmcnt(0)
	v_addc_co_u32_e32 v2, vcc, v2, v1, vcc
	buffer_store_dword v2, off, s[40:43], 0 offset:160 ; 4-byte Folded Spill
	buffer_load_dword v2, off, s[40:43], 0 offset:164 ; 4-byte Folded Reload
	s_waitcnt vmcnt(0)
	v_add_co_u32_e32 v2, vcc, s10, v2
	buffer_store_dword v2, off, s[40:43], 0 offset:164 ; 4-byte Folded Spill
	buffer_load_dword v2, off, s[40:43], 0 offset:168 ; 4-byte Folded Reload
	s_waitcnt vmcnt(0)
	v_addc_co_u32_e32 v2, vcc, v2, v1, vcc
	buffer_store_dword v2, off, s[40:43], 0 offset:168 ; 4-byte Folded Spill
	buffer_load_dword v2, off, s[40:43], 0 offset:172 ; 4-byte Folded Reload
	s_waitcnt vmcnt(0)
	v_add_co_u32_e32 v2, vcc, s10, v2
	buffer_store_dword v2, off, s[40:43], 0 offset:172 ; 4-byte Folded Spill
	buffer_load_dword v2, off, s[40:43], 0 offset:176 ; 4-byte Folded Reload
	s_waitcnt vmcnt(0)
	v_addc_co_u32_e32 v2, vcc, v2, v1, vcc
	buffer_store_dword v2, off, s[40:43], 0 offset:176 ; 4-byte Folded Spill
	buffer_load_dword v2, off, s[40:43], 0 offset:180 ; 4-byte Folded Reload
	s_waitcnt vmcnt(0)
	v_add_co_u32_e32 v2, vcc, s10, v2
	buffer_store_dword v2, off, s[40:43], 0 offset:180 ; 4-byte Folded Spill
	buffer_load_dword v2, off, s[40:43], 0 offset:184 ; 4-byte Folded Reload
	s_waitcnt vmcnt(0)
	v_addc_co_u32_e32 v2, vcc, v2, v1, vcc
	buffer_store_dword v2, off, s[40:43], 0 offset:184 ; 4-byte Folded Spill
	buffer_load_dword v2, off, s[40:43], 0 offset:188 ; 4-byte Folded Reload
	s_waitcnt vmcnt(0)
	v_add_co_u32_e32 v2, vcc, s10, v2
	buffer_store_dword v2, off, s[40:43], 0 offset:188 ; 4-byte Folded Spill
	buffer_load_dword v2, off, s[40:43], 0 offset:192 ; 4-byte Folded Reload
	s_waitcnt vmcnt(0)
	v_addc_co_u32_e32 v2, vcc, v2, v1, vcc
	buffer_store_dword v2, off, s[40:43], 0 offset:192 ; 4-byte Folded Spill
	buffer_load_dword v2, off, s[40:43], 0 offset:196 ; 4-byte Folded Reload
	s_waitcnt vmcnt(0)
	v_add_co_u32_e32 v2, vcc, s10, v2
	buffer_store_dword v2, off, s[40:43], 0 offset:196 ; 4-byte Folded Spill
	buffer_load_dword v2, off, s[40:43], 0 offset:200 ; 4-byte Folded Reload
	s_waitcnt vmcnt(0)
	v_addc_co_u32_e32 v2, vcc, v2, v1, vcc
	buffer_store_dword v2, off, s[40:43], 0 offset:200 ; 4-byte Folded Spill
	buffer_load_dword v2, off, s[40:43], 0 offset:204 ; 4-byte Folded Reload
	s_waitcnt vmcnt(0)
	v_add_co_u32_e32 v2, vcc, s10, v2
	buffer_store_dword v2, off, s[40:43], 0 offset:204 ; 4-byte Folded Spill
	buffer_load_dword v2, off, s[40:43], 0 offset:208 ; 4-byte Folded Reload
	s_waitcnt vmcnt(0)
	v_addc_co_u32_e32 v2, vcc, v2, v1, vcc
	buffer_store_dword v2, off, s[40:43], 0 offset:208 ; 4-byte Folded Spill
	buffer_load_dword v2, off, s[40:43], 0 offset:212 ; 4-byte Folded Reload
	s_waitcnt vmcnt(0)
	v_add_co_u32_e32 v2, vcc, s10, v2
	buffer_store_dword v2, off, s[40:43], 0 offset:212 ; 4-byte Folded Spill
	buffer_load_dword v2, off, s[40:43], 0 offset:216 ; 4-byte Folded Reload
	s_waitcnt vmcnt(0)
	v_addc_co_u32_e32 v2, vcc, v2, v1, vcc
	buffer_store_dword v2, off, s[40:43], 0 offset:216 ; 4-byte Folded Spill
	buffer_load_dword v2, off, s[40:43], 0 offset:220 ; 4-byte Folded Reload
	s_waitcnt vmcnt(0)
	v_add_co_u32_e32 v2, vcc, s10, v2
	buffer_store_dword v2, off, s[40:43], 0 offset:220 ; 4-byte Folded Spill
	buffer_load_dword v2, off, s[40:43], 0 offset:224 ; 4-byte Folded Reload
	s_waitcnt vmcnt(0)
	v_addc_co_u32_e32 v2, vcc, v2, v1, vcc
	buffer_store_dword v2, off, s[40:43], 0 offset:224 ; 4-byte Folded Spill
	buffer_load_dword v2, off, s[40:43], 0 offset:228 ; 4-byte Folded Reload
	s_waitcnt vmcnt(0)
	v_add_co_u32_e32 v2, vcc, s10, v2
	buffer_store_dword v2, off, s[40:43], 0 offset:228 ; 4-byte Folded Spill
	buffer_load_dword v2, off, s[40:43], 0 offset:232 ; 4-byte Folded Reload
	s_waitcnt vmcnt(0)
	v_addc_co_u32_e32 v2, vcc, v2, v1, vcc
	buffer_store_dword v2, off, s[40:43], 0 offset:232 ; 4-byte Folded Spill
	buffer_load_dword v2, off, s[40:43], 0 offset:236 ; 4-byte Folded Reload
	s_waitcnt vmcnt(0)
	v_add_co_u32_e32 v2, vcc, s10, v2
	buffer_store_dword v2, off, s[40:43], 0 offset:236 ; 4-byte Folded Spill
	buffer_load_dword v2, off, s[40:43], 0 offset:240 ; 4-byte Folded Reload
	s_waitcnt vmcnt(0)
	v_addc_co_u32_e32 v2, vcc, v2, v1, vcc
	buffer_store_dword v2, off, s[40:43], 0 offset:240 ; 4-byte Folded Spill
	buffer_load_dword v2, off, s[40:43], 0 offset:244 ; 4-byte Folded Reload
	s_waitcnt vmcnt(0)
	v_add_co_u32_e32 v2, vcc, s10, v2
	buffer_store_dword v2, off, s[40:43], 0 offset:244 ; 4-byte Folded Spill
	buffer_load_dword v2, off, s[40:43], 0 offset:248 ; 4-byte Folded Reload
	s_waitcnt vmcnt(0)
	v_addc_co_u32_e32 v2, vcc, v2, v1, vcc
	buffer_store_dword v2, off, s[40:43], 0 offset:248 ; 4-byte Folded Spill
	buffer_load_dword v2, off, s[40:43], 0 offset:252 ; 4-byte Folded Reload
	s_waitcnt vmcnt(0)
	v_add_co_u32_e32 v2, vcc, s10, v2
	buffer_store_dword v2, off, s[40:43], 0 offset:252 ; 4-byte Folded Spill
	buffer_load_dword v2, off, s[40:43], 0 offset:256 ; 4-byte Folded Reload
	s_waitcnt vmcnt(0)
	v_addc_co_u32_e32 v2, vcc, v2, v1, vcc
	buffer_store_dword v2, off, s[40:43], 0 offset:256 ; 4-byte Folded Spill
	buffer_load_dword v2, off, s[40:43], 0 offset:260 ; 4-byte Folded Reload
	s_waitcnt vmcnt(0)
	v_add_co_u32_e32 v2, vcc, s10, v2
	buffer_store_dword v2, off, s[40:43], 0 offset:260 ; 4-byte Folded Spill
	buffer_load_dword v2, off, s[40:43], 0 offset:264 ; 4-byte Folded Reload
	s_waitcnt vmcnt(0)
	v_addc_co_u32_e32 v2, vcc, v2, v1, vcc
	buffer_store_dword v2, off, s[40:43], 0 offset:264 ; 4-byte Folded Spill
	buffer_load_dword v2, off, s[40:43], 0 offset:268 ; 4-byte Folded Reload
	s_waitcnt vmcnt(0)
	v_add_co_u32_e32 v2, vcc, s10, v2
	buffer_store_dword v2, off, s[40:43], 0 offset:268 ; 4-byte Folded Spill
	buffer_load_dword v2, off, s[40:43], 0 offset:272 ; 4-byte Folded Reload
	s_waitcnt vmcnt(0)
	v_addc_co_u32_e32 v2, vcc, v2, v1, vcc
	buffer_store_dword v2, off, s[40:43], 0 offset:272 ; 4-byte Folded Spill
	buffer_load_dword v2, off, s[40:43], 0 offset:276 ; 4-byte Folded Reload
	s_waitcnt vmcnt(0)
	v_add_co_u32_e32 v2, vcc, s10, v2
	buffer_store_dword v2, off, s[40:43], 0 offset:276 ; 4-byte Folded Spill
	buffer_load_dword v2, off, s[40:43], 0 offset:280 ; 4-byte Folded Reload
	s_waitcnt vmcnt(0)
	v_addc_co_u32_e32 v2, vcc, v2, v1, vcc
	buffer_store_dword v2, off, s[40:43], 0 offset:280 ; 4-byte Folded Spill
	buffer_load_dword v2, off, s[40:43], 0 offset:284 ; 4-byte Folded Reload
	s_waitcnt vmcnt(0)
	v_add_co_u32_e32 v2, vcc, s10, v2
	buffer_store_dword v2, off, s[40:43], 0 offset:284 ; 4-byte Folded Spill
	buffer_load_dword v2, off, s[40:43], 0 offset:288 ; 4-byte Folded Reload
	s_waitcnt vmcnt(0)
	v_addc_co_u32_e32 v2, vcc, v2, v1, vcc
	buffer_store_dword v2, off, s[40:43], 0 offset:288 ; 4-byte Folded Spill
	buffer_load_dword v2, off, s[40:43], 0 offset:292 ; 4-byte Folded Reload
	s_waitcnt vmcnt(0)
	v_add_co_u32_e32 v2, vcc, s10, v2
	buffer_store_dword v2, off, s[40:43], 0 offset:292 ; 4-byte Folded Spill
	buffer_load_dword v2, off, s[40:43], 0 offset:296 ; 4-byte Folded Reload
	s_waitcnt vmcnt(0)
	v_addc_co_u32_e32 v2, vcc, v2, v1, vcc
	buffer_store_dword v2, off, s[40:43], 0 offset:296 ; 4-byte Folded Spill
	buffer_load_dword v2, off, s[40:43], 0 offset:300 ; 4-byte Folded Reload
	s_waitcnt vmcnt(0)
	v_add_co_u32_e32 v2, vcc, s10, v2
	buffer_store_dword v2, off, s[40:43], 0 offset:300 ; 4-byte Folded Spill
	buffer_load_dword v2, off, s[40:43], 0 offset:304 ; 4-byte Folded Reload
	s_waitcnt vmcnt(0)
	v_addc_co_u32_e32 v2, vcc, v2, v1, vcc
	buffer_store_dword v2, off, s[40:43], 0 offset:304 ; 4-byte Folded Spill
	buffer_load_dword v2, off, s[40:43], 0 offset:308 ; 4-byte Folded Reload
	s_waitcnt vmcnt(0)
	v_add_co_u32_e32 v2, vcc, s10, v2
	buffer_store_dword v2, off, s[40:43], 0 offset:308 ; 4-byte Folded Spill
	buffer_load_dword v2, off, s[40:43], 0 offset:312 ; 4-byte Folded Reload
	s_waitcnt vmcnt(0)
	v_addc_co_u32_e32 v2, vcc, v2, v1, vcc
	buffer_store_dword v2, off, s[40:43], 0 offset:312 ; 4-byte Folded Spill
	buffer_load_dword v2, off, s[40:43], 0 offset:316 ; 4-byte Folded Reload
	s_waitcnt vmcnt(0)
	v_add_co_u32_e32 v2, vcc, s10, v2
	buffer_store_dword v2, off, s[40:43], 0 offset:316 ; 4-byte Folded Spill
	buffer_load_dword v2, off, s[40:43], 0 offset:320 ; 4-byte Folded Reload
	s_waitcnt vmcnt(0)
	v_addc_co_u32_e32 v2, vcc, v2, v1, vcc
	buffer_store_dword v2, off, s[40:43], 0 offset:320 ; 4-byte Folded Spill
	buffer_load_dword v2, off, s[40:43], 0 offset:324 ; 4-byte Folded Reload
	s_waitcnt vmcnt(0)
	v_add_co_u32_e32 v2, vcc, s10, v2
	buffer_store_dword v2, off, s[40:43], 0 offset:324 ; 4-byte Folded Spill
	buffer_load_dword v2, off, s[40:43], 0 offset:328 ; 4-byte Folded Reload
	s_waitcnt vmcnt(0)
	v_addc_co_u32_e32 v2, vcc, v2, v1, vcc
	buffer_store_dword v2, off, s[40:43], 0 offset:328 ; 4-byte Folded Spill
	buffer_load_dword v2, off, s[40:43], 0 offset:332 ; 4-byte Folded Reload
	s_waitcnt vmcnt(0)
	v_add_co_u32_e32 v2, vcc, s10, v2
	buffer_store_dword v2, off, s[40:43], 0 offset:332 ; 4-byte Folded Spill
	buffer_load_dword v2, off, s[40:43], 0 offset:336 ; 4-byte Folded Reload
	s_waitcnt vmcnt(0)
	v_addc_co_u32_e32 v2, vcc, v2, v1, vcc
	buffer_store_dword v2, off, s[40:43], 0 offset:336 ; 4-byte Folded Spill
	buffer_load_dword v2, off, s[40:43], 0 offset:340 ; 4-byte Folded Reload
	s_waitcnt vmcnt(0)
	v_add_co_u32_e32 v2, vcc, s10, v2
	buffer_store_dword v2, off, s[40:43], 0 offset:340 ; 4-byte Folded Spill
	buffer_load_dword v2, off, s[40:43], 0 offset:344 ; 4-byte Folded Reload
	s_waitcnt vmcnt(0)
	v_addc_co_u32_e32 v2, vcc, v2, v1, vcc
	buffer_store_dword v2, off, s[40:43], 0 offset:344 ; 4-byte Folded Spill
	buffer_load_dword v2, off, s[40:43], 0 offset:348 ; 4-byte Folded Reload
	s_waitcnt vmcnt(0)
	v_add_co_u32_e32 v2, vcc, s10, v2
	buffer_store_dword v2, off, s[40:43], 0 offset:348 ; 4-byte Folded Spill
	buffer_load_dword v2, off, s[40:43], 0 offset:352 ; 4-byte Folded Reload
	s_waitcnt vmcnt(0)
	v_addc_co_u32_e32 v2, vcc, v2, v1, vcc
	buffer_store_dword v2, off, s[40:43], 0 offset:352 ; 4-byte Folded Spill
	buffer_load_dword v2, off, s[40:43], 0 offset:356 ; 4-byte Folded Reload
	s_waitcnt vmcnt(0)
	v_add_co_u32_e32 v2, vcc, s10, v2
	buffer_store_dword v2, off, s[40:43], 0 offset:356 ; 4-byte Folded Spill
	buffer_load_dword v2, off, s[40:43], 0 offset:360 ; 4-byte Folded Reload
	s_waitcnt vmcnt(0)
	v_addc_co_u32_e32 v2, vcc, v2, v1, vcc
	buffer_store_dword v2, off, s[40:43], 0 offset:360 ; 4-byte Folded Spill
	buffer_load_dword v2, off, s[40:43], 0 offset:364 ; 4-byte Folded Reload
	s_waitcnt vmcnt(0)
	v_add_co_u32_e32 v2, vcc, s10, v2
	buffer_store_dword v2, off, s[40:43], 0 offset:364 ; 4-byte Folded Spill
	buffer_load_dword v2, off, s[40:43], 0 offset:368 ; 4-byte Folded Reload
	s_waitcnt vmcnt(0)
	v_addc_co_u32_e32 v2, vcc, v2, v1, vcc
	buffer_store_dword v2, off, s[40:43], 0 offset:368 ; 4-byte Folded Spill
	buffer_load_dword v2, off, s[40:43], 0 offset:372 ; 4-byte Folded Reload
	s_waitcnt vmcnt(0)
	v_add_co_u32_e32 v2, vcc, s10, v2
	buffer_store_dword v2, off, s[40:43], 0 offset:372 ; 4-byte Folded Spill
	buffer_load_dword v2, off, s[40:43], 0 offset:376 ; 4-byte Folded Reload
	s_waitcnt vmcnt(0)
	v_addc_co_u32_e32 v2, vcc, v2, v1, vcc
	buffer_store_dword v2, off, s[40:43], 0 offset:376 ; 4-byte Folded Spill
	buffer_load_dword v2, off, s[40:43], 0 offset:380 ; 4-byte Folded Reload
	s_waitcnt vmcnt(0)
	v_add_co_u32_e32 v2, vcc, s10, v2
	buffer_store_dword v2, off, s[40:43], 0 offset:380 ; 4-byte Folded Spill
	buffer_load_dword v2, off, s[40:43], 0 offset:384 ; 4-byte Folded Reload
	s_waitcnt vmcnt(0)
	v_addc_co_u32_e32 v2, vcc, v2, v1, vcc
	buffer_store_dword v2, off, s[40:43], 0 offset:384 ; 4-byte Folded Spill
	buffer_load_dword v2, off, s[40:43], 0 offset:388 ; 4-byte Folded Reload
	s_waitcnt vmcnt(0)
	v_add_co_u32_e32 v2, vcc, s10, v2
	buffer_store_dword v2, off, s[40:43], 0 offset:388 ; 4-byte Folded Spill
	buffer_load_dword v2, off, s[40:43], 0 offset:392 ; 4-byte Folded Reload
	s_waitcnt vmcnt(0)
	v_addc_co_u32_e32 v2, vcc, v2, v1, vcc
	buffer_store_dword v2, off, s[40:43], 0 offset:392 ; 4-byte Folded Spill
	buffer_load_dword v2, off, s[40:43], 0 offset:396 ; 4-byte Folded Reload
	s_waitcnt vmcnt(0)
	v_add_co_u32_e32 v2, vcc, s10, v2
	buffer_store_dword v2, off, s[40:43], 0 offset:396 ; 4-byte Folded Spill
	buffer_load_dword v2, off, s[40:43], 0 offset:400 ; 4-byte Folded Reload
	s_waitcnt vmcnt(0)
	v_addc_co_u32_e32 v2, vcc, v2, v1, vcc
	buffer_store_dword v2, off, s[40:43], 0 offset:400 ; 4-byte Folded Spill
	buffer_load_dword v2, off, s[40:43], 0 offset:404 ; 4-byte Folded Reload
	s_waitcnt vmcnt(0)
	v_add_co_u32_e32 v2, vcc, s10, v2
	buffer_store_dword v2, off, s[40:43], 0 offset:404 ; 4-byte Folded Spill
	buffer_load_dword v2, off, s[40:43], 0 offset:408 ; 4-byte Folded Reload
	s_waitcnt vmcnt(0)
	v_addc_co_u32_e32 v2, vcc, v2, v1, vcc
	buffer_store_dword v2, off, s[40:43], 0 offset:408 ; 4-byte Folded Spill
	buffer_load_dword v2, off, s[40:43], 0 offset:412 ; 4-byte Folded Reload
	s_waitcnt vmcnt(0)
	v_add_co_u32_e32 v2, vcc, s10, v2
	buffer_store_dword v2, off, s[40:43], 0 offset:412 ; 4-byte Folded Spill
	buffer_load_dword v2, off, s[40:43], 0 offset:416 ; 4-byte Folded Reload
	s_waitcnt vmcnt(0)
	v_addc_co_u32_e32 v2, vcc, v2, v1, vcc
	buffer_store_dword v2, off, s[40:43], 0 offset:416 ; 4-byte Folded Spill
	buffer_load_dword v2, off, s[40:43], 0 offset:420 ; 4-byte Folded Reload
	s_waitcnt vmcnt(0)
	v_add_co_u32_e32 v2, vcc, s10, v2
	buffer_store_dword v2, off, s[40:43], 0 offset:420 ; 4-byte Folded Spill
	buffer_load_dword v2, off, s[40:43], 0 offset:424 ; 4-byte Folded Reload
	s_waitcnt vmcnt(0)
	v_addc_co_u32_e32 v2, vcc, v2, v1, vcc
	buffer_store_dword v2, off, s[40:43], 0 offset:424 ; 4-byte Folded Spill
	buffer_load_dword v2, off, s[40:43], 0 offset:428 ; 4-byte Folded Reload
	s_waitcnt vmcnt(0)
	v_add_co_u32_e32 v2, vcc, s10, v2
	buffer_store_dword v2, off, s[40:43], 0 offset:428 ; 4-byte Folded Spill
	buffer_load_dword v2, off, s[40:43], 0 offset:432 ; 4-byte Folded Reload
	s_waitcnt vmcnt(0)
	v_addc_co_u32_e32 v2, vcc, v2, v1, vcc
	buffer_store_dword v2, off, s[40:43], 0 offset:432 ; 4-byte Folded Spill
	buffer_load_dword v2, off, s[40:43], 0 offset:436 ; 4-byte Folded Reload
	s_waitcnt vmcnt(0)
	v_add_co_u32_e32 v2, vcc, s10, v2
	buffer_store_dword v2, off, s[40:43], 0 offset:436 ; 4-byte Folded Spill
	buffer_load_dword v2, off, s[40:43], 0 offset:440 ; 4-byte Folded Reload
	s_waitcnt vmcnt(0)
	v_addc_co_u32_e32 v2, vcc, v2, v1, vcc
	buffer_store_dword v2, off, s[40:43], 0 offset:440 ; 4-byte Folded Spill
	buffer_load_dword v2, off, s[40:43], 0 offset:444 ; 4-byte Folded Reload
	s_waitcnt vmcnt(0)
	v_add_co_u32_e32 v2, vcc, s10, v2
	buffer_store_dword v2, off, s[40:43], 0 offset:444 ; 4-byte Folded Spill
	buffer_load_dword v2, off, s[40:43], 0 offset:448 ; 4-byte Folded Reload
	s_waitcnt vmcnt(0)
	v_addc_co_u32_e32 v2, vcc, v2, v1, vcc
	buffer_store_dword v2, off, s[40:43], 0 offset:448 ; 4-byte Folded Spill
	buffer_load_dword v2, off, s[40:43], 0 offset:452 ; 4-byte Folded Reload
	s_waitcnt vmcnt(0)
	v_add_co_u32_e32 v2, vcc, s10, v2
	buffer_store_dword v2, off, s[40:43], 0 offset:452 ; 4-byte Folded Spill
	buffer_load_dword v2, off, s[40:43], 0 offset:456 ; 4-byte Folded Reload
	s_waitcnt vmcnt(0)
	v_addc_co_u32_e32 v2, vcc, v2, v1, vcc
	buffer_store_dword v2, off, s[40:43], 0 offset:456 ; 4-byte Folded Spill
	buffer_load_dword v2, off, s[40:43], 0 offset:460 ; 4-byte Folded Reload
	s_waitcnt vmcnt(0)
	v_add_co_u32_e32 v2, vcc, s10, v2
	buffer_store_dword v2, off, s[40:43], 0 offset:460 ; 4-byte Folded Spill
	buffer_load_dword v2, off, s[40:43], 0 offset:464 ; 4-byte Folded Reload
	s_waitcnt vmcnt(0)
	v_addc_co_u32_e32 v2, vcc, v2, v1, vcc
	buffer_store_dword v2, off, s[40:43], 0 offset:464 ; 4-byte Folded Spill
	buffer_load_dword v2, off, s[40:43], 0 offset:468 ; 4-byte Folded Reload
	s_waitcnt vmcnt(0)
	v_add_co_u32_e32 v2, vcc, s10, v2
	buffer_store_dword v2, off, s[40:43], 0 offset:468 ; 4-byte Folded Spill
	buffer_load_dword v2, off, s[40:43], 0 offset:472 ; 4-byte Folded Reload
	s_waitcnt vmcnt(0)
	v_addc_co_u32_e32 v2, vcc, v2, v1, vcc
	buffer_store_dword v2, off, s[40:43], 0 offset:472 ; 4-byte Folded Spill
	buffer_load_dword v2, off, s[40:43], 0 offset:476 ; 4-byte Folded Reload
	s_waitcnt vmcnt(0)
	v_add_co_u32_e32 v2, vcc, s10, v2
	buffer_store_dword v2, off, s[40:43], 0 offset:476 ; 4-byte Folded Spill
	buffer_load_dword v2, off, s[40:43], 0 offset:480 ; 4-byte Folded Reload
	s_waitcnt vmcnt(0)
	v_addc_co_u32_e32 v2, vcc, v2, v1, vcc
	v_add_co_u32_e32 v165, vcc, s10, v165
	v_addc_co_u32_e32 v166, vcc, v166, v1, vcc
	v_add_co_u32_e32 v189, vcc, s10, v189
	;; [unrolled: 2-line block ×10, first 2 shown]
	buffer_store_dword v2, off, s[40:43], 0 offset:480 ; 4-byte Folded Spill
	v_addc_co_u32_e32 v5, vcc, v5, v1, vcc
	v_mov_b32_e32 v1, s12
	v_mov_b32_e32 v2, s13
	v_cmp_ge_i64_e32 vcc, s[18:19], v[1:2]
	s_cbranch_vccnz .LBB28_225
.LBB28_151:                             ; =>This Inner Loop Header: Depth=1
	s_add_u32 s0, s24, s16
	v_mov_b32_e32 v1, s12
	s_addc_u32 s1, 0, s17
	v_mov_b32_e32 v2, s13
	v_cmp_ge_i64_e32 vcc, s[0:1], v[1:2]
	v_add_co_u32_e64 v135, s[0:1], s24, v136
	buffer_store_dword v136, off, s[40:43], 0 offset:492 ; 4-byte Folded Spill
	v_addc_co_u32_e64 v136, s[0:1], 0, v255, s[0:1]
	s_mov_b64 s[0:1], -1
	s_and_b64 vcc, exec, vcc
                                        ; implicit-def: $vgpr131_vgpr132
                                        ; implicit-def: $vgpr141_vgpr142
                                        ; implicit-def: $vgpr143_vgpr144
                                        ; implicit-def: $vgpr1
                                        ; implicit-def: $vgpr145_vgpr146
                                        ; implicit-def: $vgpr3_vgpr4
	s_cbranch_vccz .LBB28_221
; %bb.152:                              ;   in Loop: Header=BB28_151 Depth=1
	s_load_dword s0, s[2:3], 0xc
	buffer_load_dword v1, off, s[40:43], 0 offset:484 ; 4-byte Folded Reload
	buffer_load_dword v2, off, s[40:43], 0 offset:488 ; 4-byte Folded Reload
	;; [unrolled: 1-line block ×3, first 2 shown]
	v_mov_b32_e32 v245, 0
	v_mov_b32_e32 v139, 0
	s_waitcnt lgkmcnt(0)
	s_and_b32 s0, s0, 0xffff
	v_mov_b32_e32 v137, 0
	v_mov_b32_e32 v246, 0
	v_mov_b32_e32 v140, 0
	v_mov_b32_e32 v138, 0
	s_waitcnt vmcnt(0)
	v_mad_u32_u24 v1, v1, s0, v2
	v_and_b32_e32 v1, 63, v1
	v_cmp_gt_u32_e32 vcc, 32, v1
	s_and_saveexec_b64 s[0:1], vcc
	s_cbranch_execz .LBB28_156
; %bb.153:                              ;   in Loop: Header=BB28_151 Depth=1
	v_add_co_u32_e32 v1, vcc, v135, v1
	v_addc_co_u32_e32 v2, vcc, 0, v136, vcc
	v_cmp_gt_i64_e32 vcc, s[12:13], v[1:2]
	v_mov_b32_e32 v137, 0
	v_mov_b32_e32 v139, 0
	;; [unrolled: 1-line block ×4, first 2 shown]
	s_and_saveexec_b64 s[26:27], vcc
	s_cbranch_execz .LBB28_155
; %bb.154:                              ;   in Loop: Header=BB28_151 Depth=1
	v_lshlrev_b64 v[1:2], 3, v[1:2]
	v_mov_b32_e32 v4, s23
	v_add_co_u32_e32 v3, vcc, s22, v1
	v_addc_co_u32_e32 v4, vcc, v4, v2, vcc
	v_mov_b32_e32 v131, s21
	v_add_co_u32_e32 v1, vcc, s20, v1
	v_addc_co_u32_e32 v2, vcc, v131, v2, vcc
	global_load_dwordx2 v[137:138], v[1:2], off
	global_load_dwordx2 v[139:140], v[3:4], off
.LBB28_155:                             ;   in Loop: Header=BB28_151 Depth=1
	s_or_b64 exec, exec, s[26:27]
.LBB28_156:                             ;   in Loop: Header=BB28_151 Depth=1
	s_or_b64 exec, exec, s[0:1]
	v_cmp_gt_i64_e32 vcc, s[12:13], v[135:136]
	v_mov_b32_e32 v161, 0
	v_mov_b32_e32 v162, 0
	s_and_saveexec_b64 s[0:1], vcc
	s_cbranch_execz .LBB28_158
; %bb.157:                              ;   in Loop: Header=BB28_151 Depth=1
	buffer_load_dword v1, off, s[40:43], 0 offset:16 ; 4-byte Folded Reload
	buffer_load_dword v2, off, s[40:43], 0 offset:20 ; 4-byte Folded Reload
	s_waitcnt vmcnt(1)
	v_add_co_u32_e32 v1, vcc, v1, v133
	s_waitcnt vmcnt(0)
	v_addc_co_u32_e32 v2, vcc, v2, v134, vcc
	global_load_dwordx2 v[245:246], v[1:2], off
	s_nop 0
	buffer_load_dword v1, off, s[40:43], 0 offset:28 ; 4-byte Folded Reload
	buffer_load_dword v2, off, s[40:43], 0 offset:36 ; 4-byte Folded Reload
	s_waitcnt vmcnt(1)
	v_add_co_u32_e32 v1, vcc, v1, v133
	s_waitcnt vmcnt(0)
	v_addc_co_u32_e32 v2, vcc, v2, v134, vcc
	global_load_dwordx2 v[161:162], v[1:2], off
.LBB28_158:                             ;   in Loop: Header=BB28_151 Depth=1
	s_or_b64 exec, exec, s[0:1]
	v_add_co_u32_e32 v1, vcc, 1, v135
	v_addc_co_u32_e32 v2, vcc, 0, v136, vcc
	v_cmp_gt_i64_e32 vcc, s[12:13], v[1:2]
	v_mov_b32_e32 v253, 0
	v_mov_b32_e32 v157, 0
	;; [unrolled: 1-line block ×6, first 2 shown]
	s_and_saveexec_b64 s[0:1], vcc
	s_cbranch_execz .LBB28_160
; %bb.159:                              ;   in Loop: Header=BB28_151 Depth=1
	v_add_co_u32_e32 v1, vcc, v197, v133
	v_addc_co_u32_e32 v2, vcc, v198, v134, vcc
	global_load_dwordx2 v[157:158], v[1:2], off
	v_add_co_u32_e32 v1, vcc, v0, v133
	v_addc_co_u32_e32 v2, vcc, v5, v134, vcc
	global_load_dwordx2 v[3:4], v[1:2], off
.LBB28_160:                             ;   in Loop: Header=BB28_151 Depth=1
	s_or_b64 exec, exec, s[0:1]
	v_add_co_u32_e32 v1, vcc, 2, v135
	v_addc_co_u32_e32 v2, vcc, 0, v136, vcc
	v_cmp_gt_i64_e32 vcc, s[12:13], v[1:2]
	v_mov_b32_e32 v153, 0
	v_mov_b32_e32 v154, 0
	s_and_saveexec_b64 s[0:1], vcc
	s_cbranch_execz .LBB28_162
; %bb.161:                              ;   in Loop: Header=BB28_151 Depth=1
	v_add_co_u32_e32 v1, vcc, v181, v133
	v_addc_co_u32_e32 v2, vcc, v182, v134, vcc
	global_load_dwordx2 v[253:254], v[1:2], off
	v_add_co_u32_e32 v1, vcc, v185, v133
	v_addc_co_u32_e32 v2, vcc, v186, v134, vcc
	global_load_dwordx2 v[153:154], v[1:2], off
.LBB28_162:                             ;   in Loop: Header=BB28_151 Depth=1
	s_or_b64 exec, exec, s[0:1]
	v_add_co_u32_e32 v1, vcc, 3, v135
	v_addc_co_u32_e32 v2, vcc, 0, v136, vcc
	v_cmp_gt_i64_e32 vcc, s[12:13], v[1:2]
	v_mov_b32_e32 v243, 0
	v_mov_b32_e32 v147, 0
	;; [unrolled: 1-line block ×6, first 2 shown]
	s_and_saveexec_b64 s[0:1], vcc
	s_cbranch_execz .LBB28_164
; %bb.163:                              ;   in Loop: Header=BB28_151 Depth=1
	v_add_co_u32_e32 v1, vcc, v177, v133
	v_addc_co_u32_e32 v2, vcc, v178, v134, vcc
	global_load_dwordx2 v[147:148], v[1:2], off
	v_add_co_u32_e32 v1, vcc, v193, v133
	v_addc_co_u32_e32 v2, vcc, v194, v134, vcc
	global_load_dwordx2 v[1:2], v[1:2], off
.LBB28_164:                             ;   in Loop: Header=BB28_151 Depth=1
	s_or_b64 exec, exec, s[0:1]
	v_add_co_u32_e32 v131, vcc, 4, v135
	v_addc_co_u32_e32 v132, vcc, 0, v136, vcc
	v_cmp_gt_i64_e32 vcc, s[12:13], v[131:132]
	v_mov_b32_e32 v131, 0
	v_mov_b32_e32 v132, 0
	s_and_saveexec_b64 s[0:1], vcc
	s_cbranch_execz .LBB28_166
; %bb.165:                              ;   in Loop: Header=BB28_151 Depth=1
	v_add_co_u32_e32 v131, vcc, v169, v133
	v_addc_co_u32_e32 v132, vcc, v170, v134, vcc
	global_load_dwordx2 v[243:244], v[131:132], off
	v_add_co_u32_e32 v131, vcc, v173, v133
	v_addc_co_u32_e32 v132, vcc, v174, v134, vcc
	global_load_dwordx2 v[131:132], v[131:132], off
.LBB28_166:                             ;   in Loop: Header=BB28_151 Depth=1
	s_or_b64 exec, exec, s[0:1]
	v_add_co_u32_e32 v141, vcc, 5, v135
	v_addc_co_u32_e32 v142, vcc, 0, v136, vcc
	v_cmp_gt_i64_e32 vcc, s[12:13], v[141:142]
	v_mov_b32_e32 v235, 0
	v_mov_b32_e32 v249, 0
	;; [unrolled: 1-line block ×6, first 2 shown]
	s_and_saveexec_b64 s[0:1], vcc
	s_cbranch_execz .LBB28_168
; %bb.167:                              ;   in Loop: Header=BB28_151 Depth=1
	v_add_co_u32_e32 v141, vcc, v165, v133
	v_addc_co_u32_e32 v142, vcc, v166, v134, vcc
	global_load_dwordx2 v[249:250], v[141:142], off
	v_add_co_u32_e32 v141, vcc, v189, v133
	v_addc_co_u32_e32 v142, vcc, v190, v134, vcc
	global_load_dwordx2 v[251:252], v[141:142], off
.LBB28_168:                             ;   in Loop: Header=BB28_151 Depth=1
	s_or_b64 exec, exec, s[0:1]
	v_add_co_u32_e32 v141, vcc, 6, v135
	v_addc_co_u32_e32 v142, vcc, 0, v136, vcc
	v_cmp_gt_i64_e32 vcc, s[12:13], v[141:142]
	v_mov_b32_e32 v247, 0
	v_mov_b32_e32 v248, 0
	s_and_saveexec_b64 s[0:1], vcc
	s_cbranch_execz .LBB28_170
; %bb.169:                              ;   in Loop: Header=BB28_151 Depth=1
	buffer_load_dword v141, off, s[40:43], 0 offset:468 ; 4-byte Folded Reload
	buffer_load_dword v142, off, s[40:43], 0 offset:472 ; 4-byte Folded Reload
	s_waitcnt vmcnt(1)
	v_add_co_u32_e32 v141, vcc, v141, v133
	s_waitcnt vmcnt(0)
	v_addc_co_u32_e32 v142, vcc, v142, v134, vcc
	global_load_dwordx2 v[235:236], v[141:142], off
	s_nop 0
	buffer_load_dword v141, off, s[40:43], 0 offset:476 ; 4-byte Folded Reload
	buffer_load_dword v142, off, s[40:43], 0 offset:480 ; 4-byte Folded Reload
	s_waitcnt vmcnt(1)
	v_add_co_u32_e32 v141, vcc, v141, v133
	s_waitcnt vmcnt(0)
	v_addc_co_u32_e32 v142, vcc, v142, v134, vcc
	global_load_dwordx2 v[247:248], v[141:142], off
.LBB28_170:                             ;   in Loop: Header=BB28_151 Depth=1
	s_or_b64 exec, exec, s[0:1]
	v_add_co_u32_e32 v141, vcc, 7, v135
	v_addc_co_u32_e32 v142, vcc, 0, v136, vcc
	v_cmp_gt_i64_e32 vcc, s[12:13], v[141:142]
	v_mov_b32_e32 v227, 0
	v_mov_b32_e32 v239, 0
	v_mov_b32_e32 v241, 0
	v_mov_b32_e32 v228, 0
	v_mov_b32_e32 v240, 0
	v_mov_b32_e32 v242, 0
	s_and_saveexec_b64 s[0:1], vcc
	s_cbranch_execz .LBB28_172
; %bb.171:                              ;   in Loop: Header=BB28_151 Depth=1
	buffer_load_dword v141, off, s[40:43], 0 offset:452 ; 4-byte Folded Reload
	buffer_load_dword v142, off, s[40:43], 0 offset:456 ; 4-byte Folded Reload
	s_waitcnt vmcnt(1)
	v_add_co_u32_e32 v141, vcc, v141, v133
	s_waitcnt vmcnt(0)
	v_addc_co_u32_e32 v142, vcc, v142, v134, vcc
	global_load_dwordx2 v[239:240], v[141:142], off
	s_nop 0
	buffer_load_dword v141, off, s[40:43], 0 offset:460 ; 4-byte Folded Reload
	buffer_load_dword v142, off, s[40:43], 0 offset:464 ; 4-byte Folded Reload
	s_waitcnt vmcnt(1)
	v_add_co_u32_e32 v141, vcc, v141, v133
	s_waitcnt vmcnt(0)
	v_addc_co_u32_e32 v142, vcc, v142, v134, vcc
	global_load_dwordx2 v[241:242], v[141:142], off
.LBB28_172:                             ;   in Loop: Header=BB28_151 Depth=1
	s_or_b64 exec, exec, s[0:1]
	v_add_co_u32_e32 v141, vcc, 8, v135
	v_addc_co_u32_e32 v142, vcc, 0, v136, vcc
	v_cmp_gt_i64_e32 vcc, s[12:13], v[141:142]
	v_mov_b32_e32 v237, 0
	v_mov_b32_e32 v238, 0
	s_and_saveexec_b64 s[0:1], vcc
	s_cbranch_execz .LBB28_174
; %bb.173:                              ;   in Loop: Header=BB28_151 Depth=1
	buffer_load_dword v141, off, s[40:43], 0 offset:436 ; 4-byte Folded Reload
	buffer_load_dword v142, off, s[40:43], 0 offset:440 ; 4-byte Folded Reload
	s_waitcnt vmcnt(1)
	v_add_co_u32_e32 v141, vcc, v141, v133
	s_waitcnt vmcnt(0)
	v_addc_co_u32_e32 v142, vcc, v142, v134, vcc
	global_load_dwordx2 v[227:228], v[141:142], off
	s_nop 0
	buffer_load_dword v141, off, s[40:43], 0 offset:444 ; 4-byte Folded Reload
	buffer_load_dword v142, off, s[40:43], 0 offset:448 ; 4-byte Folded Reload
	s_waitcnt vmcnt(1)
	v_add_co_u32_e32 v141, vcc, v141, v133
	s_waitcnt vmcnt(0)
	v_addc_co_u32_e32 v142, vcc, v142, v134, vcc
	global_load_dwordx2 v[237:238], v[141:142], off
.LBB28_174:                             ;   in Loop: Header=BB28_151 Depth=1
	s_or_b64 exec, exec, s[0:1]
	v_add_co_u32_e32 v141, vcc, 9, v135
	v_addc_co_u32_e32 v142, vcc, 0, v136, vcc
	v_cmp_gt_i64_e32 vcc, s[12:13], v[141:142]
	v_mov_b32_e32 v219, 0
	v_mov_b32_e32 v231, 0
	v_mov_b32_e32 v233, 0
	v_mov_b32_e32 v220, 0
	v_mov_b32_e32 v232, 0
	v_mov_b32_e32 v234, 0
	s_and_saveexec_b64 s[0:1], vcc
	s_cbranch_execz .LBB28_176
; %bb.175:                              ;   in Loop: Header=BB28_151 Depth=1
	buffer_load_dword v141, off, s[40:43], 0 offset:420 ; 4-byte Folded Reload
	buffer_load_dword v142, off, s[40:43], 0 offset:424 ; 4-byte Folded Reload
	s_waitcnt vmcnt(1)
	v_add_co_u32_e32 v141, vcc, v141, v133
	s_waitcnt vmcnt(0)
	v_addc_co_u32_e32 v142, vcc, v142, v134, vcc
	global_load_dwordx2 v[231:232], v[141:142], off
	s_nop 0
	buffer_load_dword v141, off, s[40:43], 0 offset:428 ; 4-byte Folded Reload
	buffer_load_dword v142, off, s[40:43], 0 offset:432 ; 4-byte Folded Reload
	s_waitcnt vmcnt(1)
	v_add_co_u32_e32 v141, vcc, v141, v133
	s_waitcnt vmcnt(0)
	v_addc_co_u32_e32 v142, vcc, v142, v134, vcc
	global_load_dwordx2 v[233:234], v[141:142], off
.LBB28_176:                             ;   in Loop: Header=BB28_151 Depth=1
	;; [unrolled: 54-line block ×5, first 2 shown]
	s_or_b64 exec, exec, s[0:1]
	v_add_co_u32_e32 v141, vcc, 16, v135
	v_addc_co_u32_e32 v142, vcc, 0, v136, vcc
	v_cmp_gt_i64_e32 vcc, s[12:13], v[141:142]
	v_mov_b32_e32 v141, 0
	v_mov_b32_e32 v142, 0
	buffer_store_dword v141, off, s[40:43], 0 offset:576 ; 4-byte Folded Spill
	s_nop 0
	buffer_store_dword v142, off, s[40:43], 0 offset:580 ; 4-byte Folded Spill
	s_and_saveexec_b64 s[0:1], vcc
	s_cbranch_execz .LBB28_190
; %bb.189:                              ;   in Loop: Header=BB28_151 Depth=1
	buffer_load_dword v141, off, s[40:43], 0 offset:308 ; 4-byte Folded Reload
	buffer_load_dword v142, off, s[40:43], 0 offset:312 ; 4-byte Folded Reload
	s_waitcnt vmcnt(1)
	v_add_co_u32_e32 v141, vcc, v141, v133
	s_waitcnt vmcnt(0)
	v_addc_co_u32_e32 v142, vcc, v142, v134, vcc
	global_load_dwordx2 v[195:196], v[141:142], off
	s_nop 0
	buffer_load_dword v141, off, s[40:43], 0 offset:316 ; 4-byte Folded Reload
	buffer_load_dword v142, off, s[40:43], 0 offset:320 ; 4-byte Folded Reload
	s_waitcnt vmcnt(1)
	v_add_co_u32_e32 v141, vcc, v141, v133
	s_waitcnt vmcnt(0)
	v_addc_co_u32_e32 v142, vcc, v142, v134, vcc
	global_load_dwordx2 v[141:142], v[141:142], off
	s_waitcnt vmcnt(0)
	buffer_store_dword v141, off, s[40:43], 0 offset:576 ; 4-byte Folded Spill
	s_nop 0
	buffer_store_dword v142, off, s[40:43], 0 offset:580 ; 4-byte Folded Spill
.LBB28_190:                             ;   in Loop: Header=BB28_151 Depth=1
	s_or_b64 exec, exec, s[0:1]
	v_add_co_u32_e32 v141, vcc, 17, v135
	v_addc_co_u32_e32 v142, vcc, 0, v136, vcc
	v_cmp_gt_i64_e32 vcc, s[12:13], v[141:142]
	v_mov_b32_e32 v187, 0
	v_mov_b32_e32 v199, 0
	;; [unrolled: 1-line block ×6, first 2 shown]
	buffer_store_dword v141, off, s[40:43], 0 offset:568 ; 4-byte Folded Spill
	s_nop 0
	buffer_store_dword v142, off, s[40:43], 0 offset:572 ; 4-byte Folded Spill
	s_and_saveexec_b64 s[0:1], vcc
	s_cbranch_execz .LBB28_192
; %bb.191:                              ;   in Loop: Header=BB28_151 Depth=1
	buffer_load_dword v141, off, s[40:43], 0 offset:292 ; 4-byte Folded Reload
	buffer_load_dword v142, off, s[40:43], 0 offset:296 ; 4-byte Folded Reload
	s_waitcnt vmcnt(1)
	v_add_co_u32_e32 v141, vcc, v141, v133
	s_waitcnt vmcnt(0)
	v_addc_co_u32_e32 v142, vcc, v142, v134, vcc
	global_load_dwordx2 v[199:200], v[141:142], off
	s_nop 0
	buffer_load_dword v141, off, s[40:43], 0 offset:300 ; 4-byte Folded Reload
	buffer_load_dword v142, off, s[40:43], 0 offset:304 ; 4-byte Folded Reload
	s_waitcnt vmcnt(1)
	v_add_co_u32_e32 v141, vcc, v141, v133
	s_waitcnt vmcnt(0)
	v_addc_co_u32_e32 v142, vcc, v142, v134, vcc
	global_load_dwordx2 v[141:142], v[141:142], off
	s_waitcnt vmcnt(0)
	buffer_store_dword v141, off, s[40:43], 0 offset:568 ; 4-byte Folded Spill
	s_nop 0
	buffer_store_dword v142, off, s[40:43], 0 offset:572 ; 4-byte Folded Spill
.LBB28_192:                             ;   in Loop: Header=BB28_151 Depth=1
	s_or_b64 exec, exec, s[0:1]
	v_add_co_u32_e32 v141, vcc, 18, v135
	v_addc_co_u32_e32 v142, vcc, 0, v136, vcc
	v_cmp_gt_i64_e32 vcc, s[12:13], v[141:142]
	v_mov_b32_e32 v141, 0
	v_mov_b32_e32 v142, 0
	buffer_store_dword v141, off, s[40:43], 0 offset:560 ; 4-byte Folded Spill
	s_nop 0
	buffer_store_dword v142, off, s[40:43], 0 offset:564 ; 4-byte Folded Spill
	s_and_saveexec_b64 s[0:1], vcc
	s_cbranch_execz .LBB28_194
; %bb.193:                              ;   in Loop: Header=BB28_151 Depth=1
	buffer_load_dword v141, off, s[40:43], 0 offset:276 ; 4-byte Folded Reload
	buffer_load_dword v142, off, s[40:43], 0 offset:280 ; 4-byte Folded Reload
	s_waitcnt vmcnt(1)
	v_add_co_u32_e32 v141, vcc, v141, v133
	s_waitcnt vmcnt(0)
	v_addc_co_u32_e32 v142, vcc, v142, v134, vcc
	global_load_dwordx2 v[187:188], v[141:142], off
	s_nop 0
	buffer_load_dword v141, off, s[40:43], 0 offset:284 ; 4-byte Folded Reload
	buffer_load_dword v142, off, s[40:43], 0 offset:288 ; 4-byte Folded Reload
	s_waitcnt vmcnt(1)
	v_add_co_u32_e32 v141, vcc, v141, v133
	s_waitcnt vmcnt(0)
	v_addc_co_u32_e32 v142, vcc, v142, v134, vcc
	global_load_dwordx2 v[141:142], v[141:142], off
	s_waitcnt vmcnt(0)
	buffer_store_dword v141, off, s[40:43], 0 offset:560 ; 4-byte Folded Spill
	s_nop 0
	buffer_store_dword v142, off, s[40:43], 0 offset:564 ; 4-byte Folded Spill
.LBB28_194:                             ;   in Loop: Header=BB28_151 Depth=1
	s_or_b64 exec, exec, s[0:1]
	v_add_co_u32_e32 v141, vcc, 19, v135
	v_addc_co_u32_e32 v142, vcc, 0, v136, vcc
	v_cmp_gt_i64_e32 vcc, s[12:13], v[141:142]
	v_mov_b32_e32 v179, 0
	v_mov_b32_e32 v191, 0
	;; [unrolled: 1-line block ×6, first 2 shown]
	buffer_store_dword v141, off, s[40:43], 0 offset:552 ; 4-byte Folded Spill
	s_nop 0
	buffer_store_dword v142, off, s[40:43], 0 offset:556 ; 4-byte Folded Spill
	s_and_saveexec_b64 s[0:1], vcc
	s_cbranch_execz .LBB28_196
; %bb.195:                              ;   in Loop: Header=BB28_151 Depth=1
	buffer_load_dword v141, off, s[40:43], 0 offset:260 ; 4-byte Folded Reload
	buffer_load_dword v142, off, s[40:43], 0 offset:264 ; 4-byte Folded Reload
	s_waitcnt vmcnt(1)
	v_add_co_u32_e32 v141, vcc, v141, v133
	s_waitcnt vmcnt(0)
	v_addc_co_u32_e32 v142, vcc, v142, v134, vcc
	global_load_dwordx2 v[191:192], v[141:142], off
	s_nop 0
	buffer_load_dword v141, off, s[40:43], 0 offset:268 ; 4-byte Folded Reload
	buffer_load_dword v142, off, s[40:43], 0 offset:272 ; 4-byte Folded Reload
	s_waitcnt vmcnt(1)
	v_add_co_u32_e32 v141, vcc, v141, v133
	s_waitcnt vmcnt(0)
	v_addc_co_u32_e32 v142, vcc, v142, v134, vcc
	global_load_dwordx2 v[141:142], v[141:142], off
	s_waitcnt vmcnt(0)
	buffer_store_dword v141, off, s[40:43], 0 offset:552 ; 4-byte Folded Spill
	s_nop 0
	buffer_store_dword v142, off, s[40:43], 0 offset:556 ; 4-byte Folded Spill
.LBB28_196:                             ;   in Loop: Header=BB28_151 Depth=1
	s_or_b64 exec, exec, s[0:1]
	v_add_co_u32_e32 v141, vcc, 20, v135
	v_addc_co_u32_e32 v142, vcc, 0, v136, vcc
	v_cmp_gt_i64_e32 vcc, s[12:13], v[141:142]
	v_mov_b32_e32 v141, 0
	v_mov_b32_e32 v142, 0
	buffer_store_dword v141, off, s[40:43], 0 offset:544 ; 4-byte Folded Spill
	s_nop 0
	buffer_store_dword v142, off, s[40:43], 0 offset:548 ; 4-byte Folded Spill
	s_and_saveexec_b64 s[0:1], vcc
	s_cbranch_execz .LBB28_198
; %bb.197:                              ;   in Loop: Header=BB28_151 Depth=1
	buffer_load_dword v141, off, s[40:43], 0 offset:244 ; 4-byte Folded Reload
	buffer_load_dword v142, off, s[40:43], 0 offset:248 ; 4-byte Folded Reload
	s_waitcnt vmcnt(1)
	v_add_co_u32_e32 v141, vcc, v141, v133
	s_waitcnt vmcnt(0)
	v_addc_co_u32_e32 v142, vcc, v142, v134, vcc
	global_load_dwordx2 v[179:180], v[141:142], off
	s_nop 0
	buffer_load_dword v141, off, s[40:43], 0 offset:252 ; 4-byte Folded Reload
	buffer_load_dword v142, off, s[40:43], 0 offset:256 ; 4-byte Folded Reload
	s_waitcnt vmcnt(1)
	v_add_co_u32_e32 v141, vcc, v141, v133
	s_waitcnt vmcnt(0)
	v_addc_co_u32_e32 v142, vcc, v142, v134, vcc
	global_load_dwordx2 v[141:142], v[141:142], off
	s_waitcnt vmcnt(0)
	buffer_store_dword v141, off, s[40:43], 0 offset:544 ; 4-byte Folded Spill
	s_nop 0
	buffer_store_dword v142, off, s[40:43], 0 offset:548 ; 4-byte Folded Spill
.LBB28_198:                             ;   in Loop: Header=BB28_151 Depth=1
	s_or_b64 exec, exec, s[0:1]
	v_add_co_u32_e32 v141, vcc, 21, v135
	v_addc_co_u32_e32 v142, vcc, 0, v136, vcc
	v_cmp_gt_i64_e32 vcc, s[12:13], v[141:142]
	v_mov_b32_e32 v171, 0
	v_mov_b32_e32 v183, 0
	;; [unrolled: 1-line block ×6, first 2 shown]
	buffer_store_dword v141, off, s[40:43], 0 offset:536 ; 4-byte Folded Spill
	s_nop 0
	buffer_store_dword v142, off, s[40:43], 0 offset:540 ; 4-byte Folded Spill
	s_and_saveexec_b64 s[0:1], vcc
	s_cbranch_execz .LBB28_200
; %bb.199:                              ;   in Loop: Header=BB28_151 Depth=1
	buffer_load_dword v141, off, s[40:43], 0 offset:228 ; 4-byte Folded Reload
	buffer_load_dword v142, off, s[40:43], 0 offset:232 ; 4-byte Folded Reload
	s_waitcnt vmcnt(1)
	v_add_co_u32_e32 v141, vcc, v141, v133
	s_waitcnt vmcnt(0)
	v_addc_co_u32_e32 v142, vcc, v142, v134, vcc
	global_load_dwordx2 v[183:184], v[141:142], off
	s_nop 0
	buffer_load_dword v141, off, s[40:43], 0 offset:236 ; 4-byte Folded Reload
	buffer_load_dword v142, off, s[40:43], 0 offset:240 ; 4-byte Folded Reload
	s_waitcnt vmcnt(1)
	v_add_co_u32_e32 v141, vcc, v141, v133
	s_waitcnt vmcnt(0)
	v_addc_co_u32_e32 v142, vcc, v142, v134, vcc
	global_load_dwordx2 v[141:142], v[141:142], off
	s_waitcnt vmcnt(0)
	buffer_store_dword v141, off, s[40:43], 0 offset:536 ; 4-byte Folded Spill
	s_nop 0
	buffer_store_dword v142, off, s[40:43], 0 offset:540 ; 4-byte Folded Spill
.LBB28_200:                             ;   in Loop: Header=BB28_151 Depth=1
	s_or_b64 exec, exec, s[0:1]
	v_add_co_u32_e32 v141, vcc, 22, v135
	v_addc_co_u32_e32 v142, vcc, 0, v136, vcc
	v_cmp_gt_i64_e32 vcc, s[12:13], v[141:142]
	v_mov_b32_e32 v141, 0
	v_mov_b32_e32 v142, 0
	buffer_store_dword v141, off, s[40:43], 0 offset:528 ; 4-byte Folded Spill
	s_nop 0
	buffer_store_dword v142, off, s[40:43], 0 offset:532 ; 4-byte Folded Spill
	s_and_saveexec_b64 s[0:1], vcc
	s_cbranch_execz .LBB28_202
; %bb.201:                              ;   in Loop: Header=BB28_151 Depth=1
	buffer_load_dword v141, off, s[40:43], 0 offset:212 ; 4-byte Folded Reload
	buffer_load_dword v142, off, s[40:43], 0 offset:216 ; 4-byte Folded Reload
	s_waitcnt vmcnt(1)
	v_add_co_u32_e32 v141, vcc, v141, v133
	s_waitcnt vmcnt(0)
	v_addc_co_u32_e32 v142, vcc, v142, v134, vcc
	global_load_dwordx2 v[171:172], v[141:142], off
	s_nop 0
	buffer_load_dword v141, off, s[40:43], 0 offset:220 ; 4-byte Folded Reload
	buffer_load_dword v142, off, s[40:43], 0 offset:224 ; 4-byte Folded Reload
	s_waitcnt vmcnt(1)
	v_add_co_u32_e32 v141, vcc, v141, v133
	s_waitcnt vmcnt(0)
	v_addc_co_u32_e32 v142, vcc, v142, v134, vcc
	global_load_dwordx2 v[141:142], v[141:142], off
	s_waitcnt vmcnt(0)
	buffer_store_dword v141, off, s[40:43], 0 offset:528 ; 4-byte Folded Spill
	s_nop 0
	buffer_store_dword v142, off, s[40:43], 0 offset:532 ; 4-byte Folded Spill
.LBB28_202:                             ;   in Loop: Header=BB28_151 Depth=1
	s_or_b64 exec, exec, s[0:1]
	v_add_co_u32_e32 v141, vcc, 23, v135
	v_addc_co_u32_e32 v142, vcc, 0, v136, vcc
	v_cmp_gt_i64_e32 vcc, s[12:13], v[141:142]
	v_mov_b32_e32 v163, 0
	v_mov_b32_e32 v175, 0
	;; [unrolled: 1-line block ×6, first 2 shown]
	buffer_store_dword v141, off, s[40:43], 0 offset:520 ; 4-byte Folded Spill
	s_nop 0
	buffer_store_dword v142, off, s[40:43], 0 offset:524 ; 4-byte Folded Spill
	s_and_saveexec_b64 s[0:1], vcc
	s_cbranch_execz .LBB28_204
; %bb.203:                              ;   in Loop: Header=BB28_151 Depth=1
	buffer_load_dword v141, off, s[40:43], 0 offset:196 ; 4-byte Folded Reload
	buffer_load_dword v142, off, s[40:43], 0 offset:200 ; 4-byte Folded Reload
	s_waitcnt vmcnt(1)
	v_add_co_u32_e32 v141, vcc, v141, v133
	s_waitcnt vmcnt(0)
	v_addc_co_u32_e32 v142, vcc, v142, v134, vcc
	global_load_dwordx2 v[175:176], v[141:142], off
	s_nop 0
	buffer_load_dword v141, off, s[40:43], 0 offset:204 ; 4-byte Folded Reload
	buffer_load_dword v142, off, s[40:43], 0 offset:208 ; 4-byte Folded Reload
	s_waitcnt vmcnt(1)
	v_add_co_u32_e32 v141, vcc, v141, v133
	s_waitcnt vmcnt(0)
	v_addc_co_u32_e32 v142, vcc, v142, v134, vcc
	global_load_dwordx2 v[141:142], v[141:142], off
	s_waitcnt vmcnt(0)
	buffer_store_dword v141, off, s[40:43], 0 offset:520 ; 4-byte Folded Spill
	s_nop 0
	buffer_store_dword v142, off, s[40:43], 0 offset:524 ; 4-byte Folded Spill
.LBB28_204:                             ;   in Loop: Header=BB28_151 Depth=1
	s_or_b64 exec, exec, s[0:1]
	v_add_co_u32_e32 v141, vcc, 24, v135
	v_addc_co_u32_e32 v142, vcc, 0, v136, vcc
	v_cmp_gt_i64_e32 vcc, s[12:13], v[141:142]
	v_mov_b32_e32 v141, 0
	v_mov_b32_e32 v142, 0
	buffer_store_dword v141, off, s[40:43], 0 offset:512 ; 4-byte Folded Spill
	s_nop 0
	buffer_store_dword v142, off, s[40:43], 0 offset:516 ; 4-byte Folded Spill
	s_and_saveexec_b64 s[0:1], vcc
	s_cbranch_execz .LBB28_206
; %bb.205:                              ;   in Loop: Header=BB28_151 Depth=1
	buffer_load_dword v141, off, s[40:43], 0 offset:180 ; 4-byte Folded Reload
	buffer_load_dword v142, off, s[40:43], 0 offset:184 ; 4-byte Folded Reload
	s_waitcnt vmcnt(1)
	v_add_co_u32_e32 v141, vcc, v141, v133
	s_waitcnt vmcnt(0)
	v_addc_co_u32_e32 v142, vcc, v142, v134, vcc
	global_load_dwordx2 v[163:164], v[141:142], off
	s_nop 0
	buffer_load_dword v141, off, s[40:43], 0 offset:188 ; 4-byte Folded Reload
	buffer_load_dword v142, off, s[40:43], 0 offset:192 ; 4-byte Folded Reload
	s_waitcnt vmcnt(1)
	v_add_co_u32_e32 v141, vcc, v141, v133
	s_waitcnt vmcnt(0)
	v_addc_co_u32_e32 v142, vcc, v142, v134, vcc
	global_load_dwordx2 v[141:142], v[141:142], off
	s_waitcnt vmcnt(0)
	buffer_store_dword v141, off, s[40:43], 0 offset:512 ; 4-byte Folded Spill
	s_nop 0
	buffer_store_dword v142, off, s[40:43], 0 offset:516 ; 4-byte Folded Spill
.LBB28_206:                             ;   in Loop: Header=BB28_151 Depth=1
	s_or_b64 exec, exec, s[0:1]
	v_add_co_u32_e32 v141, vcc, 25, v135
	v_addc_co_u32_e32 v142, vcc, 0, v136, vcc
	v_cmp_gt_i64_e32 vcc, s[12:13], v[141:142]
	v_mov_b32_e32 v155, 0
	v_mov_b32_e32 v167, 0
	;; [unrolled: 1-line block ×6, first 2 shown]
	buffer_store_dword v141, off, s[40:43], 0 offset:504 ; 4-byte Folded Spill
	s_nop 0
	buffer_store_dword v142, off, s[40:43], 0 offset:508 ; 4-byte Folded Spill
	s_and_saveexec_b64 s[0:1], vcc
	s_cbranch_execz .LBB28_208
; %bb.207:                              ;   in Loop: Header=BB28_151 Depth=1
	buffer_load_dword v141, off, s[40:43], 0 offset:164 ; 4-byte Folded Reload
	buffer_load_dword v142, off, s[40:43], 0 offset:168 ; 4-byte Folded Reload
	s_waitcnt vmcnt(1)
	v_add_co_u32_e32 v141, vcc, v141, v133
	s_waitcnt vmcnt(0)
	v_addc_co_u32_e32 v142, vcc, v142, v134, vcc
	global_load_dwordx2 v[167:168], v[141:142], off
	s_nop 0
	buffer_load_dword v141, off, s[40:43], 0 offset:172 ; 4-byte Folded Reload
	buffer_load_dword v142, off, s[40:43], 0 offset:176 ; 4-byte Folded Reload
	s_waitcnt vmcnt(1)
	v_add_co_u32_e32 v141, vcc, v141, v133
	s_waitcnt vmcnt(0)
	v_addc_co_u32_e32 v142, vcc, v142, v134, vcc
	global_load_dwordx2 v[141:142], v[141:142], off
	s_waitcnt vmcnt(0)
	buffer_store_dword v141, off, s[40:43], 0 offset:504 ; 4-byte Folded Spill
	s_nop 0
	buffer_store_dword v142, off, s[40:43], 0 offset:508 ; 4-byte Folded Spill
.LBB28_208:                             ;   in Loop: Header=BB28_151 Depth=1
	s_or_b64 exec, exec, s[0:1]
	v_add_co_u32_e32 v141, vcc, 26, v135
	v_addc_co_u32_e32 v142, vcc, 0, v136, vcc
	v_cmp_gt_i64_e32 vcc, s[12:13], v[141:142]
	v_mov_b32_e32 v141, 0
	v_mov_b32_e32 v142, 0
	buffer_store_dword v141, off, s[40:43], 0 offset:496 ; 4-byte Folded Spill
	s_nop 0
	buffer_store_dword v142, off, s[40:43], 0 offset:500 ; 4-byte Folded Spill
	s_and_saveexec_b64 s[0:1], vcc
	s_cbranch_execz .LBB28_210
; %bb.209:                              ;   in Loop: Header=BB28_151 Depth=1
	buffer_load_dword v141, off, s[40:43], 0 offset:148 ; 4-byte Folded Reload
	buffer_load_dword v142, off, s[40:43], 0 offset:152 ; 4-byte Folded Reload
	s_waitcnt vmcnt(1)
	v_add_co_u32_e32 v141, vcc, v141, v133
	s_waitcnt vmcnt(0)
	v_addc_co_u32_e32 v142, vcc, v142, v134, vcc
	global_load_dwordx2 v[155:156], v[141:142], off
	s_nop 0
	buffer_load_dword v141, off, s[40:43], 0 offset:156 ; 4-byte Folded Reload
	buffer_load_dword v142, off, s[40:43], 0 offset:160 ; 4-byte Folded Reload
	s_waitcnt vmcnt(1)
	v_add_co_u32_e32 v141, vcc, v141, v133
	s_waitcnt vmcnt(0)
	v_addc_co_u32_e32 v142, vcc, v142, v134, vcc
	global_load_dwordx2 v[141:142], v[141:142], off
	s_waitcnt vmcnt(0)
	buffer_store_dword v141, off, s[40:43], 0 offset:496 ; 4-byte Folded Spill
	s_nop 0
	buffer_store_dword v142, off, s[40:43], 0 offset:500 ; 4-byte Folded Spill
.LBB28_210:                             ;   in Loop: Header=BB28_151 Depth=1
	s_or_b64 exec, exec, s[0:1]
	v_add_co_u32_e32 v141, vcc, 27, v135
	v_addc_co_u32_e32 v142, vcc, 0, v136, vcc
	v_cmp_gt_i64_e32 vcc, s[12:13], v[141:142]
	v_mov_b32_e32 v149, 0
	v_mov_b32_e32 v159, 0
	;; [unrolled: 1-line block ×6, first 2 shown]
	s_and_saveexec_b64 s[0:1], vcc
	s_cbranch_execz .LBB28_212
; %bb.211:                              ;   in Loop: Header=BB28_151 Depth=1
	buffer_load_dword v141, off, s[40:43], 0 offset:132 ; 4-byte Folded Reload
	buffer_load_dword v142, off, s[40:43], 0 offset:136 ; 4-byte Folded Reload
	s_waitcnt vmcnt(1)
	v_add_co_u32_e32 v141, vcc, v141, v133
	s_waitcnt vmcnt(0)
	v_addc_co_u32_e32 v142, vcc, v142, v134, vcc
	global_load_dwordx2 v[159:160], v[141:142], off
	s_nop 0
	buffer_load_dword v141, off, s[40:43], 0 offset:140 ; 4-byte Folded Reload
	buffer_load_dword v142, off, s[40:43], 0 offset:144 ; 4-byte Folded Reload
	s_waitcnt vmcnt(1)
	v_add_co_u32_e32 v141, vcc, v141, v133
	s_waitcnt vmcnt(0)
	v_addc_co_u32_e32 v142, vcc, v142, v134, vcc
	global_load_dwordx2 v[205:206], v[141:142], off
.LBB28_212:                             ;   in Loop: Header=BB28_151 Depth=1
	s_or_b64 exec, exec, s[0:1]
	v_add_co_u32_e32 v141, vcc, 28, v135
	v_addc_co_u32_e32 v142, vcc, 0, v136, vcc
	v_cmp_gt_i64_e32 vcc, s[12:13], v[141:142]
	v_mov_b32_e32 v201, 0
	v_mov_b32_e32 v202, 0
	s_and_saveexec_b64 s[0:1], vcc
	s_cbranch_execz .LBB28_214
; %bb.213:                              ;   in Loop: Header=BB28_151 Depth=1
	buffer_load_dword v141, off, s[40:43], 0 offset:116 ; 4-byte Folded Reload
	buffer_load_dword v142, off, s[40:43], 0 offset:120 ; 4-byte Folded Reload
	s_waitcnt vmcnt(1)
	v_add_co_u32_e32 v141, vcc, v141, v133
	s_waitcnt vmcnt(0)
	v_addc_co_u32_e32 v142, vcc, v142, v134, vcc
	global_load_dwordx2 v[149:150], v[141:142], off
	s_nop 0
	buffer_load_dword v141, off, s[40:43], 0 offset:124 ; 4-byte Folded Reload
	buffer_load_dword v142, off, s[40:43], 0 offset:128 ; 4-byte Folded Reload
	s_waitcnt vmcnt(1)
	v_add_co_u32_e32 v141, vcc, v141, v133
	s_waitcnt vmcnt(0)
	v_addc_co_u32_e32 v142, vcc, v142, v134, vcc
	global_load_dwordx2 v[201:202], v[141:142], off
.LBB28_214:                             ;   in Loop: Header=BB28_151 Depth=1
	s_or_b64 exec, exec, s[0:1]
	v_add_co_u32_e32 v141, vcc, 29, v135
	v_addc_co_u32_e32 v142, vcc, 0, v136, vcc
	v_cmp_gt_i64_e32 vcc, s[12:13], v[141:142]
	v_mov_b32_e32 v145, 0
	v_mov_b32_e32 v151, 0
	;; [unrolled: 1-line block ×6, first 2 shown]
	s_and_saveexec_b64 s[0:1], vcc
	s_cbranch_execz .LBB28_216
; %bb.215:                              ;   in Loop: Header=BB28_151 Depth=1
	buffer_load_dword v141, off, s[40:43], 0 offset:100 ; 4-byte Folded Reload
	buffer_load_dword v142, off, s[40:43], 0 offset:104 ; 4-byte Folded Reload
	s_waitcnt vmcnt(1)
	v_add_co_u32_e32 v141, vcc, v141, v133
	s_waitcnt vmcnt(0)
	v_addc_co_u32_e32 v142, vcc, v142, v134, vcc
	global_load_dwordx2 v[151:152], v[141:142], off
	s_nop 0
	buffer_load_dword v141, off, s[40:43], 0 offset:108 ; 4-byte Folded Reload
	buffer_load_dword v142, off, s[40:43], 0 offset:112 ; 4-byte Folded Reload
	s_waitcnt vmcnt(1)
	v_add_co_u32_e32 v141, vcc, v141, v133
	s_waitcnt vmcnt(0)
	v_addc_co_u32_e32 v142, vcc, v142, v134, vcc
	global_load_dwordx2 v[143:144], v[141:142], off
.LBB28_216:                             ;   in Loop: Header=BB28_151 Depth=1
	s_or_b64 exec, exec, s[0:1]
	v_add_co_u32_e32 v141, vcc, 30, v135
	v_addc_co_u32_e32 v142, vcc, 0, v136, vcc
	v_cmp_gt_i64_e32 vcc, s[12:13], v[141:142]
	v_mov_b32_e32 v141, 0
	v_mov_b32_e32 v142, 0
	s_and_saveexec_b64 s[0:1], vcc
	s_cbranch_execz .LBB28_218
; %bb.217:                              ;   in Loop: Header=BB28_151 Depth=1
	buffer_load_dword v141, off, s[40:43], 0 offset:80 ; 4-byte Folded Reload
	buffer_load_dword v142, off, s[40:43], 0 offset:88 ; 4-byte Folded Reload
	s_waitcnt vmcnt(1)
	v_add_co_u32_e32 v141, vcc, v141, v133
	s_waitcnt vmcnt(0)
	v_addc_co_u32_e32 v142, vcc, v142, v134, vcc
	global_load_dwordx2 v[145:146], v[141:142], off
	s_nop 0
	buffer_load_dword v141, off, s[40:43], 0 offset:92 ; 4-byte Folded Reload
	buffer_load_dword v142, off, s[40:43], 0 offset:96 ; 4-byte Folded Reload
	s_waitcnt vmcnt(1)
	v_add_co_u32_e32 v141, vcc, v141, v133
	s_waitcnt vmcnt(0)
	v_addc_co_u32_e32 v142, vcc, v142, v134, vcc
	global_load_dwordx2 v[141:142], v[141:142], off
.LBB28_218:                             ;   in Loop: Header=BB28_151 Depth=1
	s_or_b64 exec, exec, s[0:1]
	s_waitcnt vmcnt(0)
	buffer_store_dword v205, off, s[40:43], 0 offset:608 ; 4-byte Folded Spill
	s_nop 0
	buffer_store_dword v206, off, s[40:43], 0 offset:612 ; 4-byte Folded Spill
	buffer_store_dword v201, off, s[40:43], 0 offset:600 ; 4-byte Folded Spill
	s_nop 0
	buffer_store_dword v202, off, s[40:43], 0 offset:604 ; 4-byte Folded Spill
	;; [unrolled: 3-line block ×4, first 2 shown]
	v_add_co_u32_e32 v141, vcc, 31, v135
	v_addc_co_u32_e32 v142, vcc, 0, v136, vcc
	v_cmp_gt_i64_e32 vcc, s[12:13], v[141:142]
	v_mov_b32_e32 v141, 0
	v_mov_b32_e32 v143, 0
	;; [unrolled: 1-line block ×4, first 2 shown]
	s_and_saveexec_b64 s[0:1], vcc
	s_cbranch_execz .LBB28_220
; %bb.219:                              ;   in Loop: Header=BB28_151 Depth=1
	buffer_load_dword v141, off, s[40:43], 0 offset:48 ; 4-byte Folded Reload
	buffer_load_dword v142, off, s[40:43], 0 offset:56 ; 4-byte Folded Reload
	;; [unrolled: 1-line block ×4, first 2 shown]
	s_waitcnt vmcnt(3)
	v_add_co_u32_e32 v141, vcc, v141, v133
	s_waitcnt vmcnt(2)
	v_addc_co_u32_e32 v142, vcc, v142, v134, vcc
	s_waitcnt vmcnt(1)
	v_add_co_u32_e32 v143, vcc, v143, v133
	s_waitcnt vmcnt(0)
	v_addc_co_u32_e32 v144, vcc, v144, v134, vcc
	global_load_dwordx2 v[141:142], v[141:142], off
	s_nop 0
	global_load_dwordx2 v[143:144], v[143:144], off
.LBB28_220:                             ;   in Loop: Header=BB28_151 Depth=1
	s_or_b64 exec, exec, s[0:1]
	ds_bpermute_b32 v205, v6, v137
	ds_bpermute_b32 v206, v6, v138
	;; [unrolled: 1-line block ×4, first 2 shown]
	s_mov_b64 s[0:1], 0
	s_waitcnt lgkmcnt(2)
	v_add_f64 v[161:162], v[161:162], -v[205:206]
	buffer_load_dword v205, off, s[40:43], 0 ; 4-byte Folded Reload
	buffer_load_dword v206, off, s[40:43], 0 offset:4 ; 4-byte Folded Reload
	v_mul_f64 v[161:162], v[245:246], v[161:162]
	s_waitcnt vmcnt(0) lgkmcnt(0)
	v_fma_f64 v[161:162], v[161:162], v[201:202], v[205:206]
	buffer_load_dword v201, off, s[40:43], 0 offset:8 ; 4-byte Folded Reload
	buffer_load_dword v202, off, s[40:43], 0 offset:12 ; 4-byte Folded Reload
	ds_bpermute_b32 v205, v6, v139 offset:4
	ds_bpermute_b32 v206, v6, v140 offset:4
	s_waitcnt vmcnt(0)
	v_add_f64 v[201:202], v[201:202], v[245:246]
	ds_bpermute_b32 v245, v6, v137 offset:4
	ds_bpermute_b32 v246, v6, v138 offset:4
	s_waitcnt lgkmcnt(0)
	v_add_f64 v[3:4], v[3:4], -v[245:246]
	v_mul_f64 v[3:4], v[157:158], v[3:4]
	v_add_f64 v[157:158], v[201:202], v[157:158]
	ds_bpermute_b32 v201, v6, v137 offset:8
	ds_bpermute_b32 v202, v6, v138 offset:8
	s_waitcnt lgkmcnt(0)
	v_add_f64 v[153:154], v[153:154], -v[201:202]
	v_fma_f64 v[3:4], v[3:4], v[205:206], v[161:162]
	ds_bpermute_b32 v161, v6, v139 offset:8
	ds_bpermute_b32 v162, v6, v140 offset:8
	v_mul_f64 v[153:154], v[253:254], v[153:154]
	s_waitcnt lgkmcnt(0)
	v_fma_f64 v[3:4], v[153:154], v[161:162], v[3:4]
	ds_bpermute_b32 v161, v6, v137 offset:12
	ds_bpermute_b32 v162, v6, v138 offset:12
	v_add_f64 v[153:154], v[157:158], v[253:254]
	ds_bpermute_b32 v157, v6, v139 offset:12
	ds_bpermute_b32 v158, v6, v140 offset:12
	s_waitcnt lgkmcnt(2)
	v_add_f64 v[1:2], v[1:2], -v[161:162]
	v_mul_f64 v[1:2], v[147:148], v[1:2]
	s_waitcnt lgkmcnt(0)
	v_fma_f64 v[1:2], v[1:2], v[157:158], v[3:4]
	v_add_f64 v[3:4], v[153:154], v[147:148]
	ds_bpermute_b32 v153, v6, v137 offset:16
	ds_bpermute_b32 v154, v6, v138 offset:16
	;; [unrolled: 1-line block ×4, first 2 shown]
	s_waitcnt lgkmcnt(2)
	v_add_f64 v[131:132], v[131:132], -v[153:154]
	buffer_load_dword v153, off, s[40:43], 0 offset:576 ; 4-byte Folded Reload
	buffer_load_dword v154, off, s[40:43], 0 offset:580 ; 4-byte Folded Reload
	v_add_f64 v[3:4], v[3:4], v[243:244]
	v_mul_f64 v[131:132], v[243:244], v[131:132]
	v_add_f64 v[3:4], v[3:4], v[249:250]
	s_waitcnt lgkmcnt(0)
	v_fma_f64 v[1:2], v[131:132], v[147:148], v[1:2]
	ds_bpermute_b32 v147, v6, v137 offset:20
	ds_bpermute_b32 v148, v6, v138 offset:20
	ds_bpermute_b32 v131, v6, v139 offset:20
	ds_bpermute_b32 v132, v6, v140 offset:20
	v_add_f64 v[3:4], v[3:4], v[235:236]
	s_waitcnt lgkmcnt(2)
	v_add_f64 v[147:148], v[251:252], -v[147:148]
	v_add_f64 v[3:4], v[3:4], v[239:240]
	v_mul_f64 v[147:148], v[249:250], v[147:148]
	v_add_f64 v[3:4], v[3:4], v[227:228]
	s_waitcnt lgkmcnt(0)
	v_fma_f64 v[1:2], v[147:148], v[131:132], v[1:2]
	ds_bpermute_b32 v147, v6, v137 offset:24
	ds_bpermute_b32 v148, v6, v138 offset:24
	ds_bpermute_b32 v131, v6, v139 offset:24
	ds_bpermute_b32 v132, v6, v140 offset:24
	v_add_f64 v[3:4], v[3:4], v[231:232]
	s_waitcnt lgkmcnt(2)
	v_add_f64 v[147:148], v[247:248], -v[147:148]
	v_add_f64 v[3:4], v[3:4], v[219:220]
	v_mul_f64 v[147:148], v[235:236], v[147:148]
	v_add_f64 v[3:4], v[3:4], v[223:224]
	s_waitcnt lgkmcnt(0)
	v_fma_f64 v[1:2], v[147:148], v[131:132], v[1:2]
	ds_bpermute_b32 v147, v6, v137 offset:28
	ds_bpermute_b32 v148, v6, v138 offset:28
	ds_bpermute_b32 v131, v6, v139 offset:28
	ds_bpermute_b32 v132, v6, v140 offset:28
	s_waitcnt lgkmcnt(2)
	v_add_f64 v[147:148], v[241:242], -v[147:148]
	v_add_f64 v[3:4], v[3:4], v[211:212]
	v_mul_f64 v[147:148], v[239:240], v[147:148]
	v_add_f64 v[3:4], v[3:4], v[215:216]
	s_waitcnt lgkmcnt(0)
	v_fma_f64 v[1:2], v[147:148], v[131:132], v[1:2]
	ds_bpermute_b32 v147, v6, v137 offset:32
	ds_bpermute_b32 v148, v6, v138 offset:32
	ds_bpermute_b32 v131, v6, v139 offset:32
	ds_bpermute_b32 v132, v6, v140 offset:32
	v_add_f64 v[3:4], v[3:4], v[203:204]
	s_waitcnt lgkmcnt(2)
	v_add_f64 v[147:148], v[237:238], -v[147:148]
	v_add_f64 v[3:4], v[3:4], v[207:208]
	v_mul_f64 v[147:148], v[227:228], v[147:148]
	v_add_f64 v[3:4], v[3:4], v[195:196]
	s_waitcnt lgkmcnt(0)
	v_fma_f64 v[1:2], v[147:148], v[131:132], v[1:2]
	ds_bpermute_b32 v147, v6, v137 offset:36
	ds_bpermute_b32 v148, v6, v138 offset:36
	ds_bpermute_b32 v131, v6, v139 offset:36
	ds_bpermute_b32 v132, v6, v140 offset:36
	v_add_f64 v[3:4], v[3:4], v[199:200]
	s_waitcnt lgkmcnt(2)
	v_add_f64 v[147:148], v[233:234], -v[147:148]
	v_add_f64 v[3:4], v[3:4], v[187:188]
	v_mul_f64 v[147:148], v[231:232], v[147:148]
	v_add_f64 v[3:4], v[3:4], v[191:192]
	s_waitcnt lgkmcnt(0)
	v_fma_f64 v[1:2], v[147:148], v[131:132], v[1:2]
	ds_bpermute_b32 v147, v6, v137 offset:40
	ds_bpermute_b32 v148, v6, v138 offset:40
	ds_bpermute_b32 v131, v6, v139 offset:40
	ds_bpermute_b32 v132, v6, v140 offset:40
	s_waitcnt lgkmcnt(2)
	v_add_f64 v[147:148], v[229:230], -v[147:148]
	;; [unrolled: 35-line block ×3, first 2 shown]
	v_add_f64 v[3:4], v[3:4], v[149:150]
	v_mul_f64 v[147:148], v[215:216], v[147:148]
	s_waitcnt lgkmcnt(0)
	v_fma_f64 v[1:2], v[147:148], v[131:132], v[1:2]
	ds_bpermute_b32 v147, v6, v137 offset:56
	ds_bpermute_b32 v148, v6, v138 offset:56
	;; [unrolled: 1-line block ×4, first 2 shown]
	s_waitcnt lgkmcnt(2)
	v_add_f64 v[147:148], v[213:214], -v[147:148]
	v_mul_f64 v[147:148], v[203:204], v[147:148]
	s_waitcnt lgkmcnt(0)
	v_fma_f64 v[1:2], v[147:148], v[131:132], v[1:2]
	ds_bpermute_b32 v147, v6, v137 offset:60
	ds_bpermute_b32 v148, v6, v138 offset:60
	;; [unrolled: 1-line block ×4, first 2 shown]
	s_waitcnt lgkmcnt(2)
	v_add_f64 v[147:148], v[209:210], -v[147:148]
	v_mul_f64 v[147:148], v[207:208], v[147:148]
	s_waitcnt lgkmcnt(0)
	v_fma_f64 v[1:2], v[147:148], v[131:132], v[1:2]
	ds_bpermute_b32 v147, v6, v137 offset:64
	ds_bpermute_b32 v148, v6, v138 offset:64
	ds_bpermute_b32 v131, v6, v139 offset:64
	ds_bpermute_b32 v132, v6, v140 offset:64
	s_waitcnt vmcnt(0) lgkmcnt(2)
	v_add_f64 v[147:148], v[153:154], -v[147:148]
	buffer_load_dword v153, off, s[40:43], 0 offset:568 ; 4-byte Folded Reload
	buffer_load_dword v154, off, s[40:43], 0 offset:572 ; 4-byte Folded Reload
	v_mul_f64 v[147:148], v[195:196], v[147:148]
	s_waitcnt lgkmcnt(0)
	v_fma_f64 v[1:2], v[147:148], v[131:132], v[1:2]
	ds_bpermute_b32 v147, v6, v137 offset:68
	ds_bpermute_b32 v148, v6, v138 offset:68
	ds_bpermute_b32 v131, v6, v139 offset:68
	ds_bpermute_b32 v132, v6, v140 offset:68
	s_waitcnt vmcnt(0) lgkmcnt(2)
	v_add_f64 v[147:148], v[153:154], -v[147:148]
	buffer_load_dword v153, off, s[40:43], 0 offset:560 ; 4-byte Folded Reload
	buffer_load_dword v154, off, s[40:43], 0 offset:564 ; 4-byte Folded Reload
	;; [unrolled: 11-line block ×12, first 2 shown]
	v_mul_f64 v[147:148], v[159:160], v[147:148]
	s_waitcnt lgkmcnt(0)
	v_fma_f64 v[1:2], v[147:148], v[131:132], v[1:2]
	ds_bpermute_b32 v147, v6, v137 offset:112
	ds_bpermute_b32 v148, v6, v138 offset:112
	;; [unrolled: 1-line block ×4, first 2 shown]
	s_waitcnt vmcnt(0) lgkmcnt(2)
	v_add_f64 v[147:148], v[153:154], -v[147:148]
	v_mul_f64 v[147:148], v[149:150], v[147:148]
	buffer_load_dword v149, off, s[40:43], 0 offset:592 ; 4-byte Folded Reload
	buffer_load_dword v150, off, s[40:43], 0 offset:596 ; 4-byte Folded Reload
	s_waitcnt lgkmcnt(0)
	v_fma_f64 v[1:2], v[147:148], v[131:132], v[1:2]
	ds_bpermute_b32 v147, v6, v137 offset:116
	ds_bpermute_b32 v148, v6, v138 offset:116
	;; [unrolled: 1-line block ×4, first 2 shown]
	s_waitcnt vmcnt(0) lgkmcnt(2)
	v_add_f64 v[147:148], v[149:150], -v[147:148]
	buffer_load_dword v149, off, s[40:43], 0 offset:584 ; 4-byte Folded Reload
	buffer_load_dword v150, off, s[40:43], 0 offset:588 ; 4-byte Folded Reload
	v_mul_f64 v[147:148], v[151:152], v[147:148]
	s_waitcnt lgkmcnt(0)
	v_fma_f64 v[1:2], v[147:148], v[131:132], v[1:2]
	ds_bpermute_b32 v147, v6, v137 offset:120
	ds_bpermute_b32 v148, v6, v138 offset:120
	v_add_f64 v[131:132], v[3:4], v[151:152]
	ds_bpermute_b32 v3, v6, v139 offset:120
	ds_bpermute_b32 v4, v6, v140 offset:120
	s_waitcnt vmcnt(0) lgkmcnt(2)
	v_add_f64 v[147:148], v[149:150], -v[147:148]
	v_mul_f64 v[147:148], v[145:146], v[147:148]
	v_add_f64 v[145:146], v[131:132], v[145:146]
	ds_bpermute_b32 v131, v6, v139 offset:124
	ds_bpermute_b32 v132, v6, v140 offset:124
	s_waitcnt lgkmcnt(2)
	v_fma_f64 v[3:4], v[147:148], v[3:4], v[1:2]
	ds_bpermute_b32 v1, v6, v137 offset:124
	ds_bpermute_b32 v2, v6, v138 offset:124
.LBB28_221:                             ;   in Loop: Header=BB28_151 Depth=1
	s_and_b64 vcc, exec, s[0:1]
	s_cbranch_vccz .LBB28_150
; %bb.222:                              ;   in Loop: Header=BB28_151 Depth=1
	s_load_dword s0, s[2:3], 0x0
	s_waitcnt lgkmcnt(0)
	buffer_load_dword v1, off, s[40:43], 0 offset:616 ; 4-byte Folded Reload
	buffer_load_dword v2, off, s[40:43], 0 offset:620 ; 4-byte Folded Reload
	v_mov_b32_e32 v131, 0
	v_mov_b32_e32 v132, 0
	s_cmp_lt_u32 s6, s0
	s_cselect_b32 s0, 12, 18
	s_add_u32 s0, s2, s0
	s_addc_u32 s1, s3, 0
	s_waitcnt vmcnt(0)
	global_load_ushort v1, v2, s[0:1]
	s_nop 0
	buffer_load_dword v2, off, s[40:43], 0 offset:484 ; 4-byte Folded Reload
	buffer_load_dword v3, off, s[40:43], 0 offset:488 ; 4-byte Folded Reload
	;; [unrolled: 1-line block ×3, first 2 shown]
	s_waitcnt vmcnt(0)
	v_mad_u32_u24 v1, v2, v1, v3
	v_and_b32_e32 v3, 63, v1
	v_mov_b32_e32 v1, 0
	v_mov_b32_e32 v2, 0
	v_cmp_gt_u32_e32 vcc, 32, v3
	s_and_saveexec_b64 s[0:1], vcc
	s_cbranch_execz .LBB28_149
; %bb.223:                              ;   in Loop: Header=BB28_151 Depth=1
	v_add_co_u32_e32 v3, vcc, v135, v3
	v_addc_co_u32_e32 v4, vcc, 0, v136, vcc
	v_cmp_gt_i64_e32 vcc, s[12:13], v[3:4]
	v_mov_b32_e32 v1, 0
	v_mov_b32_e32 v131, 0
	;; [unrolled: 1-line block ×4, first 2 shown]
	s_and_saveexec_b64 s[26:27], vcc
	s_cbranch_execz .LBB28_148
; %bb.224:                              ;   in Loop: Header=BB28_151 Depth=1
	v_lshlrev_b64 v[1:2], 3, v[3:4]
	v_mov_b32_e32 v4, s23
	v_add_co_u32_e32 v3, vcc, s22, v1
	v_addc_co_u32_e32 v4, vcc, v4, v2, vcc
	v_mov_b32_e32 v131, s21
	v_add_co_u32_e32 v1, vcc, s20, v1
	v_addc_co_u32_e32 v2, vcc, v131, v2, vcc
	global_load_dwordx2 v[1:2], v[1:2], off
	s_nop 0
	global_load_dwordx2 v[131:132], v[3:4], off
	s_branch .LBB28_148
.LBB28_225:
	buffer_load_dword v0, off, s[40:43], 0 offset:44 ; 4-byte Folded Reload
	s_mov_b32 s7, 0
	s_lshl_b64 s[0:1], s[6:7], 6
	v_mov_b32_e32 v1, s1
	s_waitcnt vmcnt(0)
	v_or_b32_e32 v0, s0, v0
	v_cmp_gt_i64_e32 vcc, s[14:15], v[0:1]
	s_and_saveexec_b64 s[0:1], vcc
	s_cbranch_execz .LBB28_230
; %bb.226:
	s_load_dword s0, s[4:5], 0x4c
	buffer_load_dword v2, off, s[40:43], 0 offset:484 ; 4-byte Folded Reload
	buffer_load_dword v3, off, s[40:43], 0 offset:488 ; 4-byte Folded Reload
	v_mov_b32_e32 v4, 0
	v_lshlrev_b64 v[0:1], 3, v[0:1]
	s_waitcnt lgkmcnt(0)
	s_lshr_b32 s0, s0, 16
	s_waitcnt vmcnt(0)
	v_mov_b32_e32 v3, v2
	v_mov_b32_e32 v2, s8
	v_mad_u64_u32 v[2:3], s[0:1], s0, v2, v[3:4]
	s_load_dwordx4 s[0:3], s[4:5], 0x30
	v_mul_lo_u32 v3, v3, s14
	v_mul_lo_u32 v4, v2, s15
	s_waitcnt lgkmcnt(0)
	s_cmp_eq_u64 s[0:1], 0
	s_cbranch_scc1 .LBB28_228
; %bb.227:
	v_mad_u64_u32 v[5:6], s[4:5], v2, s14, 0
	v_mov_b32_e32 v7, s1
	v_add3_u32 v6, v6, v4, v3
	v_lshlrev_b64 v[5:6], 3, v[5:6]
	v_add_co_u32_e32 v5, vcc, s0, v5
	v_addc_co_u32_e32 v6, vcc, v7, v6, vcc
	buffer_load_dword v7, off, s[40:43], 0  ; 4-byte Folded Reload
	buffer_load_dword v8, off, s[40:43], 0 offset:4 ; 4-byte Folded Reload
	v_add_co_u32_e32 v5, vcc, v5, v0
	v_addc_co_u32_e32 v6, vcc, v6, v1, vcc
	s_waitcnt vmcnt(0)
	global_store_dwordx2 v[5:6], v[7:8], off
.LBB28_228:
	s_cmp_eq_u64 s[2:3], 0
	s_cbranch_scc1 .LBB28_230
; %bb.229:
	v_mad_u64_u32 v[5:6], s[0:1], v2, s14, 0
	v_mov_b32_e32 v7, s3
	v_add3_u32 v6, v6, v4, v3
	v_lshlrev_b64 v[2:3], 3, v[5:6]
	v_add_co_u32_e32 v2, vcc, s2, v2
	v_addc_co_u32_e32 v3, vcc, v7, v3, vcc
	v_add_co_u32_e32 v0, vcc, v2, v0
	v_addc_co_u32_e32 v1, vcc, v3, v1, vcc
	buffer_load_dword v2, off, s[40:43], 0 offset:8 ; 4-byte Folded Reload
	buffer_load_dword v3, off, s[40:43], 0 offset:12 ; 4-byte Folded Reload
	s_waitcnt vmcnt(0)
	global_store_dwordx2 v[0:1], v[2:3], off
.LBB28_230:
	s_endpgm
	.section	.rodata,"a",@progbits
	.p2align	6, 0x0
	.amdhsa_kernel _ZN2at6native12_GLOBAL__N_135GammaBetaBackwardCUDAKernelTemplateIddLj64ELj1ELj32ELb1ELb0ELb0EEEvllPKT_S5_PKT0_S8_PS3_S9_
		.amdhsa_group_segment_fixed_size 0
		.amdhsa_private_segment_fixed_size 628
		.amdhsa_kernarg_size 320
		.amdhsa_user_sgpr_count 6
		.amdhsa_user_sgpr_private_segment_buffer 1
		.amdhsa_user_sgpr_dispatch_ptr 0
		.amdhsa_user_sgpr_queue_ptr 0
		.amdhsa_user_sgpr_kernarg_segment_ptr 1
		.amdhsa_user_sgpr_dispatch_id 0
		.amdhsa_user_sgpr_flat_scratch_init 0
		.amdhsa_user_sgpr_private_segment_size 0
		.amdhsa_uses_dynamic_stack 0
		.amdhsa_system_sgpr_private_segment_wavefront_offset 1
		.amdhsa_system_sgpr_workgroup_id_x 1
		.amdhsa_system_sgpr_workgroup_id_y 1
		.amdhsa_system_sgpr_workgroup_id_z 0
		.amdhsa_system_sgpr_workgroup_info 0
		.amdhsa_system_vgpr_workitem_id 1
		.amdhsa_next_free_vgpr 256
		.amdhsa_next_free_sgpr 44
		.amdhsa_reserve_vcc 1
		.amdhsa_reserve_flat_scratch 0
		.amdhsa_float_round_mode_32 0
		.amdhsa_float_round_mode_16_64 0
		.amdhsa_float_denorm_mode_32 3
		.amdhsa_float_denorm_mode_16_64 3
		.amdhsa_dx10_clamp 1
		.amdhsa_ieee_mode 1
		.amdhsa_fp16_overflow 0
		.amdhsa_exception_fp_ieee_invalid_op 0
		.amdhsa_exception_fp_denorm_src 0
		.amdhsa_exception_fp_ieee_div_zero 0
		.amdhsa_exception_fp_ieee_overflow 0
		.amdhsa_exception_fp_ieee_underflow 0
		.amdhsa_exception_fp_ieee_inexact 0
		.amdhsa_exception_int_div_zero 0
	.end_amdhsa_kernel
	.section	.text._ZN2at6native12_GLOBAL__N_135GammaBetaBackwardCUDAKernelTemplateIddLj64ELj1ELj32ELb1ELb0ELb0EEEvllPKT_S5_PKT0_S8_PS3_S9_,"axG",@progbits,_ZN2at6native12_GLOBAL__N_135GammaBetaBackwardCUDAKernelTemplateIddLj64ELj1ELj32ELb1ELb0ELb0EEEvllPKT_S5_PKT0_S8_PS3_S9_,comdat
.Lfunc_end28:
	.size	_ZN2at6native12_GLOBAL__N_135GammaBetaBackwardCUDAKernelTemplateIddLj64ELj1ELj32ELb1ELb0ELb0EEEvllPKT_S5_PKT0_S8_PS3_S9_, .Lfunc_end28-_ZN2at6native12_GLOBAL__N_135GammaBetaBackwardCUDAKernelTemplateIddLj64ELj1ELj32ELb1ELb0ELb0EEEvllPKT_S5_PKT0_S8_PS3_S9_
                                        ; -- End function
	.set _ZN2at6native12_GLOBAL__N_135GammaBetaBackwardCUDAKernelTemplateIddLj64ELj1ELj32ELb1ELb0ELb0EEEvllPKT_S5_PKT0_S8_PS3_S9_.num_vgpr, 256
	.set _ZN2at6native12_GLOBAL__N_135GammaBetaBackwardCUDAKernelTemplateIddLj64ELj1ELj32ELb1ELb0ELb0EEEvllPKT_S5_PKT0_S8_PS3_S9_.num_agpr, 0
	.set _ZN2at6native12_GLOBAL__N_135GammaBetaBackwardCUDAKernelTemplateIddLj64ELj1ELj32ELb1ELb0ELb0EEEvllPKT_S5_PKT0_S8_PS3_S9_.numbered_sgpr, 44
	.set _ZN2at6native12_GLOBAL__N_135GammaBetaBackwardCUDAKernelTemplateIddLj64ELj1ELj32ELb1ELb0ELb0EEEvllPKT_S5_PKT0_S8_PS3_S9_.num_named_barrier, 0
	.set _ZN2at6native12_GLOBAL__N_135GammaBetaBackwardCUDAKernelTemplateIddLj64ELj1ELj32ELb1ELb0ELb0EEEvllPKT_S5_PKT0_S8_PS3_S9_.private_seg_size, 628
	.set _ZN2at6native12_GLOBAL__N_135GammaBetaBackwardCUDAKernelTemplateIddLj64ELj1ELj32ELb1ELb0ELb0EEEvllPKT_S5_PKT0_S8_PS3_S9_.uses_vcc, 1
	.set _ZN2at6native12_GLOBAL__N_135GammaBetaBackwardCUDAKernelTemplateIddLj64ELj1ELj32ELb1ELb0ELb0EEEvllPKT_S5_PKT0_S8_PS3_S9_.uses_flat_scratch, 0
	.set _ZN2at6native12_GLOBAL__N_135GammaBetaBackwardCUDAKernelTemplateIddLj64ELj1ELj32ELb1ELb0ELb0EEEvllPKT_S5_PKT0_S8_PS3_S9_.has_dyn_sized_stack, 0
	.set _ZN2at6native12_GLOBAL__N_135GammaBetaBackwardCUDAKernelTemplateIddLj64ELj1ELj32ELb1ELb0ELb0EEEvllPKT_S5_PKT0_S8_PS3_S9_.has_recursion, 0
	.set _ZN2at6native12_GLOBAL__N_135GammaBetaBackwardCUDAKernelTemplateIddLj64ELj1ELj32ELb1ELb0ELb0EEEvllPKT_S5_PKT0_S8_PS3_S9_.has_indirect_call, 0
	.section	.AMDGPU.csdata,"",@progbits
; Kernel info:
; codeLenInByte = 32860
; TotalNumSgprs: 48
; NumVgprs: 256
; ScratchSize: 628
; MemoryBound: 0
; FloatMode: 240
; IeeeMode: 1
; LDSByteSize: 0 bytes/workgroup (compile time only)
; SGPRBlocks: 5
; VGPRBlocks: 63
; NumSGPRsForWavesPerEU: 48
; NumVGPRsForWavesPerEU: 256
; Occupancy: 1
; WaveLimiterHint : 0
; COMPUTE_PGM_RSRC2:SCRATCH_EN: 1
; COMPUTE_PGM_RSRC2:USER_SGPR: 6
; COMPUTE_PGM_RSRC2:TRAP_HANDLER: 0
; COMPUTE_PGM_RSRC2:TGID_X_EN: 1
; COMPUTE_PGM_RSRC2:TGID_Y_EN: 1
; COMPUTE_PGM_RSRC2:TGID_Z_EN: 0
; COMPUTE_PGM_RSRC2:TIDIG_COMP_CNT: 1
	.section	.text._ZN2at6native12_GLOBAL__N_135GammaBetaBackwardCUDAKernelTemplateIddLj64ELj1ELj8ELb1ELb1ELb0EEEvllPKT_S5_PKT0_S8_PS3_S9_,"axG",@progbits,_ZN2at6native12_GLOBAL__N_135GammaBetaBackwardCUDAKernelTemplateIddLj64ELj1ELj8ELb1ELb1ELb0EEEvllPKT_S5_PKT0_S8_PS3_S9_,comdat
	.globl	_ZN2at6native12_GLOBAL__N_135GammaBetaBackwardCUDAKernelTemplateIddLj64ELj1ELj8ELb1ELb1ELb0EEEvllPKT_S5_PKT0_S8_PS3_S9_ ; -- Begin function _ZN2at6native12_GLOBAL__N_135GammaBetaBackwardCUDAKernelTemplateIddLj64ELj1ELj8ELb1ELb1ELb0EEEvllPKT_S5_PKT0_S8_PS3_S9_
	.p2align	8
	.type	_ZN2at6native12_GLOBAL__N_135GammaBetaBackwardCUDAKernelTemplateIddLj64ELj1ELj8ELb1ELb1ELb0EEEvllPKT_S5_PKT0_S8_PS3_S9_,@function
_ZN2at6native12_GLOBAL__N_135GammaBetaBackwardCUDAKernelTemplateIddLj64ELj1ELj8ELb1ELb1ELb0EEEvllPKT_S5_PKT0_S8_PS3_S9_: ; @_ZN2at6native12_GLOBAL__N_135GammaBetaBackwardCUDAKernelTemplateIddLj64ELj1ELj8ELb1ELb1ELb0EEEvllPKT_S5_PKT0_S8_PS3_S9_
; %bb.0:
	s_load_dwordx4 s[16:19], s[4:5], 0x0
	s_lshl_b32 s24, s7, 3
	s_mov_b32 s25, 0
	v_mov_b32_e32 v2, s24
	v_mov_b32_e32 v3, s25
	s_waitcnt lgkmcnt(0)
	v_cmp_gt_i64_e32 vcc, s[16:17], v[2:3]
	s_mov_b32 s2, s7
	s_cbranch_vccnz .LBB29_2
; %bb.1:
	s_add_u32 s26, s4, 64
	s_addc_u32 s27, s5, 0
	s_mov_b64 s[0:1], 0
	s_branch .LBB29_3
.LBB29_2:
	s_mov_b64 s[0:1], -1
                                        ; implicit-def: $sgpr26_sgpr27
.LBB29_3:
	s_load_dwordx4 s[20:23], s[4:5], 0x30
	v_mov_b32_e32 v6, 0
	v_mov_b32_e32 v12, 0
	v_mov_b32_e32 v7, 0
	s_andn2_b64 vcc, exec, s[0:1]
	v_mov_b32_e32 v13, 0
	s_cbranch_vccnz .LBB29_10
; %bb.4:
	v_mbcnt_lo_u32_b32 v4, -1, 0
	v_lshlrev_b32_e32 v3, 3, v1
	v_mbcnt_hi_u32_b32 v4, -1, v4
	s_add_u32 s26, s4, 64
	v_lshlrev_b32_e32 v4, 2, v4
	v_add_co_u32_e32 v3, vcc, s24, v3
	s_load_dword s0, s[4:5], 0x4c
	s_load_dword s3, s[4:5], 0x44
	s_load_dwordx8 s[8:15], s[4:5], 0x10
	s_addc_u32 s27, s5, 0
	v_and_b32_e32 v14, 0x100, v4
	v_addc_co_u32_e64 v4, s[4:5], 0, 0, vcc
	v_mul_lo_u32 v10, s19, v3
	v_mul_lo_u32 v11, s18, v4
	v_mad_u64_u32 v[8:9], s[4:5], s18, v3, 0
	s_waitcnt lgkmcnt(0)
	s_and_b32 s0, s0, 0xffff
	v_mad_u32_u24 v2, v1, s0, v0
	v_and_b32_e32 v2, 63, v2
	v_mov_b32_e32 v7, 0
	v_lshl_or_b32 v6, s6, 6, v0
	v_add3_u32 v9, v9, v11, v10
	v_cmp_gt_u32_e64 s[0:1], 8, v2
	v_add_co_u32_e32 v2, vcc, v3, v2
	v_lshlrev_b64 v[8:9], 3, v[8:9]
	v_lshlrev_b64 v[6:7], 3, v[6:7]
	s_lshl_b32 s28, s3, 3
	v_addc_co_u32_e32 v3, vcc, 0, v4, vcc
	v_add_co_u32_e32 v21, vcc, v8, v6
	s_mul_i32 s3, s19, s28
	s_mul_hi_u32 s4, s18, s28
	s_mov_b32 s29, 0
	v_lshlrev_b64 v[4:5], 3, v[2:3]
	v_addc_co_u32_e32 v22, vcc, v9, v7, vcc
	s_add_i32 s5, s4, s3
	s_mul_i32 s4, s18, s28
	v_mov_b32_e32 v12, 0
	v_mov_b32_e32 v6, 0
	v_or_b32_e32 v15, 4, v14
	v_or_b32_e32 v16, 8, v14
	v_or_b32_e32 v17, 12, v14
	v_or_b32_e32 v18, 16, v14
	v_or_b32_e32 v19, 20, v14
	v_or_b32_e32 v20, 24, v14
	s_lshl_b64 s[30:31], s[28:29], 3
	s_lshl_b64 s[34:35], s[4:5], 3
	;; [unrolled: 1-line block ×3, first 2 shown]
	v_mov_b32_e32 v13, 0
	v_mov_b32_e32 v7, 0
	v_or_b32_e32 v23, 28, v14
	s_branch .LBB29_7
.LBB29_5:                               ;   in Loop: Header=BB29_7 Depth=1
	s_or_b64 exec, exec, s[38:39]
.LBB29_6:                               ;   in Loop: Header=BB29_7 Depth=1
	s_or_b64 exec, exec, s[4:5]
	v_mov_b32_e32 v25, s11
	v_add_co_u32_e32 v24, vcc, s10, v21
	v_addc_co_u32_e32 v25, vcc, v25, v22, vcc
	global_load_dwordx2 v[26:27], v[24:25], off
	v_mov_b32_e32 v29, s9
	v_add_co_u32_e32 v28, vcc, s8, v21
	v_addc_co_u32_e32 v29, vcc, v29, v22, vcc
	global_load_dwordx2 v[30:31], v[28:29], off
	;; [unrolled: 4-line block ×3, first 2 shown]
	v_add_co_u32_e32 v28, vcc, s36, v28
	v_addc_co_u32_e32 v29, vcc, v29, v45, vcc
	v_add_co_u32_e32 v24, vcc, s36, v24
	v_addc_co_u32_e32 v25, vcc, v25, v45, vcc
	global_load_dwordx2 v[34:35], v[24:25], off
	global_load_dwordx2 v[36:37], v[28:29], off
	s_waitcnt vmcnt(6)
	ds_bpermute_b32 v40, v14, v10
	ds_bpermute_b32 v41, v14, v11
	v_add_co_u32_e32 v28, vcc, s36, v28
	v_addc_co_u32_e32 v29, vcc, v29, v45, vcc
	global_load_dwordx2 v[38:39], v[28:29], off
	v_add_co_u32_e32 v24, vcc, s36, v24
	v_addc_co_u32_e32 v25, vcc, v25, v45, vcc
	v_add_co_u32_e32 v42, vcc, s36, v24
	v_addc_co_u32_e32 v43, vcc, v25, v45, vcc
	global_load_dwordx2 v[24:25], v[24:25], off
	v_add_co_u32_e32 v28, vcc, s36, v28
	v_addc_co_u32_e32 v29, vcc, v29, v45, vcc
	s_add_u32 s24, s24, s28
	s_addc_u32 s25, s25, 0
	v_add_co_u32_e64 v21, s[4:5], s34, v21
	s_waitcnt vmcnt(6) lgkmcnt(0)
	v_add_f64 v[26:27], v[26:27], -v[40:41]
	ds_bpermute_b32 v40, v14, v8
	ds_bpermute_b32 v41, v14, v9
	s_waitcnt vmcnt(5)
	v_add_f64 v[6:7], v[6:7], v[30:31]
	v_mul_f64 v[26:27], v[30:31], v[26:27]
	s_waitcnt lgkmcnt(0)
	v_fma_f64 v[12:13], v[26:27], v[40:41], v[12:13]
	global_load_dwordx2 v[26:27], v[42:43], off
	ds_bpermute_b32 v40, v15, v10
	ds_bpermute_b32 v41, v15, v11
	s_waitcnt vmcnt(3)
	v_add_f64 v[6:7], v[6:7], v[36:37]
	s_waitcnt lgkmcnt(0)
	v_add_f64 v[32:33], v[32:33], -v[40:41]
	ds_bpermute_b32 v40, v16, v10
	ds_bpermute_b32 v41, v16, v11
	s_waitcnt vmcnt(2)
	v_add_f64 v[6:7], v[6:7], v[38:39]
	s_waitcnt lgkmcnt(0)
	v_add_f64 v[34:35], v[34:35], -v[40:41]
	v_mul_f64 v[32:33], v[36:37], v[32:33]
	ds_bpermute_b32 v40, v15, v8
	ds_bpermute_b32 v41, v15, v9
	v_mul_f64 v[34:35], v[38:39], v[34:35]
	s_waitcnt lgkmcnt(0)
	v_fma_f64 v[12:13], v[32:33], v[40:41], v[12:13]
	ds_bpermute_b32 v32, v16, v8
	ds_bpermute_b32 v33, v16, v9
	;; [unrolled: 1-line block ×6, first 2 shown]
	s_waitcnt lgkmcnt(4)
	v_fma_f64 v[12:13], v[34:35], v[32:33], v[12:13]
	v_add_co_u32_e32 v34, vcc, s36, v42
	v_addc_co_u32_e32 v35, vcc, v43, v45, vcc
	v_add_co_u32_e32 v42, vcc, s36, v28
	ds_bpermute_b32 v32, v18, v10
	ds_bpermute_b32 v33, v18, v11
	v_addc_co_u32_e32 v43, vcc, v29, v45, vcc
	v_add_co_u32_e32 v30, vcc, s36, v42
	v_addc_co_u32_e32 v31, vcc, v43, v45, vcc
	s_waitcnt vmcnt(1) lgkmcnt(4)
	v_add_f64 v[24:25], v[24:25], -v[40:41]
	v_add_co_u32_e32 v40, vcc, s36, v34
	v_addc_co_u32_e32 v41, vcc, v35, v45, vcc
	s_waitcnt vmcnt(0) lgkmcnt(0)
	v_add_f64 v[26:27], v[26:27], -v[32:33]
	v_add_co_u32_e32 v32, vcc, s36, v30
	v_addc_co_u32_e32 v33, vcc, v31, v45, vcc
	v_add_co_u32_e32 v36, vcc, s36, v40
	v_addc_co_u32_e32 v37, vcc, v41, v45, vcc
	;; [unrolled: 2-line block ×3, first 2 shown]
	global_load_dwordx2 v[28:29], v[28:29], off
	s_nop 0
	global_load_dwordx2 v[34:35], v[34:35], off
	s_nop 0
	global_load_dwordx2 v[42:43], v[42:43], off
	s_nop 0
	global_load_dwordx2 v[40:41], v[40:41], off
	s_nop 0
	global_load_dwordx2 v[30:31], v[30:31], off
	s_nop 0
	global_load_dwordx2 v[36:37], v[36:37], off
	s_nop 0
	global_load_dwordx2 v[32:33], v[32:33], off
	s_nop 0
	global_load_dwordx2 v[44:45], v[44:45], off
	v_add_co_u32_e32 v4, vcc, s30, v4
	s_waitcnt vmcnt(7)
	v_mul_f64 v[24:25], v[28:29], v[24:25]
	s_waitcnt vmcnt(6)
	v_add_f64 v[34:35], v[34:35], -v[38:39]
	ds_bpermute_b32 v38, v17, v8
	ds_bpermute_b32 v39, v17, v9
	v_add_f64 v[6:7], v[6:7], v[28:29]
	s_waitcnt vmcnt(5)
	v_mul_f64 v[26:27], v[42:43], v[26:27]
	ds_bpermute_b32 v28, v20, v10
	ds_bpermute_b32 v29, v20, v11
	s_waitcnt lgkmcnt(2)
	v_fma_f64 v[12:13], v[24:25], v[38:39], v[12:13]
	ds_bpermute_b32 v24, v18, v8
	ds_bpermute_b32 v25, v18, v9
	s_waitcnt vmcnt(3)
	v_mul_f64 v[34:35], v[30:31], v[34:35]
	s_waitcnt lgkmcnt(2)
	v_add_f64 v[28:29], v[40:41], -v[28:29]
	v_add_f64 v[6:7], v[6:7], v[42:43]
	ds_bpermute_b32 v10, v23, v10
	ds_bpermute_b32 v11, v23, v11
	s_waitcnt lgkmcnt(2)
	v_fma_f64 v[12:13], v[26:27], v[24:25], v[12:13]
	ds_bpermute_b32 v24, v19, v8
	ds_bpermute_b32 v25, v19, v9
	s_waitcnt vmcnt(2) lgkmcnt(2)
	v_add_f64 v[10:11], v[36:37], -v[10:11]
	s_waitcnt vmcnt(1)
	v_mul_f64 v[26:27], v[32:33], v[28:29]
	v_add_f64 v[6:7], v[6:7], v[30:31]
	v_mov_b32_e32 v28, s31
	s_waitcnt lgkmcnt(0)
	v_fma_f64 v[12:13], v[34:35], v[24:25], v[12:13]
	ds_bpermute_b32 v24, v20, v8
	ds_bpermute_b32 v25, v20, v9
	;; [unrolled: 1-line block ×3, first 2 shown]
	s_waitcnt vmcnt(0)
	v_mul_f64 v[10:11], v[44:45], v[10:11]
	ds_bpermute_b32 v9, v23, v9
	v_add_f64 v[6:7], v[6:7], v[32:33]
	v_addc_co_u32_e32 v5, vcc, v5, v28, vcc
	s_waitcnt lgkmcnt(2)
	v_fma_f64 v[12:13], v[26:27], v[24:25], v[12:13]
	v_add_co_u32_e32 v2, vcc, s28, v2
	v_addc_co_u32_e32 v3, vcc, 0, v3, vcc
	v_add_f64 v[6:7], v[6:7], v[44:45]
	s_waitcnt lgkmcnt(0)
	v_fma_f64 v[12:13], v[10:11], v[8:9], v[12:13]
	v_mov_b32_e32 v8, s16
	v_mov_b32_e32 v9, s17
	v_cmp_lt_i64_e32 vcc, s[24:25], v[8:9]
	v_mov_b32_e32 v10, s35
	v_addc_co_u32_e64 v22, s[4:5], v22, v10, s[4:5]
	s_cbranch_vccz .LBB29_10
.LBB29_7:                               ; =>This Inner Loop Header: Depth=1
	v_mov_b32_e32 v8, 0
	v_mov_b32_e32 v10, 0
	;; [unrolled: 1-line block ×4, first 2 shown]
	s_and_saveexec_b64 s[4:5], s[0:1]
	s_cbranch_execz .LBB29_6
; %bb.8:                                ;   in Loop: Header=BB29_7 Depth=1
	v_cmp_gt_i64_e32 vcc, s[16:17], v[2:3]
	v_mov_b32_e32 v10, 0
	v_mov_b32_e32 v8, 0
	v_mov_b32_e32 v11, 0
	v_mov_b32_e32 v9, 0
	s_and_saveexec_b64 s[38:39], vcc
	s_cbranch_execz .LBB29_5
; %bb.9:                                ;   in Loop: Header=BB29_7 Depth=1
	v_mov_b32_e32 v8, s15
	v_add_co_u32_e32 v24, vcc, s14, v4
	v_addc_co_u32_e32 v25, vcc, v8, v5, vcc
	v_mov_b32_e32 v8, s13
	v_add_co_u32_e32 v26, vcc, s12, v4
	v_addc_co_u32_e32 v27, vcc, v8, v5, vcc
	global_load_dwordx2 v[10:11], v[26:27], off
	global_load_dwordx2 v[8:9], v[24:25], off
	s_branch .LBB29_5
.LBB29_10:
	s_load_dword s0, s[26:27], 0xc
	v_mov_b32_e32 v2, 0
	v_mov_b32_e32 v3, s2
	s_mov_b32 s7, 0
	s_waitcnt lgkmcnt(0)
	s_lshr_b32 s0, s0, 16
	v_mad_u64_u32 v[2:3], s[0:1], s0, v3, v[1:2]
	s_lshl_b64 s[0:1], s[6:7], 6
	v_or_b32_e32 v0, s0, v0
	v_mul_lo_u32 v3, v3, s18
	v_mul_lo_u32 v4, v2, s19
	v_mov_b32_e32 v1, s1
	v_lshlrev_b64 v[0:1], 3, v[0:1]
	s_cmp_eq_u64 s[20:21], 0
	s_cbranch_scc1 .LBB29_12
; %bb.11:
	v_mad_u64_u32 v[8:9], s[0:1], v2, s18, 0
	v_mov_b32_e32 v5, s21
	v_add3_u32 v9, v9, v4, v3
	v_lshlrev_b64 v[8:9], 3, v[8:9]
	v_add_co_u32_e32 v8, vcc, s20, v8
	v_addc_co_u32_e32 v5, vcc, v5, v9, vcc
	v_add_co_u32_e32 v8, vcc, v8, v0
	v_addc_co_u32_e32 v9, vcc, v5, v1, vcc
	global_store_dwordx2 v[8:9], v[12:13], off
.LBB29_12:
	s_cmp_eq_u64 s[22:23], 0
	s_cbranch_scc1 .LBB29_14
; %bb.13:
	v_mad_u64_u32 v[8:9], s[0:1], v2, s18, 0
	v_mov_b32_e32 v5, s23
	v_add3_u32 v9, v9, v4, v3
	v_lshlrev_b64 v[2:3], 3, v[8:9]
	v_add_co_u32_e32 v2, vcc, s22, v2
	v_addc_co_u32_e32 v3, vcc, v5, v3, vcc
	v_add_co_u32_e32 v0, vcc, v2, v0
	v_addc_co_u32_e32 v1, vcc, v3, v1, vcc
	global_store_dwordx2 v[0:1], v[6:7], off
.LBB29_14:
	s_endpgm
	.section	.rodata,"a",@progbits
	.p2align	6, 0x0
	.amdhsa_kernel _ZN2at6native12_GLOBAL__N_135GammaBetaBackwardCUDAKernelTemplateIddLj64ELj1ELj8ELb1ELb1ELb0EEEvllPKT_S5_PKT0_S8_PS3_S9_
		.amdhsa_group_segment_fixed_size 0
		.amdhsa_private_segment_fixed_size 0
		.amdhsa_kernarg_size 320
		.amdhsa_user_sgpr_count 6
		.amdhsa_user_sgpr_private_segment_buffer 1
		.amdhsa_user_sgpr_dispatch_ptr 0
		.amdhsa_user_sgpr_queue_ptr 0
		.amdhsa_user_sgpr_kernarg_segment_ptr 1
		.amdhsa_user_sgpr_dispatch_id 0
		.amdhsa_user_sgpr_flat_scratch_init 0
		.amdhsa_user_sgpr_private_segment_size 0
		.amdhsa_uses_dynamic_stack 0
		.amdhsa_system_sgpr_private_segment_wavefront_offset 0
		.amdhsa_system_sgpr_workgroup_id_x 1
		.amdhsa_system_sgpr_workgroup_id_y 1
		.amdhsa_system_sgpr_workgroup_id_z 0
		.amdhsa_system_sgpr_workgroup_info 0
		.amdhsa_system_vgpr_workitem_id 1
		.amdhsa_next_free_vgpr 46
		.amdhsa_next_free_sgpr 40
		.amdhsa_reserve_vcc 1
		.amdhsa_reserve_flat_scratch 0
		.amdhsa_float_round_mode_32 0
		.amdhsa_float_round_mode_16_64 0
		.amdhsa_float_denorm_mode_32 3
		.amdhsa_float_denorm_mode_16_64 3
		.amdhsa_dx10_clamp 1
		.amdhsa_ieee_mode 1
		.amdhsa_fp16_overflow 0
		.amdhsa_exception_fp_ieee_invalid_op 0
		.amdhsa_exception_fp_denorm_src 0
		.amdhsa_exception_fp_ieee_div_zero 0
		.amdhsa_exception_fp_ieee_overflow 0
		.amdhsa_exception_fp_ieee_underflow 0
		.amdhsa_exception_fp_ieee_inexact 0
		.amdhsa_exception_int_div_zero 0
	.end_amdhsa_kernel
	.section	.text._ZN2at6native12_GLOBAL__N_135GammaBetaBackwardCUDAKernelTemplateIddLj64ELj1ELj8ELb1ELb1ELb0EEEvllPKT_S5_PKT0_S8_PS3_S9_,"axG",@progbits,_ZN2at6native12_GLOBAL__N_135GammaBetaBackwardCUDAKernelTemplateIddLj64ELj1ELj8ELb1ELb1ELb0EEEvllPKT_S5_PKT0_S8_PS3_S9_,comdat
.Lfunc_end29:
	.size	_ZN2at6native12_GLOBAL__N_135GammaBetaBackwardCUDAKernelTemplateIddLj64ELj1ELj8ELb1ELb1ELb0EEEvllPKT_S5_PKT0_S8_PS3_S9_, .Lfunc_end29-_ZN2at6native12_GLOBAL__N_135GammaBetaBackwardCUDAKernelTemplateIddLj64ELj1ELj8ELb1ELb1ELb0EEEvllPKT_S5_PKT0_S8_PS3_S9_
                                        ; -- End function
	.set _ZN2at6native12_GLOBAL__N_135GammaBetaBackwardCUDAKernelTemplateIddLj64ELj1ELj8ELb1ELb1ELb0EEEvllPKT_S5_PKT0_S8_PS3_S9_.num_vgpr, 46
	.set _ZN2at6native12_GLOBAL__N_135GammaBetaBackwardCUDAKernelTemplateIddLj64ELj1ELj8ELb1ELb1ELb0EEEvllPKT_S5_PKT0_S8_PS3_S9_.num_agpr, 0
	.set _ZN2at6native12_GLOBAL__N_135GammaBetaBackwardCUDAKernelTemplateIddLj64ELj1ELj8ELb1ELb1ELb0EEEvllPKT_S5_PKT0_S8_PS3_S9_.numbered_sgpr, 40
	.set _ZN2at6native12_GLOBAL__N_135GammaBetaBackwardCUDAKernelTemplateIddLj64ELj1ELj8ELb1ELb1ELb0EEEvllPKT_S5_PKT0_S8_PS3_S9_.num_named_barrier, 0
	.set _ZN2at6native12_GLOBAL__N_135GammaBetaBackwardCUDAKernelTemplateIddLj64ELj1ELj8ELb1ELb1ELb0EEEvllPKT_S5_PKT0_S8_PS3_S9_.private_seg_size, 0
	.set _ZN2at6native12_GLOBAL__N_135GammaBetaBackwardCUDAKernelTemplateIddLj64ELj1ELj8ELb1ELb1ELb0EEEvllPKT_S5_PKT0_S8_PS3_S9_.uses_vcc, 1
	.set _ZN2at6native12_GLOBAL__N_135GammaBetaBackwardCUDAKernelTemplateIddLj64ELj1ELj8ELb1ELb1ELb0EEEvllPKT_S5_PKT0_S8_PS3_S9_.uses_flat_scratch, 0
	.set _ZN2at6native12_GLOBAL__N_135GammaBetaBackwardCUDAKernelTemplateIddLj64ELj1ELj8ELb1ELb1ELb0EEEvllPKT_S5_PKT0_S8_PS3_S9_.has_dyn_sized_stack, 0
	.set _ZN2at6native12_GLOBAL__N_135GammaBetaBackwardCUDAKernelTemplateIddLj64ELj1ELj8ELb1ELb1ELb0EEEvllPKT_S5_PKT0_S8_PS3_S9_.has_recursion, 0
	.set _ZN2at6native12_GLOBAL__N_135GammaBetaBackwardCUDAKernelTemplateIddLj64ELj1ELj8ELb1ELb1ELb0EEEvllPKT_S5_PKT0_S8_PS3_S9_.has_indirect_call, 0
	.section	.AMDGPU.csdata,"",@progbits
; Kernel info:
; codeLenInByte = 1640
; TotalNumSgprs: 44
; NumVgprs: 46
; ScratchSize: 0
; MemoryBound: 0
; FloatMode: 240
; IeeeMode: 1
; LDSByteSize: 0 bytes/workgroup (compile time only)
; SGPRBlocks: 5
; VGPRBlocks: 11
; NumSGPRsForWavesPerEU: 44
; NumVGPRsForWavesPerEU: 46
; Occupancy: 5
; WaveLimiterHint : 0
; COMPUTE_PGM_RSRC2:SCRATCH_EN: 0
; COMPUTE_PGM_RSRC2:USER_SGPR: 6
; COMPUTE_PGM_RSRC2:TRAP_HANDLER: 0
; COMPUTE_PGM_RSRC2:TGID_X_EN: 1
; COMPUTE_PGM_RSRC2:TGID_Y_EN: 1
; COMPUTE_PGM_RSRC2:TGID_Z_EN: 0
; COMPUTE_PGM_RSRC2:TIDIG_COMP_CNT: 1
	.section	.text._ZN2at6native12_GLOBAL__N_135GammaBetaBackwardCUDAKernelTemplateIddLj64ELj1ELj8ELb1ELb0ELb0EEEvllPKT_S5_PKT0_S8_PS3_S9_,"axG",@progbits,_ZN2at6native12_GLOBAL__N_135GammaBetaBackwardCUDAKernelTemplateIddLj64ELj1ELj8ELb1ELb0ELb0EEEvllPKT_S5_PKT0_S8_PS3_S9_,comdat
	.globl	_ZN2at6native12_GLOBAL__N_135GammaBetaBackwardCUDAKernelTemplateIddLj64ELj1ELj8ELb1ELb0ELb0EEEvllPKT_S5_PKT0_S8_PS3_S9_ ; -- Begin function _ZN2at6native12_GLOBAL__N_135GammaBetaBackwardCUDAKernelTemplateIddLj64ELj1ELj8ELb1ELb0ELb0EEEvllPKT_S5_PKT0_S8_PS3_S9_
	.p2align	8
	.type	_ZN2at6native12_GLOBAL__N_135GammaBetaBackwardCUDAKernelTemplateIddLj64ELj1ELj8ELb1ELb0ELb0EEEvllPKT_S5_PKT0_S8_PS3_S9_,@function
_ZN2at6native12_GLOBAL__N_135GammaBetaBackwardCUDAKernelTemplateIddLj64ELj1ELj8ELb1ELb0ELb0EEEvllPKT_S5_PKT0_S8_PS3_S9_: ; @_ZN2at6native12_GLOBAL__N_135GammaBetaBackwardCUDAKernelTemplateIddLj64ELj1ELj8ELb1ELb0ELb0EEEvllPKT_S5_PKT0_S8_PS3_S9_
; %bb.0:
	s_load_dwordx8 s[12:19], s[4:5], 0x0
	s_load_dwordx4 s[20:23], s[4:5], 0x20
	s_mov_b32 s8, s7
	s_lshl_b32 s7, s6, 6
	s_or_b32 s0, s7, 63
	v_mov_b32_e32 v2, s0
	v_mov_b32_e32 v3, 0
	s_lshl_b32 s24, s8, 3
	s_mov_b32 s25, 0
	s_waitcnt lgkmcnt(0)
	v_cmp_le_i64_e32 vcc, s[14:15], v[2:3]
	v_mov_b32_e32 v2, s24
	v_mov_b32_e32 v3, s25
	v_cmp_gt_i64_e64 s[0:1], s[12:13], v[2:3]
	v_cndmask_b32_e64 v2, 0, 1, s[0:1]
	v_cmp_ne_u32_e64 s[0:1], 1, v2
	s_cbranch_vccz .LBB30_48
; %bb.1:
	v_mov_b32_e32 v21, 0
	v_mov_b32_e32 v19, 0
	;; [unrolled: 1-line block ×3, first 2 shown]
	s_and_b64 vcc, exec, s[0:1]
	v_mov_b32_e32 v20, 0
	s_cbranch_vccnz .LBB30_49
; %bb.2:
	v_lshlrev_b32_e32 v47, 3, v1
	v_add_co_u32_e32 v9, vcc, s24, v47
	v_addc_co_u32_e64 v10, s[2:3], 0, 0, vcc
	v_mul_lo_u32 v7, s15, v9
	v_mul_lo_u32 v8, s14, v10
	v_mad_u64_u32 v[5:6], s[2:3], s14, v9, 0
	v_mov_b32_e32 v2, 0
	s_load_dword s9, s[4:5], 0x44
	v_add_u32_e32 v3, s7, v0
	v_mov_b32_e32 v4, v2
	v_add3_u32 v6, v6, v8, v7
	v_cmp_gt_i64_e64 s[2:3], s[14:15], v[3:4]
	v_lshlrev_b64 v[23:24], 3, v[3:4]
	v_lshlrev_b64 v[3:4], 3, v[5:6]
	s_add_u32 s26, s4, 64
	v_mov_b32_e32 v7, s17
	v_add_co_u32_e32 v49, vcc, s16, v3
	s_addc_u32 s27, s5, 0
	s_waitcnt lgkmcnt(0)
	s_lshl_b32 s9, s9, 3
	v_addc_co_u32_e32 v50, vcc, v7, v4, vcc
	s_mul_i32 s10, s15, s9
	s_mul_hi_u32 s11, s14, s9
	v_add_co_u32_e32 v7, vcc, 7, v9
	s_add_i32 s11, s11, s10
	s_mul_i32 s10, s14, s9
	v_addc_co_u32_e32 v8, vcc, 0, v10, vcc
	s_lshl_b64 s[28:29], s[10:11], 3
	v_mul_lo_u32 v12, s15, v7
	v_mul_lo_u32 v13, s14, v8
	v_mad_u64_u32 v[7:8], s[10:11], s14, v7, 0
	v_mov_b32_e32 v11, s19
	v_add_co_u32_e32 v51, vcc, s18, v3
	v_add3_u32 v8, v8, v13, v12
	v_addc_co_u32_e32 v52, vcc, v11, v4, vcc
	v_lshlrev_b64 v[3:4], 3, v[7:8]
	v_mov_b32_e32 v7, s17
	v_add_co_u32_e32 v53, vcc, s16, v3
	v_addc_co_u32_e32 v54, vcc, v7, v4, vcc
	v_add_co_u32_e32 v7, vcc, 6, v9
	v_addc_co_u32_e32 v8, vcc, 0, v10, vcc
	v_mul_lo_u32 v12, s15, v7
	v_mul_lo_u32 v13, s14, v8
	v_mad_u64_u32 v[7:8], s[10:11], s14, v7, 0
	v_add_co_u32_e32 v55, vcc, s18, v3
	v_add3_u32 v8, v8, v13, v12
	v_addc_co_u32_e32 v56, vcc, v11, v4, vcc
	v_lshlrev_b64 v[3:4], 3, v[7:8]
	v_mov_b32_e32 v7, s17
	v_add_co_u32_e32 v57, vcc, s16, v3
	v_addc_co_u32_e32 v58, vcc, v7, v4, vcc
	v_add_co_u32_e32 v7, vcc, 5, v9
	v_addc_co_u32_e32 v8, vcc, 0, v10, vcc
	v_mul_lo_u32 v12, s15, v7
	v_mul_lo_u32 v13, s14, v8
	v_mad_u64_u32 v[7:8], s[10:11], s14, v7, 0
	v_add_co_u32_e32 v59, vcc, s18, v3
	v_add3_u32 v8, v8, v13, v12
	v_addc_co_u32_e32 v60, vcc, v11, v4, vcc
	v_lshlrev_b64 v[3:4], 3, v[7:8]
	v_mov_b32_e32 v7, s17
	v_add_co_u32_e32 v61, vcc, s16, v3
	v_addc_co_u32_e32 v62, vcc, v7, v4, vcc
	v_add_co_u32_e32 v7, vcc, 4, v9
	v_addc_co_u32_e32 v8, vcc, 0, v10, vcc
	v_mul_lo_u32 v12, s15, v7
	v_mul_lo_u32 v13, s14, v8
	v_mad_u64_u32 v[7:8], s[10:11], s14, v7, 0
	v_add_co_u32_e32 v63, vcc, s18, v3
	v_add3_u32 v8, v8, v13, v12
	v_addc_co_u32_e32 v64, vcc, v11, v4, vcc
	v_lshlrev_b64 v[3:4], 3, v[7:8]
	v_mov_b32_e32 v7, s17
	v_add_co_u32_e32 v65, vcc, s16, v3
	v_addc_co_u32_e32 v66, vcc, v7, v4, vcc
	v_add_co_u32_e32 v7, vcc, 3, v9
	v_addc_co_u32_e32 v8, vcc, 0, v10, vcc
	v_mul_lo_u32 v12, s15, v7
	v_mul_lo_u32 v13, s14, v8
	v_mad_u64_u32 v[7:8], s[10:11], s14, v7, 0
	v_add_co_u32_e32 v67, vcc, s18, v3
	v_add3_u32 v8, v8, v13, v12
	v_addc_co_u32_e32 v68, vcc, v11, v4, vcc
	v_lshlrev_b64 v[3:4], 3, v[7:8]
	v_mov_b32_e32 v7, s17
	v_add_co_u32_e32 v69, vcc, s16, v3
	v_addc_co_u32_e32 v70, vcc, v7, v4, vcc
	v_add_co_u32_e32 v7, vcc, 2, v9
	v_addc_co_u32_e32 v8, vcc, 0, v10, vcc
	v_mul_lo_u32 v9, s15, v7
	v_mul_lo_u32 v10, s14, v8
	v_mad_u64_u32 v[7:8], s[10:11], s14, v7, 0
	v_add_co_u32_e32 v71, vcc, s18, v3
	v_add3_u32 v8, v8, v10, v9
	v_addc_co_u32_e32 v72, vcc, v11, v4, vcc
	v_lshlrev_b64 v[3:4], 3, v[7:8]
	v_mov_b32_e32 v7, s17
	v_add_co_u32_e32 v73, vcc, s16, v3
	v_addc_co_u32_e32 v74, vcc, v7, v4, vcc
	v_mov_b32_e32 v7, s19
	v_add_co_u32_e32 v75, vcc, s18, v3
	v_addc_co_u32_e32 v76, vcc, v7, v4, vcc
	;; [unrolled: 3-line block ×3, first 2 shown]
	v_lshlrev_b64 v[3:4], 3, v[3:4]
	v_mov_b32_e32 v5, s17
	v_add_co_u32_e32 v77, vcc, s16, v3
	v_addc_co_u32_e32 v78, vcc, v5, v4, vcc
	v_add_co_u32_e32 v79, vcc, s18, v3
	v_mbcnt_lo_u32_b32 v3, -1, 0
	v_mbcnt_hi_u32_b32 v3, -1, v3
	v_mov_b32_e32 v5, s19
	v_mov_b32_e32 v19, 0
	v_lshlrev_b32_e32 v3, 2, v3
	v_mov_b32_e32 v21, 0
	v_mov_b32_e32 v48, v2
	s_mov_b64 s[30:31], 7
	v_addc_co_u32_e32 v80, vcc, v5, v4, vcc
	v_mov_b32_e32 v20, 0
	v_and_b32_e32 v81, 0x100, v3
	v_mov_b32_e32 v22, 0
	s_mov_b64 s[34:35], s[24:25]
	s_branch .LBB30_5
.LBB30_3:                               ;   in Loop: Header=BB30_5 Depth=1
	s_or_b64 exec, exec, s[10:11]
	s_waitcnt vmcnt(1)
	ds_bpermute_b32 v45, v81, v27
	ds_bpermute_b32 v46, v81, v28
	s_waitcnt vmcnt(0)
	ds_bpermute_b32 v82, v81, v29
	ds_bpermute_b32 v84, v81, v27 offset:8
	ds_bpermute_b32 v85, v81, v28 offset:8
	ds_bpermute_b32 v83, v81, v30
	s_waitcnt lgkmcnt(4)
	v_add_f64 v[33:34], v[33:34], -v[45:46]
	ds_bpermute_b32 v45, v81, v27 offset:4
	ds_bpermute_b32 v46, v81, v28 offset:4
	s_waitcnt lgkmcnt(3)
	v_add_f64 v[25:26], v[25:26], -v[84:85]
	s_waitcnt lgkmcnt(0)
	v_add_f64 v[37:38], v[37:38], -v[45:46]
	v_mul_f64 v[33:34], v[3:4], v[33:34]
	v_add_f64 v[3:4], v[21:22], v[3:4]
	ds_bpermute_b32 v21, v81, v27 offset:12
	ds_bpermute_b32 v22, v81, v28 offset:12
	;; [unrolled: 1-line block ×4, first 2 shown]
	v_mul_f64 v[37:38], v[5:6], v[37:38]
	v_fma_f64 v[19:20], v[33:34], v[82:83], v[19:20]
	ds_bpermute_b32 v33, v81, v29 offset:4
	ds_bpermute_b32 v34, v81, v30 offset:4
	s_waitcnt lgkmcnt(4)
	v_add_f64 v[21:22], v[39:40], -v[21:22]
	v_add_f64 v[3:4], v[5:6], v[3:4]
	v_mul_f64 v[5:6], v[7:8], v[25:26]
	ds_bpermute_b32 v25, v81, v29 offset:8
	ds_bpermute_b32 v26, v81, v30 offset:8
	s_waitcnt lgkmcnt(2)
	v_fma_f64 v[19:20], v[37:38], v[33:34], v[19:20]
	v_add_f64 v[35:36], v[35:36], -v[45:46]
	ds_bpermute_b32 v33, v81, v27 offset:20
	v_mul_f64 v[21:22], v[9:10], v[21:22]
	v_add_f64 v[3:4], v[7:8], v[3:4]
	ds_bpermute_b32 v34, v81, v28 offset:20
	ds_bpermute_b32 v7, v81, v29 offset:12
	;; [unrolled: 1-line block ×3, first 2 shown]
	s_waitcnt lgkmcnt(4)
	v_fma_f64 v[5:6], v[5:6], v[25:26], v[19:20]
	ds_bpermute_b32 v19, v81, v27 offset:24
	s_waitcnt lgkmcnt(3)
	v_add_f64 v[25:26], v[43:44], -v[33:34]
	v_mul_f64 v[33:34], v[11:12], v[35:36]
	v_add_f64 v[3:4], v[9:10], v[3:4]
	ds_bpermute_b32 v20, v81, v28 offset:24
	s_waitcnt lgkmcnt(2)
	v_fma_f64 v[5:6], v[21:22], v[7:8], v[5:6]
	ds_bpermute_b32 v7, v81, v29 offset:16
	ds_bpermute_b32 v8, v81, v30 offset:16
	s_waitcnt lgkmcnt(2)
	v_add_f64 v[9:10], v[41:42], -v[19:20]
	v_mul_f64 v[19:20], v[13:14], v[25:26]
	v_add_f64 v[3:4], v[11:12], v[3:4]
	ds_bpermute_b32 v11, v81, v29 offset:24
	ds_bpermute_b32 v12, v81, v30 offset:24
	s_waitcnt lgkmcnt(2)
	v_fma_f64 v[5:6], v[33:34], v[7:8], v[5:6]
	ds_bpermute_b32 v7, v81, v29 offset:20
	ds_bpermute_b32 v8, v81, v30 offset:20
	v_mul_f64 v[9:10], v[15:16], v[9:10]
	ds_bpermute_b32 v29, v81, v29 offset:28
	v_add_f64 v[3:4], v[13:14], v[3:4]
	ds_bpermute_b32 v30, v81, v30 offset:28
	s_waitcnt lgkmcnt(2)
	v_fma_f64 v[7:8], v[19:20], v[7:8], v[5:6]
	v_add_f64 v[5:6], v[15:16], v[3:4]
	v_fma_f64 v[3:4], v[9:10], v[11:12], v[7:8]
	ds_bpermute_b32 v7, v81, v27 offset:28
	ds_bpermute_b32 v8, v81, v28 offset:28
.LBB30_4:                               ;   in Loop: Header=BB30_5 Depth=1
	v_mov_b32_e32 v9, s29
	v_add_co_u32_e32 v49, vcc, s28, v49
	v_addc_co_u32_e32 v50, vcc, v50, v9, vcc
	v_add_co_u32_e32 v51, vcc, s28, v51
	v_addc_co_u32_e32 v52, vcc, v52, v9, vcc
	;; [unrolled: 2-line block ×6, first 2 shown]
	v_add_co_u32_e32 v61, vcc, s28, v61
	s_waitcnt lgkmcnt(0)
	v_add_f64 v[7:8], v[31:32], -v[7:8]
	v_addc_co_u32_e32 v62, vcc, v62, v9, vcc
	v_add_co_u32_e32 v63, vcc, s28, v63
	v_addc_co_u32_e32 v64, vcc, v64, v9, vcc
	v_add_co_u32_e32 v65, vcc, s28, v65
	;; [unrolled: 2-line block ×4, first 2 shown]
	v_add_f64 v[21:22], v[5:6], v[17:18]
	v_mul_f64 v[5:6], v[17:18], v[7:8]
	v_addc_co_u32_e32 v70, vcc, v70, v9, vcc
	v_add_co_u32_e32 v71, vcc, s28, v71
	v_addc_co_u32_e32 v72, vcc, v72, v9, vcc
	v_add_co_u32_e32 v73, vcc, s28, v73
	;; [unrolled: 2-line block ×4, first 2 shown]
	v_fma_f64 v[19:20], v[5:6], v[29:30], v[3:4]
	v_addc_co_u32_e32 v78, vcc, v78, v9, vcc
	v_add_co_u32_e32 v79, vcc, s28, v79
	v_addc_co_u32_e32 v80, vcc, v80, v9, vcc
	s_add_u32 s34, s34, s9
	v_add_co_u32_e32 v47, vcc, s9, v47
	v_mov_b32_e32 v3, s12
	s_addc_u32 s35, s35, 0
	v_addc_co_u32_e32 v48, vcc, 0, v48, vcc
	v_mov_b32_e32 v4, s13
	v_cmp_lt_i64_e32 vcc, s[34:35], v[3:4]
	s_add_u32 s30, s30, s9
	s_addc_u32 s31, 0, s31
	s_cbranch_vccz .LBB30_49
.LBB30_5:                               ; =>This Inner Loop Header: Depth=1
	s_add_u32 s10, s24, s30
	v_mov_b32_e32 v3, s12
	s_addc_u32 s11, 0, s31
	v_mov_b32_e32 v4, s13
	v_cmp_ge_i64_e32 vcc, s[10:11], v[3:4]
	v_add_co_u32_e64 v25, s[10:11], s24, v47
	v_addc_co_u32_e64 v26, s[10:11], 0, v48, s[10:11]
	s_mov_b64 s[10:11], -1
	s_and_b64 vcc, exec, vcc
                                        ; implicit-def: $vgpr3_vgpr4_vgpr5_vgpr6_vgpr7_vgpr8_vgpr9_vgpr10_vgpr11_vgpr12_vgpr13_vgpr14_vgpr15_vgpr16_vgpr17_vgpr18
                                        ; implicit-def: $vgpr29_vgpr30
                                        ; implicit-def: $vgpr31_vgpr32
                                        ; implicit-def: $vgpr7
                                        ; implicit-def: $vgpr5_vgpr6
                                        ; implicit-def: $vgpr3_vgpr4
	s_cbranch_vccz .LBB30_27
; %bb.6:                                ;   in Loop: Header=BB30_5 Depth=1
	s_load_dword s10, s[26:27], 0xc
	v_mov_b32_e32 v33, 0
	v_mov_b32_e32 v29, 0
	;; [unrolled: 1-line block ×4, first 2 shown]
	s_waitcnt lgkmcnt(0)
	s_and_b32 s10, s10, 0xffff
	v_mad_u32_u24 v3, v1, s10, v0
	v_and_b32_e32 v3, 63, v3
	v_mov_b32_e32 v30, 0
	v_mov_b32_e32 v28, 0
	v_cmp_gt_u32_e32 vcc, 8, v3
	s_and_saveexec_b64 s[10:11], vcc
	s_cbranch_execz .LBB30_10
; %bb.7:                                ;   in Loop: Header=BB30_5 Depth=1
	v_add_co_u32_e32 v3, vcc, v25, v3
	v_addc_co_u32_e32 v4, vcc, 0, v26, vcc
	v_cmp_gt_i64_e32 vcc, s[12:13], v[3:4]
	v_mov_b32_e32 v27, 0
	v_mov_b32_e32 v29, 0
	;; [unrolled: 1-line block ×4, first 2 shown]
	s_and_saveexec_b64 s[36:37], vcc
	s_cbranch_execz .LBB30_9
; %bb.8:                                ;   in Loop: Header=BB30_5 Depth=1
	v_lshlrev_b64 v[3:4], 3, v[3:4]
	v_mov_b32_e32 v6, s23
	v_add_co_u32_e32 v5, vcc, s22, v3
	v_addc_co_u32_e32 v6, vcc, v6, v4, vcc
	v_mov_b32_e32 v7, s21
	v_add_co_u32_e32 v3, vcc, s20, v3
	v_addc_co_u32_e32 v4, vcc, v7, v4, vcc
	global_load_dwordx2 v[27:28], v[3:4], off
	global_load_dwordx2 v[29:30], v[5:6], off
.LBB30_9:                               ;   in Loop: Header=BB30_5 Depth=1
	s_or_b64 exec, exec, s[36:37]
.LBB30_10:                              ;   in Loop: Header=BB30_5 Depth=1
	s_or_b64 exec, exec, s[10:11]
	v_cmp_gt_i64_e32 vcc, s[12:13], v[25:26]
	v_mov_b32_e32 v3, v2
	v_mov_b32_e32 v4, v2
	;; [unrolled: 1-line block ×31, first 2 shown]
	s_and_b64 s[36:37], s[2:3], vcc
	s_and_saveexec_b64 s[10:11], s[36:37]
	s_cbranch_execz .LBB30_12
; %bb.11:                               ;   in Loop: Header=BB30_5 Depth=1
	v_add_co_u32_e32 v3, vcc, v49, v23
	v_addc_co_u32_e32 v4, vcc, v50, v24, vcc
	v_add_co_u32_e32 v5, vcc, v51, v23
	v_addc_co_u32_e32 v6, vcc, v52, v24, vcc
	global_load_dwordx2 v[3:4], v[3:4], off
	v_mov_b32_e32 v7, v2
	global_load_dwordx2 v[33:34], v[5:6], off
	v_mov_b32_e32 v5, v2
	v_mov_b32_e32 v6, v2
	;; [unrolled: 1-line block ×13, first 2 shown]
.LBB30_12:                              ;   in Loop: Header=BB30_5 Depth=1
	s_or_b64 exec, exec, s[10:11]
	v_add_co_u32_e32 v31, vcc, 1, v25
	v_addc_co_u32_e32 v32, vcc, 0, v26, vcc
	v_cmp_gt_i64_e32 vcc, s[12:13], v[31:32]
	v_mov_b32_e32 v35, 0
	v_mov_b32_e32 v37, 0
	v_mov_b32_e32 v36, 0
	v_mov_b32_e32 v38, 0
	s_and_b64 s[36:37], s[2:3], vcc
	s_and_saveexec_b64 s[10:11], s[36:37]
	s_cbranch_execz .LBB30_14
; %bb.13:                               ;   in Loop: Header=BB30_5 Depth=1
	v_add_co_u32_e32 v5, vcc, v77, v23
	v_addc_co_u32_e32 v6, vcc, v78, v24, vcc
	v_add_co_u32_e32 v31, vcc, v79, v23
	v_addc_co_u32_e32 v32, vcc, v80, v24, vcc
	global_load_dwordx2 v[5:6], v[5:6], off
	s_nop 0
	global_load_dwordx2 v[37:38], v[31:32], off
.LBB30_14:                              ;   in Loop: Header=BB30_5 Depth=1
	s_or_b64 exec, exec, s[10:11]
	v_add_co_u32_e32 v31, vcc, 2, v25
	v_addc_co_u32_e32 v32, vcc, 0, v26, vcc
	v_cmp_gt_i64_e32 vcc, s[12:13], v[31:32]
	s_and_b64 s[36:37], s[2:3], vcc
	s_and_saveexec_b64 s[10:11], s[36:37]
	s_cbranch_execz .LBB30_16
; %bb.15:                               ;   in Loop: Header=BB30_5 Depth=1
	v_add_co_u32_e32 v7, vcc, v73, v23
	v_addc_co_u32_e32 v8, vcc, v74, v24, vcc
	v_add_co_u32_e32 v31, vcc, v75, v23
	v_addc_co_u32_e32 v32, vcc, v76, v24, vcc
	global_load_dwordx2 v[7:8], v[7:8], off
	s_nop 0
	global_load_dwordx2 v[35:36], v[31:32], off
.LBB30_16:                              ;   in Loop: Header=BB30_5 Depth=1
	s_or_b64 exec, exec, s[10:11]
	v_add_co_u32_e32 v31, vcc, 3, v25
	v_addc_co_u32_e32 v32, vcc, 0, v26, vcc
	v_cmp_gt_i64_e32 vcc, s[12:13], v[31:32]
	v_mov_b32_e32 v39, 0
	v_mov_b32_e32 v41, 0
	v_mov_b32_e32 v40, 0
	v_mov_b32_e32 v42, 0
	s_and_b64 s[36:37], s[2:3], vcc
	s_and_saveexec_b64 s[10:11], s[36:37]
	s_cbranch_execz .LBB30_18
; %bb.17:                               ;   in Loop: Header=BB30_5 Depth=1
	v_add_co_u32_e32 v9, vcc, v69, v23
	v_addc_co_u32_e32 v10, vcc, v70, v24, vcc
	v_add_co_u32_e32 v31, vcc, v71, v23
	v_addc_co_u32_e32 v32, vcc, v72, v24, vcc
	global_load_dwordx2 v[9:10], v[9:10], off
	s_nop 0
	global_load_dwordx2 v[41:42], v[31:32], off
.LBB30_18:                              ;   in Loop: Header=BB30_5 Depth=1
	s_or_b64 exec, exec, s[10:11]
	v_add_co_u32_e32 v31, vcc, 4, v25
	v_addc_co_u32_e32 v32, vcc, 0, v26, vcc
	v_cmp_gt_i64_e32 vcc, s[12:13], v[31:32]
	s_and_b64 s[36:37], s[2:3], vcc
	s_and_saveexec_b64 s[10:11], s[36:37]
	s_cbranch_execz .LBB30_20
; %bb.19:                               ;   in Loop: Header=BB30_5 Depth=1
	v_add_co_u32_e32 v11, vcc, v65, v23
	v_addc_co_u32_e32 v12, vcc, v66, v24, vcc
	v_add_co_u32_e32 v31, vcc, v67, v23
	v_addc_co_u32_e32 v32, vcc, v68, v24, vcc
	global_load_dwordx2 v[11:12], v[11:12], off
	s_nop 0
	global_load_dwordx2 v[39:40], v[31:32], off
.LBB30_20:                              ;   in Loop: Header=BB30_5 Depth=1
	;; [unrolled: 36-line block ×3, first 2 shown]
	s_or_b64 exec, exec, s[10:11]
	v_add_co_u32_e32 v31, vcc, 7, v25
	v_addc_co_u32_e32 v32, vcc, 0, v26, vcc
	v_cmp_gt_i64_e32 vcc, s[12:13], v[31:32]
	v_mov_b32_e32 v31, 0
	v_mov_b32_e32 v32, 0
	s_and_b64 s[36:37], s[2:3], vcc
	s_and_saveexec_b64 s[10:11], s[36:37]
	s_cbranch_execz .LBB30_26
; %bb.25:                               ;   in Loop: Header=BB30_5 Depth=1
	v_add_co_u32_e32 v17, vcc, v53, v23
	v_addc_co_u32_e32 v18, vcc, v54, v24, vcc
	v_add_co_u32_e32 v31, vcc, v55, v23
	v_addc_co_u32_e32 v32, vcc, v56, v24, vcc
	global_load_dwordx2 v[17:18], v[17:18], off
	s_nop 0
	global_load_dwordx2 v[31:32], v[31:32], off
.LBB30_26:                              ;   in Loop: Header=BB30_5 Depth=1
	s_or_b64 exec, exec, s[10:11]
	s_waitcnt vmcnt(1)
	ds_bpermute_b32 v82, v81, v27
	ds_bpermute_b32 v83, v81, v28
	s_waitcnt vmcnt(0)
	ds_bpermute_b32 v84, v81, v29
	ds_bpermute_b32 v86, v81, v27 offset:8
	ds_bpermute_b32 v87, v81, v28 offset:8
	ds_bpermute_b32 v85, v81, v30
	s_waitcnt lgkmcnt(4)
	v_add_f64 v[33:34], v[33:34], -v[82:83]
	ds_bpermute_b32 v82, v81, v27 offset:4
	ds_bpermute_b32 v83, v81, v28 offset:4
	s_waitcnt lgkmcnt(3)
	v_add_f64 v[35:36], v[35:36], -v[86:87]
	ds_bpermute_b32 v86, v81, v27 offset:16
	ds_bpermute_b32 v87, v81, v28 offset:16
	s_mov_b64 s[10:11], 0
	s_waitcnt lgkmcnt(2)
	v_add_f64 v[37:38], v[37:38], -v[82:83]
	v_mul_f64 v[33:34], v[3:4], v[33:34]
	v_add_f64 v[3:4], v[21:22], v[3:4]
	ds_bpermute_b32 v82, v81, v27 offset:12
	ds_bpermute_b32 v83, v81, v28 offset:12
	s_waitcnt lgkmcnt(2)
	v_add_f64 v[39:40], v[39:40], -v[86:87]
	v_mul_f64 v[37:38], v[5:6], v[37:38]
	v_fma_f64 v[33:34], v[33:34], v[84:85], v[19:20]
	ds_bpermute_b32 v84, v81, v29 offset:4
	ds_bpermute_b32 v85, v81, v30 offset:4
	s_waitcnt lgkmcnt(2)
	v_add_f64 v[41:42], v[41:42], -v[82:83]
	v_add_f64 v[3:4], v[5:6], v[3:4]
	v_mul_f64 v[5:6], v[7:8], v[35:36]
	ds_bpermute_b32 v35, v81, v29 offset:8
	ds_bpermute_b32 v36, v81, v30 offset:8
	s_waitcnt lgkmcnt(2)
	v_fma_f64 v[33:34], v[37:38], v[84:85], v[33:34]
	ds_bpermute_b32 v37, v81, v27 offset:20
	ds_bpermute_b32 v38, v81, v28 offset:20
	v_mul_f64 v[41:42], v[9:10], v[41:42]
	v_add_f64 v[3:4], v[7:8], v[3:4]
	ds_bpermute_b32 v7, v81, v29 offset:12
	ds_bpermute_b32 v8, v81, v30 offset:12
	s_waitcnt lgkmcnt(4)
	v_fma_f64 v[5:6], v[5:6], v[35:36], v[33:34]
	s_waitcnt lgkmcnt(2)
	v_add_f64 v[35:36], v[45:46], -v[37:38]
	v_mul_f64 v[37:38], v[11:12], v[39:40]
	ds_bpermute_b32 v33, v81, v27 offset:24
	v_add_f64 v[3:4], v[9:10], v[3:4]
	ds_bpermute_b32 v34, v81, v28 offset:24
	s_waitcnt lgkmcnt(2)
	v_fma_f64 v[5:6], v[41:42], v[7:8], v[5:6]
	ds_bpermute_b32 v7, v81, v29 offset:16
	ds_bpermute_b32 v8, v81, v30 offset:16
	s_waitcnt lgkmcnt(2)
	v_add_f64 v[9:10], v[43:44], -v[33:34]
	v_mul_f64 v[33:34], v[13:14], v[35:36]
	v_add_f64 v[3:4], v[11:12], v[3:4]
	ds_bpermute_b32 v11, v81, v29 offset:24
	ds_bpermute_b32 v12, v81, v30 offset:24
	s_waitcnt lgkmcnt(2)
	v_fma_f64 v[5:6], v[37:38], v[7:8], v[5:6]
	ds_bpermute_b32 v7, v81, v29 offset:20
	ds_bpermute_b32 v8, v81, v30 offset:20
	v_mul_f64 v[9:10], v[15:16], v[9:10]
	ds_bpermute_b32 v29, v81, v29 offset:28
	v_add_f64 v[3:4], v[13:14], v[3:4]
	ds_bpermute_b32 v30, v81, v30 offset:28
	s_waitcnt lgkmcnt(2)
	v_fma_f64 v[7:8], v[33:34], v[7:8], v[5:6]
	v_add_f64 v[5:6], v[15:16], v[3:4]
	v_fma_f64 v[3:4], v[9:10], v[11:12], v[7:8]
	ds_bpermute_b32 v7, v81, v27 offset:28
	ds_bpermute_b32 v8, v81, v28 offset:28
.LBB30_27:                              ;   in Loop: Header=BB30_5 Depth=1
	s_and_b64 vcc, exec, s[10:11]
	s_cbranch_vccz .LBB30_4
; %bb.28:                               ;   in Loop: Header=BB30_5 Depth=1
	s_load_dword s10, s[26:27], 0x0
	v_mov_b32_e32 v33, 0
	s_waitcnt lgkmcnt(0)
	v_mov_b32_e32 v29, 0
	v_mov_b32_e32 v27, 0
	;; [unrolled: 1-line block ×3, first 2 shown]
	s_cmp_lt_u32 s6, s10
	s_cselect_b32 s10, 12, 18
	s_add_u32 s10, s26, s10
	s_addc_u32 s11, s27, 0
	global_load_ushort v3, v2, s[10:11]
	v_mov_b32_e32 v30, 0
	v_mov_b32_e32 v28, 0
	s_waitcnt vmcnt(0)
	v_mad_u32_u24 v3, v1, v3, v0
	v_and_b32_e32 v3, 63, v3
	v_cmp_gt_u32_e32 vcc, 8, v3
	s_and_saveexec_b64 s[10:11], vcc
	s_cbranch_execz .LBB30_32
; %bb.29:                               ;   in Loop: Header=BB30_5 Depth=1
	v_add_co_u32_e32 v3, vcc, v25, v3
	v_addc_co_u32_e32 v4, vcc, 0, v26, vcc
	v_cmp_gt_i64_e32 vcc, s[12:13], v[3:4]
	v_mov_b32_e32 v27, 0
	v_mov_b32_e32 v29, 0
	;; [unrolled: 1-line block ×4, first 2 shown]
	s_and_saveexec_b64 s[36:37], vcc
	s_cbranch_execz .LBB30_31
; %bb.30:                               ;   in Loop: Header=BB30_5 Depth=1
	v_lshlrev_b64 v[3:4], 3, v[3:4]
	v_mov_b32_e32 v6, s23
	v_add_co_u32_e32 v5, vcc, s22, v3
	v_addc_co_u32_e32 v6, vcc, v6, v4, vcc
	v_mov_b32_e32 v7, s21
	v_add_co_u32_e32 v3, vcc, s20, v3
	v_addc_co_u32_e32 v4, vcc, v7, v4, vcc
	global_load_dwordx2 v[27:28], v[3:4], off
	global_load_dwordx2 v[29:30], v[5:6], off
.LBB30_31:                              ;   in Loop: Header=BB30_5 Depth=1
	s_or_b64 exec, exec, s[36:37]
.LBB30_32:                              ;   in Loop: Header=BB30_5 Depth=1
	s_or_b64 exec, exec, s[10:11]
	v_mov_b32_e32 v3, v2
	v_mov_b32_e32 v4, v2
	;; [unrolled: 1-line block ×31, first 2 shown]
	s_and_saveexec_b64 s[10:11], s[2:3]
	s_cbranch_execz .LBB30_34
; %bb.33:                               ;   in Loop: Header=BB30_5 Depth=1
	v_add_co_u32_e32 v3, vcc, v49, v23
	v_addc_co_u32_e32 v4, vcc, v50, v24, vcc
	v_add_co_u32_e32 v5, vcc, v51, v23
	v_addc_co_u32_e32 v6, vcc, v52, v24, vcc
	global_load_dwordx2 v[3:4], v[3:4], off
	v_mov_b32_e32 v7, v2
	global_load_dwordx2 v[33:34], v[5:6], off
	v_mov_b32_e32 v5, v2
	v_mov_b32_e32 v6, v2
	;; [unrolled: 1-line block ×13, first 2 shown]
.LBB30_34:                              ;   in Loop: Header=BB30_5 Depth=1
	s_or_b64 exec, exec, s[10:11]
	v_mov_b32_e32 v25, 0
	v_mov_b32_e32 v37, 0
	v_mov_b32_e32 v26, 0
	v_mov_b32_e32 v38, 0
	s_and_saveexec_b64 s[10:11], s[2:3]
	s_cbranch_execz .LBB30_36
; %bb.35:                               ;   in Loop: Header=BB30_5 Depth=1
	v_add_co_u32_e32 v5, vcc, v77, v23
	v_addc_co_u32_e32 v6, vcc, v78, v24, vcc
	v_add_co_u32_e32 v31, vcc, v79, v23
	v_addc_co_u32_e32 v32, vcc, v80, v24, vcc
	global_load_dwordx2 v[5:6], v[5:6], off
	s_nop 0
	global_load_dwordx2 v[37:38], v[31:32], off
.LBB30_36:                              ;   in Loop: Header=BB30_5 Depth=1
	s_or_b64 exec, exec, s[10:11]
	s_and_saveexec_b64 s[10:11], s[2:3]
	s_cbranch_execz .LBB30_38
; %bb.37:                               ;   in Loop: Header=BB30_5 Depth=1
	v_add_co_u32_e32 v7, vcc, v73, v23
	v_addc_co_u32_e32 v8, vcc, v74, v24, vcc
	v_add_co_u32_e32 v25, vcc, v75, v23
	v_addc_co_u32_e32 v26, vcc, v76, v24, vcc
	global_load_dwordx2 v[7:8], v[7:8], off
	s_nop 0
	global_load_dwordx2 v[25:26], v[25:26], off
.LBB30_38:                              ;   in Loop: Header=BB30_5 Depth=1
	s_or_b64 exec, exec, s[10:11]
	v_mov_b32_e32 v35, 0
	v_mov_b32_e32 v39, 0
	v_mov_b32_e32 v36, 0
	v_mov_b32_e32 v40, 0
	s_and_saveexec_b64 s[10:11], s[2:3]
	s_cbranch_execz .LBB30_40
; %bb.39:                               ;   in Loop: Header=BB30_5 Depth=1
	v_add_co_u32_e32 v9, vcc, v69, v23
	v_addc_co_u32_e32 v10, vcc, v70, v24, vcc
	v_add_co_u32_e32 v31, vcc, v71, v23
	v_addc_co_u32_e32 v32, vcc, v72, v24, vcc
	global_load_dwordx2 v[9:10], v[9:10], off
	s_nop 0
	global_load_dwordx2 v[39:40], v[31:32], off
.LBB30_40:                              ;   in Loop: Header=BB30_5 Depth=1
	s_or_b64 exec, exec, s[10:11]
	s_and_saveexec_b64 s[10:11], s[2:3]
	s_cbranch_execz .LBB30_42
; %bb.41:                               ;   in Loop: Header=BB30_5 Depth=1
	v_add_co_u32_e32 v11, vcc, v65, v23
	v_addc_co_u32_e32 v12, vcc, v66, v24, vcc
	v_add_co_u32_e32 v31, vcc, v67, v23
	v_addc_co_u32_e32 v32, vcc, v68, v24, vcc
	global_load_dwordx2 v[11:12], v[11:12], off
	s_nop 0
	global_load_dwordx2 v[35:36], v[31:32], off
.LBB30_42:                              ;   in Loop: Header=BB30_5 Depth=1
	;; [unrolled: 28-line block ×3, first 2 shown]
	s_or_b64 exec, exec, s[10:11]
	v_mov_b32_e32 v31, 0
	v_mov_b32_e32 v32, 0
	s_and_saveexec_b64 s[10:11], s[2:3]
	s_cbranch_execz .LBB30_3
; %bb.47:                               ;   in Loop: Header=BB30_5 Depth=1
	v_add_co_u32_e32 v17, vcc, v53, v23
	v_addc_co_u32_e32 v18, vcc, v54, v24, vcc
	v_add_co_u32_e32 v31, vcc, v55, v23
	v_addc_co_u32_e32 v32, vcc, v56, v24, vcc
	global_load_dwordx2 v[17:18], v[17:18], off
	s_nop 0
	global_load_dwordx2 v[31:32], v[31:32], off
	s_branch .LBB30_3
.LBB30_48:
                                        ; implicit-def: $vgpr21_vgpr22
                                        ; implicit-def: $vgpr19_vgpr20
	s_branch .LBB30_50
.LBB30_49:
	s_cbranch_execnz .LBB30_81
.LBB30_50:
	v_mov_b32_e32 v21, 0
	v_mov_b32_e32 v19, 0
	;; [unrolled: 1-line block ×3, first 2 shown]
	s_and_b64 vcc, exec, s[0:1]
	v_mov_b32_e32 v20, 0
	s_cbranch_vccnz .LBB30_81
; %bb.51:
	v_lshlrev_b32_e32 v75, 3, v1
	v_add_co_u32_e32 v8, vcc, s24, v75
	v_addc_co_u32_e64 v9, s[0:1], 0, 0, vcc
	v_mul_lo_u32 v4, s15, v8
	v_mul_lo_u32 v5, s14, v9
	v_mad_u64_u32 v[2:3], s[0:1], s14, v8, 0
	v_mov_b32_e32 v6, s17
	s_add_u32 s2, s4, 64
	v_add3_u32 v3, v3, v5, v4
	v_lshlrev_b64 v[4:5], 3, v[2:3]
	s_addc_u32 s3, s5, 0
	v_add_co_u32_e32 v76, vcc, s16, v4
	v_addc_co_u32_e32 v77, vcc, v6, v5, vcc
	v_mov_b32_e32 v6, s19
	v_add_co_u32_e32 v78, vcc, s18, v4
	v_addc_co_u32_e32 v79, vcc, v6, v5, vcc
	v_lshlrev_b32_e32 v4, 6, v1
	s_lshl_b64 s[0:1], s[24:25], 3
	v_mov_b32_e32 v5, s1
	v_add_co_u32_e32 v10, vcc, s0, v4
	v_addc_co_u32_e32 v11, vcc, 0, v5, vcc
	v_add_co_u32_e32 v12, vcc, 8, v10
	v_addc_co_u32_e32 v6, vcc, 0, v11, vcc
	v_mov_b32_e32 v4, s16
	v_mul_lo_u32 v14, s14, v6
	v_mov_b32_e32 v6, s18
	v_mov_b32_e32 v5, s17
	;; [unrolled: 1-line block ×3, first 2 shown]
	v_mad_u64_u32 v[23:24], s[0:1], s14, v12, v[4:5]
	v_mul_lo_u32 v15, s15, v12
	v_mad_u64_u32 v[25:26], s[0:1], s14, v12, v[6:7]
	v_add_co_u32_e32 v12, vcc, 16, v10
	v_addc_co_u32_e32 v16, vcc, 0, v11, vcc
	v_mov_b32_e32 v13, s15
	v_add_co_u32_e32 v2, vcc, s14, v2
	v_addc_co_u32_e32 v3, vcc, v3, v13, vcc
	v_mul_lo_u32 v17, s15, v12
	v_mad_u64_u32 v[27:28], s[0:1], s14, v12, v[4:5]
	v_mad_u64_u32 v[29:30], s[0:1], s14, v12, v[6:7]
	v_add_co_u32_e32 v12, vcc, 24, v10
	v_addc_co_u32_e32 v13, vcc, 0, v11, vcc
	v_add3_u32 v24, v15, v24, v14
	v_add3_u32 v26, v15, v26, v14
	v_mul_lo_u32 v13, s14, v13
	v_mul_lo_u32 v14, s15, v12
	v_mad_u64_u32 v[31:32], s[0:1], s14, v12, v[4:5]
	v_mad_u64_u32 v[33:34], s[0:1], s14, v12, v[6:7]
	v_add_co_u32_e32 v12, vcc, 32, v10
	v_mul_lo_u32 v16, s14, v16
	v_addc_co_u32_e32 v15, vcc, 0, v11, vcc
	v_mul_lo_u32 v18, s15, v12
	v_mad_u64_u32 v[35:36], s[0:1], s14, v12, v[4:5]
	v_mad_u64_u32 v[37:38], s[0:1], s14, v12, v[6:7]
	v_add_co_u32_e32 v12, vcc, 40, v10
	v_add3_u32 v32, v14, v32, v13
	v_add3_u32 v34, v14, v34, v13
	v_addc_co_u32_e32 v13, vcc, 0, v11, vcc
	v_mul_lo_u32 v14, s15, v12
	v_mad_u64_u32 v[39:40], s[0:1], s14, v12, v[4:5]
	v_mad_u64_u32 v[41:42], s[0:1], s14, v12, v[6:7]
	v_add_co_u32_e32 v12, vcc, 48, v10
	v_add3_u32 v28, v17, v28, v16
	v_add3_u32 v30, v17, v30, v16
	v_addc_co_u32_e32 v16, vcc, 0, v11, vcc
	v_add_co_u32_e32 v10, vcc, 56, v10
	v_addc_co_u32_e32 v11, vcc, 0, v11, vcc
	v_mad_u64_u32 v[43:44], s[0:1], s14, v12, v[4:5]
	v_mad_u64_u32 v[47:48], s[0:1], s14, v10, v[4:5]
	v_add_co_u32_e32 v4, vcc, 7, v8
	v_addc_co_u32_e32 v5, vcc, 0, v9, vcc
	v_mad_u64_u32 v[45:46], s[0:1], s14, v12, v[6:7]
	v_mad_u64_u32 v[49:50], s[0:1], s14, v10, v[6:7]
	v_mul_lo_u32 v6, s15, v10
	v_mul_lo_u32 v7, s14, v5
	;; [unrolled: 1-line block ×3, first 2 shown]
	v_mad_u64_u32 v[4:5], s[0:1], s14, v4, 0
	v_mul_lo_u32 v11, s14, v11
	v_mul_lo_u32 v17, s15, v12
	v_add3_u32 v5, v5, v7, v10
	v_lshlrev_b64 v[4:5], 3, v[4:5]
	v_add3_u32 v48, v6, v48, v11
	v_add3_u32 v50, v6, v50, v11
	v_mov_b32_e32 v6, s17
	v_add_co_u32_e32 v80, vcc, s16, v4
	v_addc_co_u32_e32 v81, vcc, v6, v5, vcc
	v_add_co_u32_e32 v6, vcc, 6, v8
	v_addc_co_u32_e32 v7, vcc, 0, v9, vcc
	v_mul_lo_u32 v11, s14, v7
	v_mul_lo_u32 v12, s15, v6
	v_mad_u64_u32 v[6:7], s[0:1], s14, v6, 0
	v_mov_b32_e32 v10, s19
	v_add_co_u32_e32 v82, vcc, s18, v4
	v_add3_u32 v7, v7, v11, v12
	v_addc_co_u32_e32 v83, vcc, v10, v5, vcc
	v_lshlrev_b64 v[4:5], 3, v[6:7]
	v_mov_b32_e32 v6, s17
	v_add_co_u32_e32 v84, vcc, s16, v4
	v_addc_co_u32_e32 v85, vcc, v6, v5, vcc
	v_add_co_u32_e32 v6, vcc, 5, v8
	v_addc_co_u32_e32 v7, vcc, 0, v9, vcc
	v_mul_lo_u32 v11, s14, v7
	v_mul_lo_u32 v12, s15, v6
	v_mad_u64_u32 v[6:7], s[0:1], s14, v6, 0
	v_add_co_u32_e32 v86, vcc, s18, v4
	v_add3_u32 v7, v7, v11, v12
	v_addc_co_u32_e32 v87, vcc, v10, v5, vcc
	v_lshlrev_b64 v[4:5], 3, v[6:7]
	v_mov_b32_e32 v6, s17
	v_add_co_u32_e32 v88, vcc, s16, v4
	v_addc_co_u32_e32 v89, vcc, v6, v5, vcc
	v_add_co_u32_e32 v6, vcc, 4, v8
	v_addc_co_u32_e32 v7, vcc, 0, v9, vcc
	v_mul_lo_u32 v11, s14, v7
	v_mul_lo_u32 v12, s15, v6
	v_mad_u64_u32 v[6:7], s[0:1], s14, v6, 0
	;; [unrolled: 12-line block ×4, first 2 shown]
	v_add_co_u32_e32 v98, vcc, s18, v4
	v_add3_u32 v7, v7, v8, v9
	v_addc_co_u32_e32 v99, vcc, v10, v5, vcc
	v_lshlrev_b64 v[4:5], 3, v[6:7]
	v_mov_b32_e32 v6, s17
	v_add_co_u32_e32 v100, vcc, s16, v4
	v_addc_co_u32_e32 v101, vcc, v6, v5, vcc
	v_mov_b32_e32 v6, s19
	v_add_co_u32_e32 v102, vcc, s18, v4
	v_lshlrev_b64 v[2:3], 3, v[2:3]
	v_addc_co_u32_e32 v103, vcc, v6, v5, vcc
	s_load_dword s0, s[4:5], 0x44
	v_mov_b32_e32 v4, s17
	v_add_co_u32_e32 v104, vcc, s16, v2
	v_addc_co_u32_e32 v105, vcc, v4, v3, vcc
	v_mov_b32_e32 v4, s19
	v_add_co_u32_e32 v106, vcc, s18, v2
	v_mov_b32_e32 v2, 0
	v_mul_lo_u32 v15, s14, v15
	v_mul_lo_u32 v13, s14, v13
	;; [unrolled: 1-line block ×3, first 2 shown]
	v_addc_co_u32_e32 v107, vcc, v4, v3, vcc
	v_add_u32_e32 v3, s7, v0
	v_mov_b32_e32 v4, v2
	s_waitcnt lgkmcnt(0)
	s_lshl_b32 s7, s0, 3
	v_lshlrev_b64 v[51:52], 3, v[3:4]
	v_mbcnt_lo_u32_b32 v3, -1, 0
	s_mul_i32 s0, s15, s7
	s_mul_hi_u32 s1, s14, s7
	v_mbcnt_hi_u32_b32 v3, -1, v3
	s_add_i32 s1, s1, s0
	s_mul_i32 s0, s14, s7
	v_lshlrev_b32_e32 v3, 2, v3
	v_mov_b32_e32 v19, 0
	v_mov_b32_e32 v21, 0
	v_add3_u32 v36, v18, v36, v15
	v_add3_u32 v38, v18, v38, v15
	;; [unrolled: 1-line block ×6, first 2 shown]
	s_lshl_b64 s[10:11], s[0:1], 3
	s_mov_b64 s[16:17], 7
	v_and_b32_e32 v108, 0x100, v3
	s_mov_b64 s[18:19], s[24:25]
	v_mov_b32_e32 v20, 0
	v_mov_b32_e32 v22, 0
	;; [unrolled: 1-line block ×3, first 2 shown]
	s_branch .LBB30_55
.LBB30_52:                              ;   in Loop: Header=BB30_55 Depth=1
	s_or_b64 exec, exec, s[26:27]
.LBB30_53:                              ;   in Loop: Header=BB30_55 Depth=1
	s_or_b64 exec, exec, s[0:1]
	v_add_co_u32_e32 v7, vcc, v78, v51
	v_addc_co_u32_e32 v8, vcc, v79, v52, vcc
	global_load_dwordx2 v[7:8], v[7:8], off
	v_add_co_u32_e32 v9, vcc, v76, v51
	v_addc_co_u32_e32 v10, vcc, v77, v52, vcc
	v_add_co_u32_e32 v11, vcc, v25, v51
	v_addc_co_u32_e32 v12, vcc, v26, v52, vcc
	global_load_dwordx2 v[9:10], v[9:10], off
	v_add_co_u32_e32 v13, vcc, v23, v51
	global_load_dwordx2 v[11:12], v[11:12], off
	v_addc_co_u32_e32 v14, vcc, v24, v52, vcc
	v_add_co_u32_e32 v15, vcc, v29, v51
	v_addc_co_u32_e32 v16, vcc, v30, v52, vcc
	global_load_dwordx2 v[53:54], v[15:16], off
	global_load_dwordx2 v[55:56], v[13:14], off
	v_add_co_u32_e32 v13, vcc, v27, v51
	v_addc_co_u32_e32 v14, vcc, v28, v52, vcc
	v_add_co_u32_e32 v15, vcc, v33, v51
	v_addc_co_u32_e32 v16, vcc, v34, v52, vcc
	global_load_dwordx2 v[13:14], v[13:14], off
	v_add_co_u32_e32 v17, vcc, v37, v51
	global_load_dwordx2 v[15:16], v[15:16], off
	v_addc_co_u32_e32 v18, vcc, v38, v52, vcc
	v_add_co_u32_e32 v57, vcc, v31, v51
	v_addc_co_u32_e32 v58, vcc, v32, v52, vcc
	global_load_dwordx2 v[57:58], v[57:58], off
	v_add_co_u32_e32 v59, vcc, v41, v51
	global_load_dwordx2 v[61:62], v[17:18], off
	v_addc_co_u32_e32 v60, vcc, v42, v52, vcc
	v_add_co_u32_e32 v17, vcc, v45, v51
	v_addc_co_u32_e32 v18, vcc, v46, v52, vcc
	global_load_dwordx2 v[63:64], v[59:60], off
	global_load_dwordx2 v[65:66], v[17:18], off
	v_add_co_u32_e32 v17, vcc, v35, v51
	v_addc_co_u32_e32 v18, vcc, v36, v52, vcc
	global_load_dwordx2 v[59:60], v[17:18], off
	v_add_co_u32_e32 v17, vcc, v39, v51
	v_addc_co_u32_e32 v18, vcc, v40, v52, vcc
	v_add_co_u32_e32 v67, vcc, v49, v51
	v_addc_co_u32_e32 v68, vcc, v50, v52, vcc
	global_load_dwordx2 v[69:70], v[17:18], off
	global_load_dwordx2 v[71:72], v[67:68], off
	v_add_co_u32_e32 v17, vcc, v43, v51
	v_addc_co_u32_e32 v18, vcc, v44, v52, vcc
	global_load_dwordx2 v[67:68], v[17:18], off
	v_add_co_u32_e32 v17, vcc, v47, v51
	v_addc_co_u32_e32 v18, vcc, v48, v52, vcc
	global_load_dwordx2 v[17:18], v[17:18], off
	s_waitcnt vmcnt(17)
	ds_bpermute_b32 v73, v108, v5
	ds_bpermute_b32 v74, v108, v6
	ds_bpermute_b32 v110, v108, v5 offset:8
	ds_bpermute_b32 v111, v108, v6 offset:8
	;; [unrolled: 1-line block ×4, first 2 shown]
	s_waitcnt vmcnt(15) lgkmcnt(4)
	v_add_f64 v[7:8], v[7:8], -v[73:74]
	ds_bpermute_b32 v73, v108, v5 offset:4
	ds_bpermute_b32 v74, v108, v6 offset:4
	s_waitcnt vmcnt(14)
	v_mul_f64 v[7:8], v[9:10], v[7:8]
	v_add_f64 v[9:10], v[21:22], v[9:10]
	ds_bpermute_b32 v21, v108, v5 offset:16
	s_waitcnt vmcnt(13) lgkmcnt(1)
	v_add_f64 v[11:12], v[11:12], -v[73:74]
	ds_bpermute_b32 v73, v108, v3
	ds_bpermute_b32 v74, v108, v4
	ds_bpermute_b32 v22, v108, v6 offset:16
	s_waitcnt vmcnt(12)
	v_add_f64 v[53:54], v[53:54], -v[110:111]
	s_waitcnt lgkmcnt(1)
	v_fma_f64 v[7:8], v[7:8], v[73:74], v[19:20]
	s_waitcnt vmcnt(11)
	v_mul_f64 v[11:12], v[55:56], v[11:12]
	ds_bpermute_b32 v19, v108, v3 offset:4
	ds_bpermute_b32 v20, v108, v4 offset:4
	v_add_f64 v[9:10], v[9:10], v[55:56]
	s_waitcnt vmcnt(10)
	v_mul_f64 v[53:54], v[13:14], v[53:54]
	s_waitcnt lgkmcnt(0)
	v_fma_f64 v[7:8], v[11:12], v[19:20], v[7:8]
	ds_bpermute_b32 v11, v108, v3 offset:8
	s_waitcnt vmcnt(9)
	v_add_f64 v[15:16], v[15:16], -v[112:113]
	ds_bpermute_b32 v12, v108, v4 offset:8
	v_add_f64 v[9:10], v[9:10], v[13:14]
	ds_bpermute_b32 v19, v108, v5 offset:20
	ds_bpermute_b32 v20, v108, v6 offset:20
	ds_bpermute_b32 v13, v108, v3 offset:12
	s_waitcnt lgkmcnt(3)
	v_fma_f64 v[7:8], v[53:54], v[11:12], v[7:8]
	ds_bpermute_b32 v14, v108, v4 offset:12
	s_waitcnt vmcnt(8)
	v_mul_f64 v[15:16], v[57:58], v[15:16]
	ds_bpermute_b32 v11, v108, v5 offset:24
	s_waitcnt vmcnt(7)
	v_add_f64 v[21:22], v[61:62], -v[21:22]
	v_add_f64 v[9:10], v[9:10], v[57:58]
	ds_bpermute_b32 v12, v108, v6 offset:24
	ds_bpermute_b32 v5, v108, v5 offset:28
	;; [unrolled: 1-line block ×3, first 2 shown]
	s_waitcnt vmcnt(6) lgkmcnt(6)
	v_add_f64 v[19:20], v[63:64], -v[19:20]
	s_waitcnt lgkmcnt(4)
	v_fma_f64 v[7:8], v[15:16], v[13:14], v[7:8]
	ds_bpermute_b32 v13, v108, v3 offset:16
	ds_bpermute_b32 v14, v108, v4 offset:16
	s_waitcnt vmcnt(5) lgkmcnt(4)
	v_add_f64 v[11:12], v[65:66], -v[11:12]
	s_waitcnt vmcnt(4)
	v_mul_f64 v[21:22], v[59:60], v[21:22]
	v_add_f64 v[9:10], v[9:10], v[59:60]
	s_waitcnt vmcnt(3)
	v_mul_f64 v[15:16], v[69:70], v[19:20]
	s_waitcnt lgkmcnt(0)
	v_fma_f64 v[7:8], v[21:22], v[13:14], v[7:8]
	s_waitcnt vmcnt(2)
	v_add_f64 v[5:6], v[71:72], -v[5:6]
	ds_bpermute_b32 v13, v108, v3 offset:20
	ds_bpermute_b32 v14, v108, v4 offset:20
	v_add_f64 v[9:10], v[9:10], v[69:70]
	s_waitcnt vmcnt(1)
	v_mul_f64 v[11:12], v[67:68], v[11:12]
	ds_bpermute_b32 v19, v108, v3 offset:24
	ds_bpermute_b32 v20, v108, v4 offset:24
	s_waitcnt lgkmcnt(2)
	v_fma_f64 v[7:8], v[15:16], v[13:14], v[7:8]
	ds_bpermute_b32 v13, v108, v3 offset:28
	s_waitcnt vmcnt(0)
	v_mul_f64 v[5:6], v[17:18], v[5:6]
	ds_bpermute_b32 v14, v108, v4 offset:28
	v_add_f64 v[3:4], v[9:10], v[67:68]
	s_waitcnt lgkmcnt(2)
	v_fma_f64 v[7:8], v[11:12], v[19:20], v[7:8]
	s_waitcnt lgkmcnt(0)
	v_mul_f64 v[5:6], v[5:6], v[13:14]
.LBB30_54:                              ;   in Loop: Header=BB30_55 Depth=1
	v_add_f64 v[21:22], v[3:4], v[17:18]
	v_mov_b32_e32 v3, s11
	v_add_co_u32_e32 v76, vcc, s10, v76
	v_addc_co_u32_e32 v77, vcc, v77, v3, vcc
	v_add_co_u32_e32 v78, vcc, s10, v78
	v_addc_co_u32_e32 v79, vcc, v79, v3, vcc
	;; [unrolled: 2-line block ×29, first 2 shown]
	v_add_f64 v[19:20], v[7:8], v[5:6]
	v_add_co_u32_e32 v104, vcc, s10, v104
	v_addc_co_u32_e32 v105, vcc, v105, v3, vcc
	v_add_co_u32_e32 v106, vcc, s10, v106
	s_add_u32 s18, s18, s7
	v_addc_co_u32_e32 v107, vcc, v107, v3, vcc
	v_mov_b32_e32 v3, s12
	s_addc_u32 s19, s19, 0
	v_mov_b32_e32 v4, s13
	v_cmp_ge_i64_e32 vcc, s[18:19], v[3:4]
	s_add_u32 s16, s16, s7
	s_addc_u32 s17, 0, s17
	s_cbranch_vccnz .LBB30_81
.LBB30_55:                              ; =>This Inner Loop Header: Depth=1
	s_add_u32 s0, s24, s16
	v_mov_b32_e32 v3, s12
	s_addc_u32 s1, 0, s17
	v_mov_b32_e32 v4, s13
	v_cmp_ge_i64_e32 vcc, s[0:1], v[3:4]
	v_add_co_u32_e64 v53, s[0:1], s24, v75
	v_addc_co_u32_e64 v54, s[0:1], 0, v109, s[0:1]
	s_mov_b64 s[0:1], -1
	s_and_b64 vcc, exec, vcc
                                        ; implicit-def: $vgpr17_vgpr18
                                        ; implicit-def: $vgpr5_vgpr6
                                        ; implicit-def: $vgpr3_vgpr4
                                        ; implicit-def: $vgpr7_vgpr8
	s_cbranch_vccz .LBB30_77
; %bb.56:                               ;   in Loop: Header=BB30_55 Depth=1
	s_load_dword s0, s[2:3], 0xc
	v_mov_b32_e32 v59, 0
	v_mov_b32_e32 v55, 0
	;; [unrolled: 1-line block ×4, first 2 shown]
	s_waitcnt lgkmcnt(0)
	s_and_b32 s0, s0, 0xffff
	v_mad_u32_u24 v3, v1, s0, v0
	v_and_b32_e32 v3, 63, v3
	v_mov_b32_e32 v56, 0
	v_mov_b32_e32 v58, 0
	v_cmp_gt_u32_e32 vcc, 8, v3
	s_and_saveexec_b64 s[0:1], vcc
	s_cbranch_execz .LBB30_60
; %bb.57:                               ;   in Loop: Header=BB30_55 Depth=1
	v_add_co_u32_e32 v3, vcc, v53, v3
	v_addc_co_u32_e32 v4, vcc, 0, v54, vcc
	v_cmp_gt_i64_e32 vcc, s[12:13], v[3:4]
	v_mov_b32_e32 v57, 0
	v_mov_b32_e32 v55, 0
	;; [unrolled: 1-line block ×4, first 2 shown]
	s_and_saveexec_b64 s[26:27], vcc
	s_cbranch_execz .LBB30_59
; %bb.58:                               ;   in Loop: Header=BB30_55 Depth=1
	v_lshlrev_b64 v[3:4], 3, v[3:4]
	v_mov_b32_e32 v6, s23
	v_add_co_u32_e32 v5, vcc, s22, v3
	v_addc_co_u32_e32 v6, vcc, v6, v4, vcc
	v_mov_b32_e32 v7, s21
	v_add_co_u32_e32 v3, vcc, s20, v3
	v_addc_co_u32_e32 v4, vcc, v7, v4, vcc
	global_load_dwordx2 v[57:58], v[3:4], off
	global_load_dwordx2 v[55:56], v[5:6], off
.LBB30_59:                              ;   in Loop: Header=BB30_55 Depth=1
	s_or_b64 exec, exec, s[26:27]
.LBB30_60:                              ;   in Loop: Header=BB30_55 Depth=1
	s_or_b64 exec, exec, s[0:1]
	v_mov_b32_e32 v3, v2
	v_mov_b32_e32 v4, v2
	;; [unrolled: 1-line block ×15, first 2 shown]
	v_cmp_gt_i64_e32 vcc, s[12:13], v[53:54]
	v_mov_b32_e32 v18, v17
	v_mov_b32_e32 v17, v16
	;; [unrolled: 1-line block ×16, first 2 shown]
	s_and_saveexec_b64 s[0:1], vcc
	s_cbranch_execz .LBB30_62
; %bb.61:                               ;   in Loop: Header=BB30_55 Depth=1
	v_add_co_u32_e32 v3, vcc, v76, v51
	v_addc_co_u32_e32 v4, vcc, v77, v52, vcc
	v_add_co_u32_e32 v5, vcc, v78, v51
	v_addc_co_u32_e32 v6, vcc, v79, v52, vcc
	global_load_dwordx2 v[3:4], v[3:4], off
	v_mov_b32_e32 v7, v2
	global_load_dwordx2 v[59:60], v[5:6], off
	v_mov_b32_e32 v5, v2
	v_mov_b32_e32 v6, v2
	;; [unrolled: 1-line block ×13, first 2 shown]
.LBB30_62:                              ;   in Loop: Header=BB30_55 Depth=1
	s_or_b64 exec, exec, s[0:1]
	v_add_co_u32_e32 v61, vcc, 1, v53
	v_addc_co_u32_e32 v62, vcc, 0, v54, vcc
	v_cmp_gt_i64_e32 vcc, s[12:13], v[61:62]
	v_mov_b32_e32 v61, 0
	v_mov_b32_e32 v63, 0
	v_mov_b32_e32 v62, 0
	v_mov_b32_e32 v64, 0
	s_and_saveexec_b64 s[0:1], vcc
	s_cbranch_execz .LBB30_64
; %bb.63:                               ;   in Loop: Header=BB30_55 Depth=1
	v_add_co_u32_e32 v5, vcc, v104, v51
	v_addc_co_u32_e32 v6, vcc, v105, v52, vcc
	v_add_co_u32_e32 v63, vcc, v106, v51
	v_addc_co_u32_e32 v64, vcc, v107, v52, vcc
	global_load_dwordx2 v[5:6], v[5:6], off
	s_nop 0
	global_load_dwordx2 v[63:64], v[63:64], off
.LBB30_64:                              ;   in Loop: Header=BB30_55 Depth=1
	s_or_b64 exec, exec, s[0:1]
	v_add_co_u32_e32 v65, vcc, 2, v53
	v_addc_co_u32_e32 v66, vcc, 0, v54, vcc
	v_cmp_gt_i64_e32 vcc, s[12:13], v[65:66]
	s_and_saveexec_b64 s[0:1], vcc
	s_cbranch_execz .LBB30_66
; %bb.65:                               ;   in Loop: Header=BB30_55 Depth=1
	v_add_co_u32_e32 v7, vcc, v100, v51
	v_addc_co_u32_e32 v8, vcc, v101, v52, vcc
	v_add_co_u32_e32 v61, vcc, v102, v51
	v_addc_co_u32_e32 v62, vcc, v103, v52, vcc
	global_load_dwordx2 v[7:8], v[7:8], off
	s_nop 0
	global_load_dwordx2 v[61:62], v[61:62], off
.LBB30_66:                              ;   in Loop: Header=BB30_55 Depth=1
	s_or_b64 exec, exec, s[0:1]
	v_add_co_u32_e32 v65, vcc, 3, v53
	v_addc_co_u32_e32 v66, vcc, 0, v54, vcc
	v_cmp_gt_i64_e32 vcc, s[12:13], v[65:66]
	v_mov_b32_e32 v65, 0
	v_mov_b32_e32 v67, 0
	v_mov_b32_e32 v66, 0
	v_mov_b32_e32 v68, 0
	s_and_saveexec_b64 s[0:1], vcc
	s_cbranch_execz .LBB30_68
; %bb.67:                               ;   in Loop: Header=BB30_55 Depth=1
	v_add_co_u32_e32 v9, vcc, v96, v51
	v_addc_co_u32_e32 v10, vcc, v97, v52, vcc
	v_add_co_u32_e32 v67, vcc, v98, v51
	v_addc_co_u32_e32 v68, vcc, v99, v52, vcc
	global_load_dwordx2 v[9:10], v[9:10], off
	s_nop 0
	global_load_dwordx2 v[67:68], v[67:68], off
.LBB30_68:                              ;   in Loop: Header=BB30_55 Depth=1
	s_or_b64 exec, exec, s[0:1]
	v_add_co_u32_e32 v69, vcc, 4, v53
	v_addc_co_u32_e32 v70, vcc, 0, v54, vcc
	v_cmp_gt_i64_e32 vcc, s[12:13], v[69:70]
	s_and_saveexec_b64 s[0:1], vcc
	s_cbranch_execz .LBB30_70
; %bb.69:                               ;   in Loop: Header=BB30_55 Depth=1
	v_add_co_u32_e32 v11, vcc, v92, v51
	v_addc_co_u32_e32 v12, vcc, v93, v52, vcc
	v_add_co_u32_e32 v65, vcc, v94, v51
	v_addc_co_u32_e32 v66, vcc, v95, v52, vcc
	global_load_dwordx2 v[11:12], v[11:12], off
	s_nop 0
	global_load_dwordx2 v[65:66], v[65:66], off
.LBB30_70:                              ;   in Loop: Header=BB30_55 Depth=1
	s_or_b64 exec, exec, s[0:1]
	v_add_co_u32_e32 v69, vcc, 5, v53
	v_addc_co_u32_e32 v70, vcc, 0, v54, vcc
	v_cmp_gt_i64_e32 vcc, s[12:13], v[69:70]
	v_mov_b32_e32 v69, 0
	v_mov_b32_e32 v71, 0
	v_mov_b32_e32 v70, 0
	v_mov_b32_e32 v72, 0
	s_and_saveexec_b64 s[0:1], vcc
	s_cbranch_execz .LBB30_72
; %bb.71:                               ;   in Loop: Header=BB30_55 Depth=1
	v_add_co_u32_e32 v13, vcc, v88, v51
	v_addc_co_u32_e32 v14, vcc, v89, v52, vcc
	v_add_co_u32_e32 v71, vcc, v90, v51
	v_addc_co_u32_e32 v72, vcc, v91, v52, vcc
	global_load_dwordx2 v[13:14], v[13:14], off
	s_nop 0
	global_load_dwordx2 v[71:72], v[71:72], off
.LBB30_72:                              ;   in Loop: Header=BB30_55 Depth=1
	s_or_b64 exec, exec, s[0:1]
	v_add_co_u32_e32 v73, vcc, 6, v53
	v_addc_co_u32_e32 v74, vcc, 0, v54, vcc
	v_cmp_gt_i64_e32 vcc, s[12:13], v[73:74]
	s_and_saveexec_b64 s[0:1], vcc
	s_cbranch_execz .LBB30_74
; %bb.73:                               ;   in Loop: Header=BB30_55 Depth=1
	v_add_co_u32_e32 v15, vcc, v84, v51
	v_addc_co_u32_e32 v16, vcc, v85, v52, vcc
	v_add_co_u32_e32 v69, vcc, v86, v51
	v_addc_co_u32_e32 v70, vcc, v87, v52, vcc
	global_load_dwordx2 v[15:16], v[15:16], off
	s_nop 0
	global_load_dwordx2 v[69:70], v[69:70], off
.LBB30_74:                              ;   in Loop: Header=BB30_55 Depth=1
	s_or_b64 exec, exec, s[0:1]
	v_add_co_u32_e32 v73, vcc, 7, v53
	v_addc_co_u32_e32 v74, vcc, 0, v54, vcc
	v_cmp_gt_i64_e32 vcc, s[12:13], v[73:74]
	v_mov_b32_e32 v73, 0
	v_mov_b32_e32 v74, 0
	s_and_saveexec_b64 s[0:1], vcc
	s_cbranch_execz .LBB30_76
; %bb.75:                               ;   in Loop: Header=BB30_55 Depth=1
	v_add_co_u32_e32 v17, vcc, v80, v51
	v_addc_co_u32_e32 v18, vcc, v81, v52, vcc
	v_add_co_u32_e32 v73, vcc, v82, v51
	v_addc_co_u32_e32 v74, vcc, v83, v52, vcc
	global_load_dwordx2 v[17:18], v[17:18], off
	s_nop 0
	global_load_dwordx2 v[73:74], v[73:74], off
.LBB30_76:                              ;   in Loop: Header=BB30_55 Depth=1
	s_or_b64 exec, exec, s[0:1]
	s_waitcnt vmcnt(1)
	ds_bpermute_b32 v110, v108, v57
	ds_bpermute_b32 v111, v108, v58
	s_waitcnt vmcnt(0)
	ds_bpermute_b32 v112, v108, v55
	ds_bpermute_b32 v114, v108, v57 offset:8
	ds_bpermute_b32 v115, v108, v58 offset:8
	ds_bpermute_b32 v113, v108, v56
	s_waitcnt lgkmcnt(4)
	v_add_f64 v[59:60], v[59:60], -v[110:111]
	ds_bpermute_b32 v110, v108, v57 offset:4
	ds_bpermute_b32 v111, v108, v58 offset:4
	s_waitcnt lgkmcnt(3)
	v_add_f64 v[61:62], v[61:62], -v[114:115]
	ds_bpermute_b32 v114, v108, v57 offset:16
	ds_bpermute_b32 v115, v108, v58 offset:16
	s_mov_b64 s[0:1], 0
	s_waitcnt lgkmcnt(2)
	v_add_f64 v[63:64], v[63:64], -v[110:111]
	v_mul_f64 v[59:60], v[3:4], v[59:60]
	v_add_f64 v[3:4], v[21:22], v[3:4]
	ds_bpermute_b32 v110, v108, v57 offset:12
	ds_bpermute_b32 v111, v108, v58 offset:12
	s_waitcnt lgkmcnt(2)
	v_add_f64 v[65:66], v[65:66], -v[114:115]
	v_mul_f64 v[63:64], v[5:6], v[63:64]
	v_fma_f64 v[59:60], v[59:60], v[112:113], v[19:20]
	ds_bpermute_b32 v112, v108, v55 offset:4
	ds_bpermute_b32 v113, v108, v56 offset:4
	s_waitcnt lgkmcnt(2)
	v_add_f64 v[67:68], v[67:68], -v[110:111]
	v_add_f64 v[3:4], v[5:6], v[3:4]
	v_mul_f64 v[5:6], v[7:8], v[61:62]
	ds_bpermute_b32 v61, v108, v55 offset:8
	ds_bpermute_b32 v62, v108, v56 offset:8
	s_waitcnt lgkmcnt(2)
	v_fma_f64 v[59:60], v[63:64], v[112:113], v[59:60]
	ds_bpermute_b32 v63, v108, v57 offset:20
	ds_bpermute_b32 v64, v108, v58 offset:20
	v_mul_f64 v[67:68], v[9:10], v[67:68]
	v_add_f64 v[3:4], v[7:8], v[3:4]
	ds_bpermute_b32 v7, v108, v55 offset:12
	ds_bpermute_b32 v8, v108, v56 offset:12
	s_waitcnt lgkmcnt(4)
	v_fma_f64 v[5:6], v[5:6], v[61:62], v[59:60]
	s_waitcnt lgkmcnt(2)
	v_add_f64 v[61:62], v[71:72], -v[63:64]
	v_mul_f64 v[63:64], v[11:12], v[65:66]
	ds_bpermute_b32 v59, v108, v57 offset:24
	v_add_f64 v[3:4], v[9:10], v[3:4]
	ds_bpermute_b32 v60, v108, v58 offset:24
	ds_bpermute_b32 v9, v108, v57 offset:28
	;; [unrolled: 1-line block ×3, first 2 shown]
	s_waitcnt lgkmcnt(4)
	v_fma_f64 v[5:6], v[67:68], v[7:8], v[5:6]
	ds_bpermute_b32 v7, v108, v55 offset:16
	ds_bpermute_b32 v8, v108, v56 offset:16
	s_waitcnt lgkmcnt(4)
	v_add_f64 v[57:58], v[69:70], -v[59:60]
	v_mul_f64 v[59:60], v[13:14], v[61:62]
	v_add_f64 v[3:4], v[11:12], v[3:4]
	ds_bpermute_b32 v11, v108, v55 offset:24
	ds_bpermute_b32 v12, v108, v56 offset:24
	s_waitcnt lgkmcnt(2)
	v_fma_f64 v[5:6], v[63:64], v[7:8], v[5:6]
	v_add_f64 v[7:8], v[73:74], -v[9:10]
	ds_bpermute_b32 v9, v108, v55 offset:20
	ds_bpermute_b32 v10, v108, v56 offset:20
	v_mul_f64 v[57:58], v[15:16], v[57:58]
	v_add_f64 v[3:4], v[13:14], v[3:4]
	ds_bpermute_b32 v13, v108, v55 offset:28
	ds_bpermute_b32 v14, v108, v56 offset:28
	s_waitcnt lgkmcnt(2)
	v_fma_f64 v[5:6], v[59:60], v[9:10], v[5:6]
	v_mul_f64 v[9:10], v[17:18], v[7:8]
	v_add_f64 v[3:4], v[15:16], v[3:4]
	v_fma_f64 v[7:8], v[57:58], v[11:12], v[5:6]
	s_waitcnt lgkmcnt(0)
	v_mul_f64 v[5:6], v[9:10], v[13:14]
.LBB30_77:                              ;   in Loop: Header=BB30_55 Depth=1
	s_and_b64 vcc, exec, s[0:1]
	s_cbranch_vccz .LBB30_54
; %bb.78:                               ;   in Loop: Header=BB30_55 Depth=1
	s_load_dword s0, s[2:3], 0x0
	v_mov_b32_e32 v3, 0
	v_mov_b32_e32 v4, 0
	s_waitcnt lgkmcnt(0)
	s_cmp_lt_u32 s6, s0
	s_cselect_b32 s0, 12, 18
	s_add_u32 s0, s2, s0
	s_addc_u32 s1, s3, 0
	global_load_ushort v5, v2, s[0:1]
	s_waitcnt vmcnt(0)
	v_mad_u32_u24 v5, v1, v5, v0
	v_and_b32_e32 v7, 63, v5
	v_mov_b32_e32 v5, 0
	v_mov_b32_e32 v6, 0
	v_cmp_gt_u32_e32 vcc, 8, v7
	s_and_saveexec_b64 s[0:1], vcc
	s_cbranch_execz .LBB30_53
; %bb.79:                               ;   in Loop: Header=BB30_55 Depth=1
	v_add_co_u32_e32 v7, vcc, v53, v7
	v_addc_co_u32_e32 v8, vcc, 0, v54, vcc
	v_cmp_gt_i64_e32 vcc, s[12:13], v[7:8]
	v_mov_b32_e32 v5, 0
	v_mov_b32_e32 v3, 0
	v_mov_b32_e32 v6, 0
	v_mov_b32_e32 v4, 0
	s_and_saveexec_b64 s[26:27], vcc
	s_cbranch_execz .LBB30_52
; %bb.80:                               ;   in Loop: Header=BB30_55 Depth=1
	v_lshlrev_b64 v[3:4], 3, v[7:8]
	v_mov_b32_e32 v5, s23
	v_add_co_u32_e32 v7, vcc, s22, v3
	v_addc_co_u32_e32 v8, vcc, v5, v4, vcc
	v_mov_b32_e32 v5, s21
	v_add_co_u32_e32 v9, vcc, s20, v3
	v_addc_co_u32_e32 v10, vcc, v5, v4, vcc
	global_load_dwordx2 v[5:6], v[9:10], off
	global_load_dwordx2 v[3:4], v[7:8], off
	s_branch .LBB30_52
.LBB30_81:
	s_mov_b32 s7, 0
	s_lshl_b64 s[0:1], s[6:7], 6
	v_or_b32_e32 v4, s0, v0
	v_mov_b32_e32 v5, s1
	v_cmp_gt_i64_e32 vcc, s[14:15], v[4:5]
	s_and_saveexec_b64 s[0:1], vcc
	s_cbranch_execz .LBB30_86
; %bb.82:
	s_load_dword s0, s[4:5], 0x4c
	v_mov_b32_e32 v2, 0
	v_mov_b32_e32 v0, s8
	s_waitcnt lgkmcnt(0)
	s_lshr_b32 s0, s0, 16
	v_mad_u64_u32 v[2:3], s[0:1], s0, v0, v[1:2]
	s_load_dwordx4 s[0:3], s[4:5], 0x30
	v_lshlrev_b64 v[0:1], 3, v[4:5]
	v_mul_lo_u32 v3, v3, s14
	v_mul_lo_u32 v6, v2, s15
	s_waitcnt lgkmcnt(0)
	s_cmp_eq_u64 s[0:1], 0
	s_cbranch_scc1 .LBB30_84
; %bb.83:
	v_mad_u64_u32 v[4:5], s[4:5], v2, s14, 0
	v_mov_b32_e32 v7, s1
	v_add3_u32 v5, v5, v6, v3
	v_lshlrev_b64 v[4:5], 3, v[4:5]
	v_add_co_u32_e32 v4, vcc, s0, v4
	v_addc_co_u32_e32 v5, vcc, v7, v5, vcc
	v_add_co_u32_e32 v4, vcc, v4, v0
	v_addc_co_u32_e32 v5, vcc, v5, v1, vcc
	global_store_dwordx2 v[4:5], v[19:20], off
.LBB30_84:
	s_cmp_eq_u64 s[2:3], 0
	s_cbranch_scc1 .LBB30_86
; %bb.85:
	v_mad_u64_u32 v[4:5], s[0:1], v2, s14, 0
	v_mov_b32_e32 v7, s3
	v_add3_u32 v5, v5, v6, v3
	v_lshlrev_b64 v[2:3], 3, v[4:5]
	v_add_co_u32_e32 v2, vcc, s2, v2
	v_addc_co_u32_e32 v3, vcc, v7, v3, vcc
	v_add_co_u32_e32 v0, vcc, v2, v0
	v_addc_co_u32_e32 v1, vcc, v3, v1, vcc
	global_store_dwordx2 v[0:1], v[21:22], off
.LBB30_86:
	s_endpgm
	.section	.rodata,"a",@progbits
	.p2align	6, 0x0
	.amdhsa_kernel _ZN2at6native12_GLOBAL__N_135GammaBetaBackwardCUDAKernelTemplateIddLj64ELj1ELj8ELb1ELb0ELb0EEEvllPKT_S5_PKT0_S8_PS3_S9_
		.amdhsa_group_segment_fixed_size 0
		.amdhsa_private_segment_fixed_size 0
		.amdhsa_kernarg_size 320
		.amdhsa_user_sgpr_count 6
		.amdhsa_user_sgpr_private_segment_buffer 1
		.amdhsa_user_sgpr_dispatch_ptr 0
		.amdhsa_user_sgpr_queue_ptr 0
		.amdhsa_user_sgpr_kernarg_segment_ptr 1
		.amdhsa_user_sgpr_dispatch_id 0
		.amdhsa_user_sgpr_flat_scratch_init 0
		.amdhsa_user_sgpr_private_segment_size 0
		.amdhsa_uses_dynamic_stack 0
		.amdhsa_system_sgpr_private_segment_wavefront_offset 0
		.amdhsa_system_sgpr_workgroup_id_x 1
		.amdhsa_system_sgpr_workgroup_id_y 1
		.amdhsa_system_sgpr_workgroup_id_z 0
		.amdhsa_system_sgpr_workgroup_info 0
		.amdhsa_system_vgpr_workitem_id 1
		.amdhsa_next_free_vgpr 116
		.amdhsa_next_free_sgpr 38
		.amdhsa_reserve_vcc 1
		.amdhsa_reserve_flat_scratch 0
		.amdhsa_float_round_mode_32 0
		.amdhsa_float_round_mode_16_64 0
		.amdhsa_float_denorm_mode_32 3
		.amdhsa_float_denorm_mode_16_64 3
		.amdhsa_dx10_clamp 1
		.amdhsa_ieee_mode 1
		.amdhsa_fp16_overflow 0
		.amdhsa_exception_fp_ieee_invalid_op 0
		.amdhsa_exception_fp_denorm_src 0
		.amdhsa_exception_fp_ieee_div_zero 0
		.amdhsa_exception_fp_ieee_overflow 0
		.amdhsa_exception_fp_ieee_underflow 0
		.amdhsa_exception_fp_ieee_inexact 0
		.amdhsa_exception_int_div_zero 0
	.end_amdhsa_kernel
	.section	.text._ZN2at6native12_GLOBAL__N_135GammaBetaBackwardCUDAKernelTemplateIddLj64ELj1ELj8ELb1ELb0ELb0EEEvllPKT_S5_PKT0_S8_PS3_S9_,"axG",@progbits,_ZN2at6native12_GLOBAL__N_135GammaBetaBackwardCUDAKernelTemplateIddLj64ELj1ELj8ELb1ELb0ELb0EEEvllPKT_S5_PKT0_S8_PS3_S9_,comdat
.Lfunc_end30:
	.size	_ZN2at6native12_GLOBAL__N_135GammaBetaBackwardCUDAKernelTemplateIddLj64ELj1ELj8ELb1ELb0ELb0EEEvllPKT_S5_PKT0_S8_PS3_S9_, .Lfunc_end30-_ZN2at6native12_GLOBAL__N_135GammaBetaBackwardCUDAKernelTemplateIddLj64ELj1ELj8ELb1ELb0ELb0EEEvllPKT_S5_PKT0_S8_PS3_S9_
                                        ; -- End function
	.set _ZN2at6native12_GLOBAL__N_135GammaBetaBackwardCUDAKernelTemplateIddLj64ELj1ELj8ELb1ELb0ELb0EEEvllPKT_S5_PKT0_S8_PS3_S9_.num_vgpr, 116
	.set _ZN2at6native12_GLOBAL__N_135GammaBetaBackwardCUDAKernelTemplateIddLj64ELj1ELj8ELb1ELb0ELb0EEEvllPKT_S5_PKT0_S8_PS3_S9_.num_agpr, 0
	.set _ZN2at6native12_GLOBAL__N_135GammaBetaBackwardCUDAKernelTemplateIddLj64ELj1ELj8ELb1ELb0ELb0EEEvllPKT_S5_PKT0_S8_PS3_S9_.numbered_sgpr, 38
	.set _ZN2at6native12_GLOBAL__N_135GammaBetaBackwardCUDAKernelTemplateIddLj64ELj1ELj8ELb1ELb0ELb0EEEvllPKT_S5_PKT0_S8_PS3_S9_.num_named_barrier, 0
	.set _ZN2at6native12_GLOBAL__N_135GammaBetaBackwardCUDAKernelTemplateIddLj64ELj1ELj8ELb1ELb0ELb0EEEvllPKT_S5_PKT0_S8_PS3_S9_.private_seg_size, 0
	.set _ZN2at6native12_GLOBAL__N_135GammaBetaBackwardCUDAKernelTemplateIddLj64ELj1ELj8ELb1ELb0ELb0EEEvllPKT_S5_PKT0_S8_PS3_S9_.uses_vcc, 1
	.set _ZN2at6native12_GLOBAL__N_135GammaBetaBackwardCUDAKernelTemplateIddLj64ELj1ELj8ELb1ELb0ELb0EEEvllPKT_S5_PKT0_S8_PS3_S9_.uses_flat_scratch, 0
	.set _ZN2at6native12_GLOBAL__N_135GammaBetaBackwardCUDAKernelTemplateIddLj64ELj1ELj8ELb1ELb0ELb0EEEvllPKT_S5_PKT0_S8_PS3_S9_.has_dyn_sized_stack, 0
	.set _ZN2at6native12_GLOBAL__N_135GammaBetaBackwardCUDAKernelTemplateIddLj64ELj1ELj8ELb1ELb0ELb0EEEvllPKT_S5_PKT0_S8_PS3_S9_.has_recursion, 0
	.set _ZN2at6native12_GLOBAL__N_135GammaBetaBackwardCUDAKernelTemplateIddLj64ELj1ELj8ELb1ELb0ELb0EEEvllPKT_S5_PKT0_S8_PS3_S9_.has_indirect_call, 0
	.section	.AMDGPU.csdata,"",@progbits
; Kernel info:
; codeLenInByte = 7980
; TotalNumSgprs: 42
; NumVgprs: 116
; ScratchSize: 0
; MemoryBound: 0
; FloatMode: 240
; IeeeMode: 1
; LDSByteSize: 0 bytes/workgroup (compile time only)
; SGPRBlocks: 5
; VGPRBlocks: 28
; NumSGPRsForWavesPerEU: 42
; NumVGPRsForWavesPerEU: 116
; Occupancy: 2
; WaveLimiterHint : 0
; COMPUTE_PGM_RSRC2:SCRATCH_EN: 0
; COMPUTE_PGM_RSRC2:USER_SGPR: 6
; COMPUTE_PGM_RSRC2:TRAP_HANDLER: 0
; COMPUTE_PGM_RSRC2:TGID_X_EN: 1
; COMPUTE_PGM_RSRC2:TGID_Y_EN: 1
; COMPUTE_PGM_RSRC2:TGID_Z_EN: 0
; COMPUTE_PGM_RSRC2:TIDIG_COMP_CNT: 1
	.section	.text._ZN2at6native12_GLOBAL__N_135GammaBetaBackwardCUDAKernelTemplateIddLj64ELj8ELj64ELb0ELb1ELb0EEEvllPKT_S5_PKT0_S8_PS3_S9_,"axG",@progbits,_ZN2at6native12_GLOBAL__N_135GammaBetaBackwardCUDAKernelTemplateIddLj64ELj8ELj64ELb0ELb1ELb0EEEvllPKT_S5_PKT0_S8_PS3_S9_,comdat
	.globl	_ZN2at6native12_GLOBAL__N_135GammaBetaBackwardCUDAKernelTemplateIddLj64ELj8ELj64ELb0ELb1ELb0EEEvllPKT_S5_PKT0_S8_PS3_S9_ ; -- Begin function _ZN2at6native12_GLOBAL__N_135GammaBetaBackwardCUDAKernelTemplateIddLj64ELj8ELj64ELb0ELb1ELb0EEEvllPKT_S5_PKT0_S8_PS3_S9_
	.p2align	8
	.type	_ZN2at6native12_GLOBAL__N_135GammaBetaBackwardCUDAKernelTemplateIddLj64ELj8ELj64ELb0ELb1ELb0EEEvllPKT_S5_PKT0_S8_PS3_S9_,@function
_ZN2at6native12_GLOBAL__N_135GammaBetaBackwardCUDAKernelTemplateIddLj64ELj8ELj64ELb0ELb1ELb0EEEvllPKT_S5_PKT0_S8_PS3_S9_: ; @_ZN2at6native12_GLOBAL__N_135GammaBetaBackwardCUDAKernelTemplateIddLj64ELj8ELj64ELb0ELb1ELb0EEEvllPKT_S5_PKT0_S8_PS3_S9_
; %bb.0:
	s_load_dwordx4 s[20:23], s[4:5], 0x0
	s_lshl_b32 s24, s7, 6
	s_mov_b32 s25, 0
	v_mov_b32_e32 v2, s24
	v_mov_b32_e32 v3, s25
	s_waitcnt lgkmcnt(0)
	v_cmp_gt_i64_e32 vcc, s[20:21], v[2:3]
	s_cbranch_vccnz .LBB31_2
; %bb.1:
	s_mov_b64 s[0:1], 0
	s_branch .LBB31_3
.LBB31_2:
	s_mov_b64 s[0:1], -1
.LBB31_3:
	s_load_dwordx4 s[16:19], s[4:5], 0x30
	v_mov_b32_e32 v8, 0
	v_mov_b32_e32 v12, 0
	;; [unrolled: 1-line block ×3, first 2 shown]
	s_andn2_b64 vcc, exec, s[0:1]
	v_mov_b32_e32 v13, 0
	v_mbcnt_lo_u32_b32 v14, -1, 0
	s_cbranch_vccnz .LBB31_10
; %bb.4:
	s_load_dword s0, s[4:5], 0x4c
	s_load_dword s2, s[4:5], 0x44
	s_load_dwordx8 s[8:15], s[4:5], 0x10
	v_lshlrev_b32_e32 v2, 3, v1
	v_mbcnt_hi_u32_b32 v4, -1, v14
	v_lshlrev_b32_e32 v4, 2, v4
	v_add_co_u32_e32 v2, vcc, s24, v2
	v_and_b32_e32 v15, 0x100, v4
	s_waitcnt lgkmcnt(0)
	s_lshl_b32 s4, s2, 6
	v_addc_co_u32_e64 v4, s[2:3], 0, 0, vcc
	v_mul_lo_u32 v10, s23, v2
	v_mul_lo_u32 v11, s22, v4
	v_mad_u64_u32 v[8:9], s[2:3], s22, v2, 0
	s_and_b32 s0, s0, 0xffff
	v_mad_u32_u24 v3, v1, s0, v0
	v_and_b32_e32 v3, 63, v3
	v_mov_b32_e32 v7, 0
	v_lshl_add_u32 v6, s6, 6, v0
	v_add3_u32 v9, v9, v11, v10
	v_add_co_u32_e32 v2, vcc, v2, v3
	v_lshlrev_b64 v[8:9], 3, v[8:9]
	v_lshlrev_b64 v[6:7], 3, v[6:7]
	v_cmp_gt_u32_e64 s[0:1], 8, v3
	v_addc_co_u32_e32 v3, vcc, 0, v4, vcc
	v_add_co_u32_e32 v22, vcc, v8, v6
	s_mul_i32 s2, s23, s4
	s_mul_hi_u32 s3, s22, s4
	s_mov_b32 s5, 0
	v_lshlrev_b64 v[4:5], 3, v[2:3]
	v_addc_co_u32_e32 v23, vcc, v9, v7, vcc
	s_add_i32 s3, s3, s2
	s_mul_i32 s2, s22, s4
	v_mov_b32_e32 v12, 0
	v_mov_b32_e32 v8, 0
	v_or_b32_e32 v16, 4, v15
	v_or_b32_e32 v17, 8, v15
	;; [unrolled: 1-line block ×6, first 2 shown]
	s_lshl_b64 s[26:27], s[4:5], 3
	s_lshl_b64 s[28:29], s[2:3], 3
	;; [unrolled: 1-line block ×3, first 2 shown]
	v_mov_b32_e32 v13, 0
	v_mov_b32_e32 v9, 0
	v_or_b32_e32 v24, 28, v15
	s_branch .LBB31_7
.LBB31_5:                               ;   in Loop: Header=BB31_7 Depth=1
	s_or_b64 exec, exec, s[30:31]
.LBB31_6:                               ;   in Loop: Header=BB31_7 Depth=1
	s_or_b64 exec, exec, s[2:3]
	v_mov_b32_e32 v25, s11
	v_add_co_u32_e32 v26, vcc, s10, v22
	v_addc_co_u32_e32 v27, vcc, v25, v23, vcc
	global_load_dwordx2 v[28:29], v[26:27], off
	v_mov_b32_e32 v31, s9
	v_add_co_u32_e32 v30, vcc, s8, v22
	v_mov_b32_e32 v25, s23
	v_add_co_u32_e64 v26, s[2:3], s22, v26
	v_addc_co_u32_e64 v27, s[2:3], v27, v25, s[2:3]
	v_addc_co_u32_e32 v31, vcc, v31, v23, vcc
	global_load_dwordx2 v[32:33], v[26:27], off
	global_load_dwordx2 v[34:35], v[30:31], off
	v_add_co_u32_e32 v30, vcc, s22, v30
	v_addc_co_u32_e32 v31, vcc, v31, v25, vcc
	global_load_dwordx2 v[36:37], v[30:31], off
	s_waitcnt vmcnt(5)
	ds_bpermute_b32 v38, v15, v10
	ds_bpermute_b32 v39, v15, v11
	v_add_co_u32_e32 v30, vcc, s22, v30
	v_addc_co_u32_e32 v31, vcc, v31, v25, vcc
	v_add_co_u32_e32 v26, vcc, s22, v26
	v_addc_co_u32_e32 v27, vcc, v27, v25, vcc
	s_waitcnt vmcnt(4)
	ds_bpermute_b32 v40, v18, v6
	ds_bpermute_b32 v41, v18, v7
	;; [unrolled: 1-line block ×4, first 2 shown]
	s_add_u32 s24, s24, s4
	s_addc_u32 s25, s25, 0
	v_add_co_u32_e64 v22, s[2:3], s28, v22
	s_waitcnt vmcnt(3) lgkmcnt(4)
	v_add_f64 v[28:29], v[28:29], -v[38:39]
	ds_bpermute_b32 v38, v16, v10
	ds_bpermute_b32 v39, v16, v11
	s_waitcnt vmcnt(2) lgkmcnt(0)
	v_add_f64 v[32:33], v[32:33], -v[38:39]
	s_waitcnt vmcnt(1)
	v_mul_f64 v[28:29], v[34:35], v[28:29]
	ds_bpermute_b32 v38, v15, v6
	ds_bpermute_b32 v39, v15, v7
	v_add_f64 v[8:9], v[8:9], v[34:35]
	s_waitcnt vmcnt(0)
	v_mul_f64 v[32:33], v[36:37], v[32:33]
	s_waitcnt lgkmcnt(0)
	v_fma_f64 v[12:13], v[28:29], v[38:39], v[12:13]
	global_load_dwordx2 v[28:29], v[26:27], off
	ds_bpermute_b32 v38, v16, v6
	ds_bpermute_b32 v39, v16, v7
	v_add_co_u32_e32 v26, vcc, s22, v26
	v_addc_co_u32_e32 v27, vcc, v27, v25, vcc
	s_waitcnt lgkmcnt(0)
	v_fma_f64 v[12:13], v[32:33], v[38:39], v[12:13]
	global_load_dwordx2 v[32:33], v[30:31], off
	ds_bpermute_b32 v38, v17, v10
	ds_bpermute_b32 v39, v17, v11
	v_add_co_u32_e32 v30, vcc, s22, v30
	v_addc_co_u32_e32 v31, vcc, v31, v25, vcc
	v_add_f64 v[8:9], v[8:9], v[36:37]
	s_waitcnt vmcnt(1) lgkmcnt(0)
	v_add_f64 v[28:29], v[28:29], -v[38:39]
	ds_bpermute_b32 v38, v17, v6
	ds_bpermute_b32 v39, v17, v7
	s_waitcnt vmcnt(0)
	v_mul_f64 v[28:29], v[32:33], v[28:29]
	v_add_f64 v[8:9], v[8:9], v[32:33]
	s_waitcnt lgkmcnt(0)
	v_fma_f64 v[12:13], v[28:29], v[38:39], v[12:13]
	global_load_dwordx2 v[28:29], v[26:27], off
	ds_bpermute_b32 v38, v18, v10
	ds_bpermute_b32 v39, v18, v11
	s_waitcnt vmcnt(0) lgkmcnt(0)
	v_add_f64 v[28:29], v[28:29], -v[38:39]
	global_load_dwordx2 v[38:39], v[30:31], off
	s_waitcnt vmcnt(0)
	v_mul_f64 v[28:29], v[38:39], v[28:29]
	v_add_f64 v[8:9], v[8:9], v[38:39]
	v_fma_f64 v[12:13], v[28:29], v[40:41], v[12:13]
	v_add_co_u32_e32 v28, vcc, s22, v30
	v_addc_co_u32_e32 v29, vcc, v31, v25, vcc
	v_add_co_u32_e32 v26, vcc, s22, v26
	v_addc_co_u32_e32 v27, vcc, v27, v25, vcc
	global_load_dwordx2 v[40:41], v[26:27], off
	ds_bpermute_b32 v30, v19, v10
	ds_bpermute_b32 v31, v19, v11
	s_waitcnt vmcnt(0) lgkmcnt(0)
	v_add_f64 v[30:31], v[40:41], -v[30:31]
	global_load_dwordx2 v[40:41], v[28:29], off
	v_add_co_u32_e32 v28, vcc, s22, v28
	v_addc_co_u32_e32 v29, vcc, v29, v25, vcc
	v_add_co_u32_e32 v26, vcc, s22, v26
	v_addc_co_u32_e32 v27, vcc, v27, v25, vcc
	;; [unrolled: 2-line block ×3, first 2 shown]
	global_load_dwordx2 v[26:27], v[26:27], off
	s_waitcnt vmcnt(1)
	v_mul_f64 v[30:31], v[40:41], v[30:31]
	global_load_dwordx2 v[32:33], v[34:35], off
	v_add_f64 v[8:9], v[8:9], v[40:41]
	v_fma_f64 v[12:13], v[30:31], v[42:43], v[12:13]
	ds_bpermute_b32 v30, v20, v10
	ds_bpermute_b32 v31, v20, v11
	;; [unrolled: 1-line block ×6, first 2 shown]
	s_waitcnt vmcnt(1) lgkmcnt(4)
	v_add_f64 v[26:27], v[26:27], -v[30:31]
	v_add_co_u32_e32 v30, vcc, s22, v34
	v_addc_co_u32_e32 v31, vcc, v35, v25, vcc
	v_add_co_u32_e32 v34, vcc, s22, v28
	v_addc_co_u32_e32 v35, vcc, v29, v25, vcc
	global_load_dwordx2 v[28:29], v[28:29], off
	v_add_co_u32_e32 v36, vcc, s22, v34
	v_addc_co_u32_e32 v37, vcc, v35, v25, vcc
	v_add_co_u32_e32 v4, vcc, s26, v4
	s_waitcnt vmcnt(1) lgkmcnt(2)
	v_add_f64 v[32:33], v[32:33], -v[42:43]
	global_load_dwordx2 v[38:39], v[30:31], off
	global_load_dwordx2 v[42:43], v[34:35], off
	;; [unrolled: 1-line block ×3, first 2 shown]
	ds_bpermute_b32 v30, v20, v6
	ds_bpermute_b32 v31, v20, v7
	s_waitcnt vmcnt(3)
	v_mul_f64 v[25:26], v[28:29], v[26:27]
	v_add_f64 v[8:9], v[8:9], v[28:29]
	v_mov_b32_e32 v27, s27
	v_addc_co_u32_e32 v5, vcc, v5, v27, vcc
	v_add_co_u32_e32 v2, vcc, s4, v2
	v_addc_co_u32_e32 v3, vcc, 0, v3, vcc
	s_waitcnt lgkmcnt(0)
	v_fma_f64 v[12:13], v[25:26], v[30:31], v[12:13]
	ds_bpermute_b32 v25, v21, v6
	ds_bpermute_b32 v26, v21, v7
	;; [unrolled: 1-line block ×4, first 2 shown]
	s_waitcnt vmcnt(2)
	v_add_f64 v[10:11], v[38:39], -v[10:11]
	s_waitcnt vmcnt(1)
	v_mul_f64 v[32:33], v[42:43], v[32:33]
	v_add_f64 v[8:9], v[8:9], v[42:43]
	s_waitcnt vmcnt(0)
	v_mul_f64 v[10:11], v[44:45], v[10:11]
	s_waitcnt lgkmcnt(2)
	v_fma_f64 v[12:13], v[32:33], v[25:26], v[12:13]
	v_add_f64 v[8:9], v[8:9], v[44:45]
	s_waitcnt lgkmcnt(0)
	v_fma_f64 v[12:13], v[10:11], v[6:7], v[12:13]
	v_mov_b32_e32 v6, s20
	v_mov_b32_e32 v7, s21
	v_cmp_lt_i64_e32 vcc, s[24:25], v[6:7]
	v_mov_b32_e32 v10, s29
	v_addc_co_u32_e64 v23, s[2:3], v23, v10, s[2:3]
	s_cbranch_vccz .LBB31_10
.LBB31_7:                               ; =>This Inner Loop Header: Depth=1
	v_mov_b32_e32 v6, 0
	v_mov_b32_e32 v10, 0
	;; [unrolled: 1-line block ×4, first 2 shown]
	s_and_saveexec_b64 s[2:3], s[0:1]
	s_cbranch_execz .LBB31_6
; %bb.8:                                ;   in Loop: Header=BB31_7 Depth=1
	v_cmp_gt_i64_e32 vcc, s[20:21], v[2:3]
	v_mov_b32_e32 v10, 0
	v_mov_b32_e32 v6, 0
	;; [unrolled: 1-line block ×4, first 2 shown]
	s_and_saveexec_b64 s[30:31], vcc
	s_cbranch_execz .LBB31_5
; %bb.9:                                ;   in Loop: Header=BB31_7 Depth=1
	v_mov_b32_e32 v6, s15
	v_add_co_u32_e32 v25, vcc, s14, v4
	v_addc_co_u32_e32 v26, vcc, v6, v5, vcc
	v_mov_b32_e32 v6, s13
	v_add_co_u32_e32 v27, vcc, s12, v4
	v_addc_co_u32_e32 v28, vcc, v6, v5, vcc
	global_load_dwordx2 v[10:11], v[27:28], off
	global_load_dwordx2 v[6:7], v[25:26], off
	s_branch .LBB31_5
.LBB31_10:
	s_movk_i32 s0, 0x41
	v_mad_u32_u24 v2, v1, s0, v0
	v_lshl_add_u32 v2, v2, 3, 0
	ds_write_b64 v2, v[12:13]
	ds_write_b64 v2, v[8:9] offset:4160
	v_lshrrev_b32_e32 v2, 6, v0
	v_add_u32_e32 v8, v2, v1
	v_cmp_gt_u32_e32 vcc, 64, v8
	s_waitcnt lgkmcnt(0)
	s_barrier
	s_and_saveexec_b64 s[0:1], vcc
	s_cbranch_execz .LBB31_74
; %bb.11:
	v_and_b32_e32 v1, 63, v0
	v_cmp_gt_u32_e64 s[0:1], 8, v1
	v_mul_u32_u24_e32 v7, 0x41, v1
                                        ; implicit-def: $vgpr1_vgpr2
                                        ; implicit-def: $vgpr3_vgpr4
	s_and_saveexec_b64 s[2:3], s[0:1]
	s_cbranch_execz .LBB31_13
; %bb.12:
	v_add_u32_e32 v1, v8, v7
	v_lshl_add_u32 v1, v1, 3, 0
	ds_read_b64 v[3:4], v1
	ds_read_b64 v[1:2], v1 offset:4160
.LBB31_13:
	s_or_b64 exec, exec, s[2:3]
	v_mbcnt_hi_u32_b32 v13, -1, v14
	v_and_b32_e32 v5, 64, v13
	v_add_u32_e32 v14, 64, v5
	v_xor_b32_e32 v5, 4, v13
	v_cmp_lt_i32_e32 vcc, v5, v14
	v_cndmask_b32_e32 v5, v13, v5, vcc
	v_lshlrev_b32_e32 v9, 2, v5
	s_waitcnt lgkmcnt(1)
	ds_bpermute_b32 v5, v9, v3
	ds_bpermute_b32 v6, v9, v4
	s_waitcnt lgkmcnt(2)
	ds_bpermute_b32 v10, v9, v1
	ds_bpermute_b32 v11, v9, v2
	s_mov_b32 s7, 0
	s_lshl_b64 s[4:5], s[6:7], 6
	s_waitcnt lgkmcnt(2)
	v_add_f64 v[3:4], v[3:4], v[5:6]
	v_xor_b32_e32 v5, 2, v13
	s_waitcnt lgkmcnt(0)
	v_add_f64 v[1:2], v[1:2], v[10:11]
	v_cmp_lt_i32_e32 vcc, v5, v14
	v_cndmask_b32_e32 v5, v13, v5, vcc
	v_lshlrev_b32_e32 v10, 2, v5
	s_cmp_lg_u64 s[16:17], 0
	s_cselect_b64 s[8:9], -1, 0
	ds_bpermute_b32 v5, v10, v3
	ds_bpermute_b32 v6, v10, v4
	ds_bpermute_b32 v11, v10, v1
	ds_bpermute_b32 v12, v10, v2
	s_cmp_lg_u64 s[18:19], 0
	v_cmp_eq_u32_e64 s[2:3], 0, v0
	s_waitcnt lgkmcnt(2)
	v_add_f64 v[3:4], v[3:4], v[5:6]
	s_cselect_b64 s[6:7], -1, 0
	s_waitcnt lgkmcnt(0)
	v_add_f64 v[5:6], v[1:2], v[11:12]
	v_xor_b32_e32 v1, 1, v13
	v_cmp_lt_i32_e32 vcc, v1, v14
	v_cndmask_b32_e32 v1, v13, v1, vcc
	v_lshlrev_b32_e32 v11, 2, v1
	ds_bpermute_b32 v1, v11, v3
	ds_bpermute_b32 v2, v11, v4
	;; [unrolled: 1-line block ×4, first 2 shown]
	s_waitcnt lgkmcnt(2)
	v_add_f64 v[1:2], v[3:4], v[1:2]
	s_waitcnt lgkmcnt(0)
	v_add_f64 v[3:4], v[5:6], v[12:13]
	s_and_saveexec_b64 s[10:11], s[2:3]
	s_cbranch_execz .LBB31_18
; %bb.14:
	v_mov_b32_e32 v6, s5
	v_or_b32_e32 v5, s4, v8
	v_lshlrev_b64 v[5:6], 3, v[5:6]
	s_andn2_b64 vcc, exec, s[8:9]
	s_cbranch_vccnz .LBB31_16
; %bb.15:
	v_mov_b32_e32 v0, s17
	v_add_co_u32_e32 v12, vcc, s16, v5
	v_addc_co_u32_e32 v13, vcc, v0, v6, vcc
	global_store_dwordx2 v[12:13], v[1:2], off
.LBB31_16:
	s_andn2_b64 vcc, exec, s[6:7]
	s_cbranch_vccnz .LBB31_18
; %bb.17:
	v_mov_b32_e32 v0, s19
	v_add_co_u32_e32 v5, vcc, s18, v5
	v_addc_co_u32_e32 v6, vcc, v0, v6, vcc
	global_store_dwordx2 v[5:6], v[3:4], off
.LBB31_18:
	s_or_b64 exec, exec, s[10:11]
	v_cmp_gt_u32_e32 vcc, 56, v8
	s_and_b64 exec, exec, vcc
	s_cbranch_execz .LBB31_74
; %bb.19:
	s_and_saveexec_b64 s[10:11], s[0:1]
	s_cbranch_execz .LBB31_21
; %bb.20:
	v_add_u32_e32 v0, v8, v7
	v_lshl_add_u32 v0, v0, 3, 0
	ds_read_b64 v[1:2], v0 offset:64
	ds_read_b64 v[3:4], v0 offset:4224
.LBB31_21:
	s_or_b64 exec, exec, s[10:11]
	s_waitcnt lgkmcnt(1)
	ds_bpermute_b32 v5, v9, v1
	ds_bpermute_b32 v6, v9, v2
	s_waitcnt lgkmcnt(2)
	ds_bpermute_b32 v12, v9, v3
	ds_bpermute_b32 v13, v9, v4
	s_waitcnt lgkmcnt(2)
	v_add_f64 v[0:1], v[1:2], v[5:6]
	s_waitcnt lgkmcnt(0)
	v_add_f64 v[2:3], v[3:4], v[12:13]
	ds_bpermute_b32 v4, v10, v0
	ds_bpermute_b32 v5, v10, v1
	;; [unrolled: 1-line block ×4, first 2 shown]
	s_waitcnt lgkmcnt(2)
	v_add_f64 v[0:1], v[0:1], v[4:5]
	s_waitcnt lgkmcnt(0)
	v_add_f64 v[2:3], v[2:3], v[12:13]
	ds_bpermute_b32 v4, v11, v0
	ds_bpermute_b32 v5, v11, v1
	;; [unrolled: 1-line block ×4, first 2 shown]
	s_waitcnt lgkmcnt(2)
	v_add_f64 v[0:1], v[0:1], v[4:5]
	s_waitcnt lgkmcnt(0)
	v_add_f64 v[2:3], v[2:3], v[12:13]
	s_and_saveexec_b64 s[10:11], s[2:3]
	s_cbranch_execz .LBB31_26
; %bb.22:
	s_andn2_b64 vcc, exec, s[8:9]
	s_cbranch_vccnz .LBB31_24
; %bb.23:
	v_mov_b32_e32 v5, s5
	v_add_co_u32_e32 v4, vcc, s4, v8
	v_addc_co_u32_e32 v5, vcc, 0, v5, vcc
	v_lshlrev_b64 v[4:5], 3, v[4:5]
	v_mov_b32_e32 v6, s17
	v_add_co_u32_e32 v4, vcc, s16, v4
	v_addc_co_u32_e32 v5, vcc, v6, v5, vcc
	global_store_dwordx2 v[4:5], v[0:1], off offset:64
.LBB31_24:
	s_andn2_b64 vcc, exec, s[6:7]
	s_cbranch_vccnz .LBB31_26
; %bb.25:
	v_mov_b32_e32 v5, s5
	v_add_co_u32_e32 v4, vcc, s4, v8
	v_addc_co_u32_e32 v5, vcc, 0, v5, vcc
	v_lshlrev_b64 v[4:5], 3, v[4:5]
	v_mov_b32_e32 v6, s19
	v_add_co_u32_e32 v4, vcc, s18, v4
	v_addc_co_u32_e32 v5, vcc, v6, v5, vcc
	global_store_dwordx2 v[4:5], v[2:3], off offset:64
.LBB31_26:
	s_or_b64 exec, exec, s[10:11]
	v_cmp_gt_u32_e32 vcc, 48, v8
	s_and_b64 exec, exec, vcc
	s_cbranch_execz .LBB31_74
; %bb.27:
	s_and_saveexec_b64 s[10:11], s[0:1]
	s_cbranch_execz .LBB31_29
; %bb.28:
	v_add_u32_e32 v0, v8, v7
	v_lshl_add_u32 v2, v0, 3, 0
	ds_read_b64 v[0:1], v2 offset:128
	ds_read_b64 v[2:3], v2 offset:4288
.LBB31_29:
	s_or_b64 exec, exec, s[10:11]
	s_waitcnt lgkmcnt(1)
	ds_bpermute_b32 v4, v9, v0
	ds_bpermute_b32 v5, v9, v1
	s_waitcnt lgkmcnt(2)
	ds_bpermute_b32 v12, v9, v2
	ds_bpermute_b32 v13, v9, v3
	s_waitcnt lgkmcnt(2)
	v_add_f64 v[0:1], v[0:1], v[4:5]
	s_waitcnt lgkmcnt(0)
	v_add_f64 v[2:3], v[2:3], v[12:13]
	ds_bpermute_b32 v4, v10, v0
	ds_bpermute_b32 v5, v10, v1
	;; [unrolled: 1-line block ×4, first 2 shown]
	s_waitcnt lgkmcnt(2)
	v_add_f64 v[0:1], v[0:1], v[4:5]
	s_waitcnt lgkmcnt(0)
	v_add_f64 v[2:3], v[2:3], v[12:13]
	ds_bpermute_b32 v4, v11, v0
	ds_bpermute_b32 v5, v11, v1
	;; [unrolled: 1-line block ×4, first 2 shown]
	s_waitcnt lgkmcnt(2)
	v_add_f64 v[0:1], v[0:1], v[4:5]
	s_waitcnt lgkmcnt(0)
	v_add_f64 v[2:3], v[2:3], v[12:13]
	s_and_saveexec_b64 s[10:11], s[2:3]
	s_cbranch_execz .LBB31_34
; %bb.30:
	s_andn2_b64 vcc, exec, s[8:9]
	s_cbranch_vccnz .LBB31_32
; %bb.31:
	v_mov_b32_e32 v5, s5
	v_add_co_u32_e32 v4, vcc, s4, v8
	v_addc_co_u32_e32 v5, vcc, 0, v5, vcc
	v_lshlrev_b64 v[4:5], 3, v[4:5]
	v_mov_b32_e32 v6, s17
	v_add_co_u32_e32 v4, vcc, s16, v4
	v_addc_co_u32_e32 v5, vcc, v6, v5, vcc
	global_store_dwordx2 v[4:5], v[0:1], off offset:128
.LBB31_32:
	s_andn2_b64 vcc, exec, s[6:7]
	s_cbranch_vccnz .LBB31_34
; %bb.33:
	v_mov_b32_e32 v5, s5
	v_add_co_u32_e32 v4, vcc, s4, v8
	v_addc_co_u32_e32 v5, vcc, 0, v5, vcc
	v_lshlrev_b64 v[4:5], 3, v[4:5]
	v_mov_b32_e32 v6, s19
	v_add_co_u32_e32 v4, vcc, s18, v4
	v_addc_co_u32_e32 v5, vcc, v6, v5, vcc
	global_store_dwordx2 v[4:5], v[2:3], off offset:128
.LBB31_34:
	s_or_b64 exec, exec, s[10:11]
	v_cmp_gt_u32_e32 vcc, 40, v8
	s_and_b64 exec, exec, vcc
	s_cbranch_execz .LBB31_74
; %bb.35:
	s_and_saveexec_b64 s[10:11], s[0:1]
	s_cbranch_execz .LBB31_37
; %bb.36:
	v_add_u32_e32 v0, v8, v7
	v_lshl_add_u32 v2, v0, 3, 0
	ds_read_b64 v[0:1], v2 offset:192
	ds_read_b64 v[2:3], v2 offset:4352
.LBB31_37:
	s_or_b64 exec, exec, s[10:11]
	s_waitcnt lgkmcnt(1)
	ds_bpermute_b32 v4, v9, v0
	ds_bpermute_b32 v5, v9, v1
	s_waitcnt lgkmcnt(2)
	ds_bpermute_b32 v12, v9, v2
	ds_bpermute_b32 v13, v9, v3
	s_waitcnt lgkmcnt(2)
	v_add_f64 v[0:1], v[0:1], v[4:5]
	s_waitcnt lgkmcnt(0)
	v_add_f64 v[2:3], v[2:3], v[12:13]
	ds_bpermute_b32 v4, v10, v0
	ds_bpermute_b32 v5, v10, v1
	;; [unrolled: 1-line block ×4, first 2 shown]
	s_waitcnt lgkmcnt(2)
	v_add_f64 v[0:1], v[0:1], v[4:5]
	s_waitcnt lgkmcnt(0)
	v_add_f64 v[2:3], v[2:3], v[12:13]
	ds_bpermute_b32 v4, v11, v0
	ds_bpermute_b32 v5, v11, v1
	;; [unrolled: 1-line block ×4, first 2 shown]
	s_waitcnt lgkmcnt(2)
	v_add_f64 v[0:1], v[0:1], v[4:5]
	s_waitcnt lgkmcnt(0)
	v_add_f64 v[2:3], v[2:3], v[12:13]
	s_and_saveexec_b64 s[10:11], s[2:3]
	s_cbranch_execz .LBB31_42
; %bb.38:
	s_andn2_b64 vcc, exec, s[8:9]
	s_cbranch_vccnz .LBB31_40
; %bb.39:
	v_mov_b32_e32 v5, s5
	v_add_co_u32_e32 v4, vcc, s4, v8
	v_addc_co_u32_e32 v5, vcc, 0, v5, vcc
	v_lshlrev_b64 v[4:5], 3, v[4:5]
	v_mov_b32_e32 v6, s17
	v_add_co_u32_e32 v4, vcc, s16, v4
	v_addc_co_u32_e32 v5, vcc, v6, v5, vcc
	global_store_dwordx2 v[4:5], v[0:1], off offset:192
.LBB31_40:
	s_andn2_b64 vcc, exec, s[6:7]
	s_cbranch_vccnz .LBB31_42
; %bb.41:
	v_mov_b32_e32 v5, s5
	v_add_co_u32_e32 v4, vcc, s4, v8
	v_addc_co_u32_e32 v5, vcc, 0, v5, vcc
	v_lshlrev_b64 v[4:5], 3, v[4:5]
	v_mov_b32_e32 v6, s19
	v_add_co_u32_e32 v4, vcc, s18, v4
	v_addc_co_u32_e32 v5, vcc, v6, v5, vcc
	global_store_dwordx2 v[4:5], v[2:3], off offset:192
.LBB31_42:
	s_or_b64 exec, exec, s[10:11]
	v_cmp_gt_u32_e32 vcc, 32, v8
	s_and_b64 exec, exec, vcc
	s_cbranch_execz .LBB31_74
; %bb.43:
	s_and_saveexec_b64 s[10:11], s[0:1]
	s_cbranch_execz .LBB31_45
; %bb.44:
	v_add_u32_e32 v0, v8, v7
	v_lshl_add_u32 v2, v0, 3, 0
	ds_read_b64 v[0:1], v2 offset:256
	ds_read_b64 v[2:3], v2 offset:4416
.LBB31_45:
	s_or_b64 exec, exec, s[10:11]
	s_waitcnt lgkmcnt(1)
	ds_bpermute_b32 v4, v9, v0
	ds_bpermute_b32 v5, v9, v1
	s_waitcnt lgkmcnt(2)
	ds_bpermute_b32 v12, v9, v2
	ds_bpermute_b32 v13, v9, v3
	s_waitcnt lgkmcnt(2)
	v_add_f64 v[0:1], v[0:1], v[4:5]
	s_waitcnt lgkmcnt(0)
	v_add_f64 v[2:3], v[2:3], v[12:13]
	ds_bpermute_b32 v4, v10, v0
	ds_bpermute_b32 v5, v10, v1
	;; [unrolled: 1-line block ×4, first 2 shown]
	s_waitcnt lgkmcnt(2)
	v_add_f64 v[0:1], v[0:1], v[4:5]
	s_waitcnt lgkmcnt(0)
	v_add_f64 v[2:3], v[2:3], v[12:13]
	ds_bpermute_b32 v4, v11, v0
	ds_bpermute_b32 v5, v11, v1
	;; [unrolled: 1-line block ×4, first 2 shown]
	s_waitcnt lgkmcnt(2)
	v_add_f64 v[0:1], v[0:1], v[4:5]
	s_waitcnt lgkmcnt(0)
	v_add_f64 v[2:3], v[2:3], v[12:13]
	s_and_saveexec_b64 s[10:11], s[2:3]
	s_cbranch_execz .LBB31_50
; %bb.46:
	s_andn2_b64 vcc, exec, s[8:9]
	s_cbranch_vccnz .LBB31_48
; %bb.47:
	v_mov_b32_e32 v5, s5
	v_add_co_u32_e32 v4, vcc, s4, v8
	v_addc_co_u32_e32 v5, vcc, 0, v5, vcc
	v_lshlrev_b64 v[4:5], 3, v[4:5]
	v_mov_b32_e32 v6, s17
	v_add_co_u32_e32 v4, vcc, s16, v4
	v_addc_co_u32_e32 v5, vcc, v6, v5, vcc
	global_store_dwordx2 v[4:5], v[0:1], off offset:256
.LBB31_48:
	s_andn2_b64 vcc, exec, s[6:7]
	s_cbranch_vccnz .LBB31_50
; %bb.49:
	v_mov_b32_e32 v5, s5
	v_add_co_u32_e32 v4, vcc, s4, v8
	v_addc_co_u32_e32 v5, vcc, 0, v5, vcc
	v_lshlrev_b64 v[4:5], 3, v[4:5]
	v_mov_b32_e32 v6, s19
	v_add_co_u32_e32 v4, vcc, s18, v4
	v_addc_co_u32_e32 v5, vcc, v6, v5, vcc
	global_store_dwordx2 v[4:5], v[2:3], off offset:256
.LBB31_50:
	s_or_b64 exec, exec, s[10:11]
	v_cmp_gt_u32_e32 vcc, 24, v8
	s_and_b64 exec, exec, vcc
	s_cbranch_execz .LBB31_74
; %bb.51:
	s_and_saveexec_b64 s[10:11], s[0:1]
	s_cbranch_execz .LBB31_53
; %bb.52:
	v_add_u32_e32 v0, v8, v7
	v_lshl_add_u32 v2, v0, 3, 0
	ds_read_b64 v[0:1], v2 offset:320
	ds_read_b64 v[2:3], v2 offset:4480
.LBB31_53:
	s_or_b64 exec, exec, s[10:11]
	s_waitcnt lgkmcnt(1)
	ds_bpermute_b32 v4, v9, v0
	ds_bpermute_b32 v5, v9, v1
	s_waitcnt lgkmcnt(2)
	ds_bpermute_b32 v12, v9, v2
	ds_bpermute_b32 v13, v9, v3
	s_waitcnt lgkmcnt(2)
	v_add_f64 v[0:1], v[0:1], v[4:5]
	s_waitcnt lgkmcnt(0)
	v_add_f64 v[2:3], v[2:3], v[12:13]
	ds_bpermute_b32 v4, v10, v0
	ds_bpermute_b32 v5, v10, v1
	;; [unrolled: 1-line block ×4, first 2 shown]
	s_waitcnt lgkmcnt(2)
	v_add_f64 v[0:1], v[0:1], v[4:5]
	s_waitcnt lgkmcnt(0)
	v_add_f64 v[2:3], v[2:3], v[12:13]
	ds_bpermute_b32 v4, v11, v0
	ds_bpermute_b32 v5, v11, v1
	;; [unrolled: 1-line block ×4, first 2 shown]
	s_waitcnt lgkmcnt(2)
	v_add_f64 v[0:1], v[0:1], v[4:5]
	s_waitcnt lgkmcnt(0)
	v_add_f64 v[2:3], v[2:3], v[12:13]
	s_and_saveexec_b64 s[10:11], s[2:3]
	s_cbranch_execz .LBB31_58
; %bb.54:
	s_andn2_b64 vcc, exec, s[8:9]
	s_cbranch_vccnz .LBB31_56
; %bb.55:
	v_mov_b32_e32 v5, s5
	v_add_co_u32_e32 v4, vcc, s4, v8
	v_addc_co_u32_e32 v5, vcc, 0, v5, vcc
	v_lshlrev_b64 v[4:5], 3, v[4:5]
	v_mov_b32_e32 v6, s17
	v_add_co_u32_e32 v4, vcc, s16, v4
	v_addc_co_u32_e32 v5, vcc, v6, v5, vcc
	global_store_dwordx2 v[4:5], v[0:1], off offset:320
.LBB31_56:
	s_andn2_b64 vcc, exec, s[6:7]
	s_cbranch_vccnz .LBB31_58
; %bb.57:
	v_mov_b32_e32 v5, s5
	v_add_co_u32_e32 v4, vcc, s4, v8
	v_addc_co_u32_e32 v5, vcc, 0, v5, vcc
	v_lshlrev_b64 v[4:5], 3, v[4:5]
	v_mov_b32_e32 v6, s19
	v_add_co_u32_e32 v4, vcc, s18, v4
	v_addc_co_u32_e32 v5, vcc, v6, v5, vcc
	global_store_dwordx2 v[4:5], v[2:3], off offset:320
.LBB31_58:
	s_or_b64 exec, exec, s[10:11]
	v_cmp_gt_u32_e32 vcc, 16, v8
	s_and_b64 exec, exec, vcc
	s_cbranch_execz .LBB31_74
; %bb.59:
	s_and_saveexec_b64 s[10:11], s[0:1]
	s_cbranch_execz .LBB31_61
; %bb.60:
	v_add_u32_e32 v0, v8, v7
	v_lshl_add_u32 v2, v0, 3, 0
	ds_read_b64 v[0:1], v2 offset:384
	ds_read_b64 v[2:3], v2 offset:4544
.LBB31_61:
	s_or_b64 exec, exec, s[10:11]
	s_waitcnt lgkmcnt(1)
	ds_bpermute_b32 v4, v9, v0
	ds_bpermute_b32 v5, v9, v1
	s_waitcnt lgkmcnt(2)
	ds_bpermute_b32 v12, v9, v2
	ds_bpermute_b32 v13, v9, v3
	s_waitcnt lgkmcnt(2)
	v_add_f64 v[0:1], v[0:1], v[4:5]
	s_waitcnt lgkmcnt(0)
	v_add_f64 v[2:3], v[2:3], v[12:13]
	ds_bpermute_b32 v4, v10, v0
	ds_bpermute_b32 v5, v10, v1
	;; [unrolled: 1-line block ×4, first 2 shown]
	s_waitcnt lgkmcnt(2)
	v_add_f64 v[0:1], v[0:1], v[4:5]
	s_waitcnt lgkmcnt(0)
	v_add_f64 v[2:3], v[2:3], v[12:13]
	ds_bpermute_b32 v4, v11, v0
	ds_bpermute_b32 v5, v11, v1
	;; [unrolled: 1-line block ×4, first 2 shown]
	s_waitcnt lgkmcnt(2)
	v_add_f64 v[0:1], v[0:1], v[4:5]
	s_waitcnt lgkmcnt(0)
	v_add_f64 v[2:3], v[2:3], v[12:13]
	s_and_saveexec_b64 s[10:11], s[2:3]
	s_cbranch_execz .LBB31_66
; %bb.62:
	s_andn2_b64 vcc, exec, s[8:9]
	s_cbranch_vccnz .LBB31_64
; %bb.63:
	v_mov_b32_e32 v5, s5
	v_add_co_u32_e32 v4, vcc, s4, v8
	v_addc_co_u32_e32 v5, vcc, 0, v5, vcc
	v_lshlrev_b64 v[4:5], 3, v[4:5]
	v_mov_b32_e32 v6, s17
	v_add_co_u32_e32 v4, vcc, s16, v4
	v_addc_co_u32_e32 v5, vcc, v6, v5, vcc
	global_store_dwordx2 v[4:5], v[0:1], off offset:384
.LBB31_64:
	s_andn2_b64 vcc, exec, s[6:7]
	s_cbranch_vccnz .LBB31_66
; %bb.65:
	v_mov_b32_e32 v5, s5
	v_add_co_u32_e32 v4, vcc, s4, v8
	v_addc_co_u32_e32 v5, vcc, 0, v5, vcc
	v_lshlrev_b64 v[4:5], 3, v[4:5]
	v_mov_b32_e32 v6, s19
	v_add_co_u32_e32 v4, vcc, s18, v4
	v_addc_co_u32_e32 v5, vcc, v6, v5, vcc
	global_store_dwordx2 v[4:5], v[2:3], off offset:384
.LBB31_66:
	s_or_b64 exec, exec, s[10:11]
	v_cmp_gt_u32_e32 vcc, 8, v8
	s_and_b64 exec, exec, vcc
	s_cbranch_execz .LBB31_74
; %bb.67:
	s_and_saveexec_b64 s[10:11], s[0:1]
	s_cbranch_execz .LBB31_69
; %bb.68:
	v_add_u32_e32 v0, v8, v7
	v_lshl_add_u32 v2, v0, 3, 0
	ds_read_b64 v[0:1], v2 offset:448
	ds_read_b64 v[2:3], v2 offset:4608
.LBB31_69:
	s_or_b64 exec, exec, s[10:11]
	s_waitcnt lgkmcnt(1)
	ds_bpermute_b32 v4, v9, v0
	ds_bpermute_b32 v5, v9, v1
	s_waitcnt lgkmcnt(2)
	ds_bpermute_b32 v6, v9, v2
	ds_bpermute_b32 v7, v9, v3
	s_waitcnt lgkmcnt(2)
	v_add_f64 v[0:1], v[0:1], v[4:5]
	s_waitcnt lgkmcnt(0)
	v_add_f64 v[2:3], v[2:3], v[6:7]
	ds_bpermute_b32 v4, v10, v0
	ds_bpermute_b32 v5, v10, v1
	;; [unrolled: 1-line block ×4, first 2 shown]
	s_waitcnt lgkmcnt(2)
	v_add_f64 v[4:5], v[0:1], v[4:5]
	s_waitcnt lgkmcnt(0)
	v_add_f64 v[0:1], v[2:3], v[6:7]
	ds_bpermute_b32 v6, v11, v4
	ds_bpermute_b32 v7, v11, v5
	;; [unrolled: 1-line block ×4, first 2 shown]
	s_and_b64 exec, exec, s[2:3]
	s_cbranch_execz .LBB31_74
; %bb.70:
	s_andn2_b64 vcc, exec, s[8:9]
	s_cbranch_vccnz .LBB31_72
; %bb.71:
	s_waitcnt lgkmcnt(2)
	v_add_f64 v[4:5], v[4:5], v[6:7]
	v_mov_b32_e32 v7, s5
	v_add_co_u32_e32 v6, vcc, s4, v8
	v_addc_co_u32_e32 v7, vcc, 0, v7, vcc
	v_lshlrev_b64 v[6:7], 3, v[6:7]
	v_mov_b32_e32 v9, s17
	v_add_co_u32_e32 v6, vcc, s16, v6
	v_addc_co_u32_e32 v7, vcc, v9, v7, vcc
	global_store_dwordx2 v[6:7], v[4:5], off offset:448
.LBB31_72:
	s_andn2_b64 vcc, exec, s[6:7]
	s_cbranch_vccnz .LBB31_74
; %bb.73:
	s_waitcnt lgkmcnt(0)
	v_add_f64 v[0:1], v[0:1], v[2:3]
	v_mov_b32_e32 v3, s5
	v_add_co_u32_e32 v2, vcc, s4, v8
	v_addc_co_u32_e32 v3, vcc, 0, v3, vcc
	v_lshlrev_b64 v[2:3], 3, v[2:3]
	v_mov_b32_e32 v4, s19
	v_add_co_u32_e32 v2, vcc, s18, v2
	v_addc_co_u32_e32 v3, vcc, v4, v3, vcc
	global_store_dwordx2 v[2:3], v[0:1], off offset:448
.LBB31_74:
	s_endpgm
	.section	.rodata,"a",@progbits
	.p2align	6, 0x0
	.amdhsa_kernel _ZN2at6native12_GLOBAL__N_135GammaBetaBackwardCUDAKernelTemplateIddLj64ELj8ELj64ELb0ELb1ELb0EEEvllPKT_S5_PKT0_S8_PS3_S9_
		.amdhsa_group_segment_fixed_size 0
		.amdhsa_private_segment_fixed_size 0
		.amdhsa_kernarg_size 320
		.amdhsa_user_sgpr_count 6
		.amdhsa_user_sgpr_private_segment_buffer 1
		.amdhsa_user_sgpr_dispatch_ptr 0
		.amdhsa_user_sgpr_queue_ptr 0
		.amdhsa_user_sgpr_kernarg_segment_ptr 1
		.amdhsa_user_sgpr_dispatch_id 0
		.amdhsa_user_sgpr_flat_scratch_init 0
		.amdhsa_user_sgpr_private_segment_size 0
		.amdhsa_uses_dynamic_stack 0
		.amdhsa_system_sgpr_private_segment_wavefront_offset 0
		.amdhsa_system_sgpr_workgroup_id_x 1
		.amdhsa_system_sgpr_workgroup_id_y 1
		.amdhsa_system_sgpr_workgroup_id_z 0
		.amdhsa_system_sgpr_workgroup_info 0
		.amdhsa_system_vgpr_workitem_id 1
		.amdhsa_next_free_vgpr 46
		.amdhsa_next_free_sgpr 32
		.amdhsa_reserve_vcc 1
		.amdhsa_reserve_flat_scratch 0
		.amdhsa_float_round_mode_32 0
		.amdhsa_float_round_mode_16_64 0
		.amdhsa_float_denorm_mode_32 3
		.amdhsa_float_denorm_mode_16_64 3
		.amdhsa_dx10_clamp 1
		.amdhsa_ieee_mode 1
		.amdhsa_fp16_overflow 0
		.amdhsa_exception_fp_ieee_invalid_op 0
		.amdhsa_exception_fp_denorm_src 0
		.amdhsa_exception_fp_ieee_div_zero 0
		.amdhsa_exception_fp_ieee_overflow 0
		.amdhsa_exception_fp_ieee_underflow 0
		.amdhsa_exception_fp_ieee_inexact 0
		.amdhsa_exception_int_div_zero 0
	.end_amdhsa_kernel
	.section	.text._ZN2at6native12_GLOBAL__N_135GammaBetaBackwardCUDAKernelTemplateIddLj64ELj8ELj64ELb0ELb1ELb0EEEvllPKT_S5_PKT0_S8_PS3_S9_,"axG",@progbits,_ZN2at6native12_GLOBAL__N_135GammaBetaBackwardCUDAKernelTemplateIddLj64ELj8ELj64ELb0ELb1ELb0EEEvllPKT_S5_PKT0_S8_PS3_S9_,comdat
.Lfunc_end31:
	.size	_ZN2at6native12_GLOBAL__N_135GammaBetaBackwardCUDAKernelTemplateIddLj64ELj8ELj64ELb0ELb1ELb0EEEvllPKT_S5_PKT0_S8_PS3_S9_, .Lfunc_end31-_ZN2at6native12_GLOBAL__N_135GammaBetaBackwardCUDAKernelTemplateIddLj64ELj8ELj64ELb0ELb1ELb0EEEvllPKT_S5_PKT0_S8_PS3_S9_
                                        ; -- End function
	.set _ZN2at6native12_GLOBAL__N_135GammaBetaBackwardCUDAKernelTemplateIddLj64ELj8ELj64ELb0ELb1ELb0EEEvllPKT_S5_PKT0_S8_PS3_S9_.num_vgpr, 46
	.set _ZN2at6native12_GLOBAL__N_135GammaBetaBackwardCUDAKernelTemplateIddLj64ELj8ELj64ELb0ELb1ELb0EEEvllPKT_S5_PKT0_S8_PS3_S9_.num_agpr, 0
	.set _ZN2at6native12_GLOBAL__N_135GammaBetaBackwardCUDAKernelTemplateIddLj64ELj8ELj64ELb0ELb1ELb0EEEvllPKT_S5_PKT0_S8_PS3_S9_.numbered_sgpr, 32
	.set _ZN2at6native12_GLOBAL__N_135GammaBetaBackwardCUDAKernelTemplateIddLj64ELj8ELj64ELb0ELb1ELb0EEEvllPKT_S5_PKT0_S8_PS3_S9_.num_named_barrier, 0
	.set _ZN2at6native12_GLOBAL__N_135GammaBetaBackwardCUDAKernelTemplateIddLj64ELj8ELj64ELb0ELb1ELb0EEEvllPKT_S5_PKT0_S8_PS3_S9_.private_seg_size, 0
	.set _ZN2at6native12_GLOBAL__N_135GammaBetaBackwardCUDAKernelTemplateIddLj64ELj8ELj64ELb0ELb1ELb0EEEvllPKT_S5_PKT0_S8_PS3_S9_.uses_vcc, 1
	.set _ZN2at6native12_GLOBAL__N_135GammaBetaBackwardCUDAKernelTemplateIddLj64ELj8ELj64ELb0ELb1ELb0EEEvllPKT_S5_PKT0_S8_PS3_S9_.uses_flat_scratch, 0
	.set _ZN2at6native12_GLOBAL__N_135GammaBetaBackwardCUDAKernelTemplateIddLj64ELj8ELj64ELb0ELb1ELb0EEEvllPKT_S5_PKT0_S8_PS3_S9_.has_dyn_sized_stack, 0
	.set _ZN2at6native12_GLOBAL__N_135GammaBetaBackwardCUDAKernelTemplateIddLj64ELj8ELj64ELb0ELb1ELb0EEEvllPKT_S5_PKT0_S8_PS3_S9_.has_recursion, 0
	.set _ZN2at6native12_GLOBAL__N_135GammaBetaBackwardCUDAKernelTemplateIddLj64ELj8ELj64ELb0ELb1ELb0EEEvllPKT_S5_PKT0_S8_PS3_S9_.has_indirect_call, 0
	.section	.AMDGPU.csdata,"",@progbits
; Kernel info:
; codeLenInByte = 4232
; TotalNumSgprs: 36
; NumVgprs: 46
; ScratchSize: 0
; MemoryBound: 0
; FloatMode: 240
; IeeeMode: 1
; LDSByteSize: 0 bytes/workgroup (compile time only)
; SGPRBlocks: 4
; VGPRBlocks: 11
; NumSGPRsForWavesPerEU: 36
; NumVGPRsForWavesPerEU: 46
; Occupancy: 5
; WaveLimiterHint : 0
; COMPUTE_PGM_RSRC2:SCRATCH_EN: 0
; COMPUTE_PGM_RSRC2:USER_SGPR: 6
; COMPUTE_PGM_RSRC2:TRAP_HANDLER: 0
; COMPUTE_PGM_RSRC2:TGID_X_EN: 1
; COMPUTE_PGM_RSRC2:TGID_Y_EN: 1
; COMPUTE_PGM_RSRC2:TGID_Z_EN: 0
; COMPUTE_PGM_RSRC2:TIDIG_COMP_CNT: 1
	.section	.text._ZN2at6native12_GLOBAL__N_135GammaBetaBackwardCUDAKernelTemplateIddLj64ELj8ELj64ELb0ELb0ELb0EEEvllPKT_S5_PKT0_S8_PS3_S9_,"axG",@progbits,_ZN2at6native12_GLOBAL__N_135GammaBetaBackwardCUDAKernelTemplateIddLj64ELj8ELj64ELb0ELb0ELb0EEEvllPKT_S5_PKT0_S8_PS3_S9_,comdat
	.globl	_ZN2at6native12_GLOBAL__N_135GammaBetaBackwardCUDAKernelTemplateIddLj64ELj8ELj64ELb0ELb0ELb0EEEvllPKT_S5_PKT0_S8_PS3_S9_ ; -- Begin function _ZN2at6native12_GLOBAL__N_135GammaBetaBackwardCUDAKernelTemplateIddLj64ELj8ELj64ELb0ELb0ELb0EEEvllPKT_S5_PKT0_S8_PS3_S9_
	.p2align	8
	.type	_ZN2at6native12_GLOBAL__N_135GammaBetaBackwardCUDAKernelTemplateIddLj64ELj8ELj64ELb0ELb0ELb0EEEvllPKT_S5_PKT0_S8_PS3_S9_,@function
_ZN2at6native12_GLOBAL__N_135GammaBetaBackwardCUDAKernelTemplateIddLj64ELj8ELj64ELb0ELb0ELb0EEEvllPKT_S5_PKT0_S8_PS3_S9_: ; @_ZN2at6native12_GLOBAL__N_135GammaBetaBackwardCUDAKernelTemplateIddLj64ELj8ELj64ELb0ELb0ELb0EEEvllPKT_S5_PKT0_S8_PS3_S9_
; %bb.0:
	s_load_dwordx8 s[12:19], s[4:5], 0x0
	s_load_dwordx4 s[20:23], s[4:5], 0x20
	s_lshl_b32 s33, s6, 6
	s_or_b32 s0, s33, 63
	v_mov_b32_e32 v2, s0
	v_mov_b32_e32 v3, 0
	s_lshl_b32 s10, s7, 6
	s_mov_b32 s11, 0
	s_waitcnt lgkmcnt(0)
	v_cmp_le_i64_e32 vcc, s[14:15], v[2:3]
	v_mov_b32_e32 v2, s10
	v_mov_b32_e32 v3, s11
	v_cmp_gt_i64_e64 s[0:1], s[12:13], v[2:3]
	v_cndmask_b32_e64 v2, 0, 1, s[0:1]
	v_cmp_ne_u32_e64 s[0:1], 1, v2
	s_cbranch_vccz .LBB32_48
; %bb.1:
	v_mov_b32_e32 v21, 0
	v_mov_b32_e32 v19, 0
	;; [unrolled: 1-line block ×3, first 2 shown]
	s_and_b64 vcc, exec, s[0:1]
	v_mov_b32_e32 v20, 0
	s_cbranch_vccnz .LBB32_49
; %bb.2:
	v_lshlrev_b32_e32 v45, 3, v1
	v_add_co_u32_e32 v9, vcc, s10, v45
	v_addc_co_u32_e64 v10, s[2:3], 0, 0, vcc
	v_mul_lo_u32 v7, s15, v9
	v_mul_lo_u32 v8, s14, v10
	v_mad_u64_u32 v[5:6], s[2:3], s14, v9, 0
	v_mov_b32_e32 v2, 0
	s_load_dword s7, s[4:5], 0x44
	v_add_u32_e32 v3, s33, v0
	v_mov_b32_e32 v4, v2
	v_add3_u32 v6, v6, v8, v7
	v_cmp_gt_i64_e64 s[2:3], s[14:15], v[3:4]
	v_lshlrev_b64 v[23:24], 3, v[3:4]
	v_lshlrev_b64 v[3:4], 3, v[5:6]
	s_add_u32 s24, s4, 64
	v_mov_b32_e32 v7, s17
	v_add_co_u32_e32 v46, vcc, s16, v3
	s_addc_u32 s25, s5, 0
	s_waitcnt lgkmcnt(0)
	s_lshl_b32 s7, s7, 6
	v_addc_co_u32_e32 v47, vcc, v7, v4, vcc
	s_mul_i32 s8, s15, s7
	s_mul_hi_u32 s9, s14, s7
	v_add_co_u32_e32 v7, vcc, 7, v9
	s_add_i32 s9, s9, s8
	s_mul_i32 s8, s14, s7
	v_addc_co_u32_e32 v8, vcc, 0, v10, vcc
	s_lshl_b64 s[26:27], s[8:9], 3
	v_mul_lo_u32 v12, s15, v7
	v_mul_lo_u32 v13, s14, v8
	v_mad_u64_u32 v[7:8], s[8:9], s14, v7, 0
	v_mov_b32_e32 v11, s19
	v_add_co_u32_e32 v48, vcc, s18, v3
	v_add3_u32 v8, v8, v13, v12
	v_addc_co_u32_e32 v49, vcc, v11, v4, vcc
	v_lshlrev_b64 v[3:4], 3, v[7:8]
	v_mov_b32_e32 v7, s17
	v_add_co_u32_e32 v50, vcc, s16, v3
	v_addc_co_u32_e32 v51, vcc, v7, v4, vcc
	v_add_co_u32_e32 v7, vcc, 6, v9
	v_addc_co_u32_e32 v8, vcc, 0, v10, vcc
	v_mul_lo_u32 v12, s15, v7
	v_mul_lo_u32 v13, s14, v8
	v_mad_u64_u32 v[7:8], s[8:9], s14, v7, 0
	v_add_co_u32_e32 v52, vcc, s18, v3
	v_add3_u32 v8, v8, v13, v12
	v_addc_co_u32_e32 v53, vcc, v11, v4, vcc
	v_lshlrev_b64 v[3:4], 3, v[7:8]
	v_mov_b32_e32 v7, s17
	v_add_co_u32_e32 v54, vcc, s16, v3
	v_addc_co_u32_e32 v55, vcc, v7, v4, vcc
	v_add_co_u32_e32 v7, vcc, 5, v9
	v_addc_co_u32_e32 v8, vcc, 0, v10, vcc
	v_mul_lo_u32 v12, s15, v7
	v_mul_lo_u32 v13, s14, v8
	v_mad_u64_u32 v[7:8], s[8:9], s14, v7, 0
	;; [unrolled: 12-line block ×5, first 2 shown]
	v_add_co_u32_e32 v68, vcc, s18, v3
	v_add3_u32 v8, v8, v10, v9
	v_addc_co_u32_e32 v69, vcc, v11, v4, vcc
	v_lshlrev_b64 v[3:4], 3, v[7:8]
	v_mov_b32_e32 v7, s17
	v_add_co_u32_e32 v70, vcc, s16, v3
	v_addc_co_u32_e32 v71, vcc, v7, v4, vcc
	v_mov_b32_e32 v7, s19
	v_add_co_u32_e32 v72, vcc, s18, v3
	v_addc_co_u32_e32 v73, vcc, v7, v4, vcc
	;; [unrolled: 3-line block ×3, first 2 shown]
	v_lshlrev_b64 v[3:4], 3, v[3:4]
	v_mov_b32_e32 v5, s17
	v_add_co_u32_e32 v74, vcc, s16, v3
	v_addc_co_u32_e32 v75, vcc, v5, v4, vcc
	v_add_co_u32_e32 v76, vcc, s18, v3
	v_mbcnt_lo_u32_b32 v3, -1, 0
	v_mbcnt_hi_u32_b32 v3, -1, v3
	v_mov_b32_e32 v5, s19
	s_add_u32 s28, s10, 63
	v_mov_b32_e32 v19, 0
	v_lshlrev_b32_e32 v3, 2, v3
	v_mov_b32_e32 v21, 0
	v_addc_co_u32_e32 v77, vcc, v5, v4, vcc
	s_addc_u32 s29, 0, 0
	v_mov_b32_e32 v20, 0
	v_and_b32_e32 v78, 0x100, v3
	v_mov_b32_e32 v22, 0
	s_mov_b64 s[30:31], s[10:11]
	s_branch .LBB32_5
.LBB32_3:                               ;   in Loop: Header=BB32_5 Depth=1
	s_or_b64 exec, exec, s[8:9]
	s_waitcnt vmcnt(1)
	ds_bpermute_b32 v79, v78, v25
	ds_bpermute_b32 v80, v78, v26
	s_waitcnt vmcnt(0)
	ds_bpermute_b32 v81, v78, v27
	ds_bpermute_b32 v83, v78, v25 offset:8
	ds_bpermute_b32 v84, v78, v26 offset:8
	ds_bpermute_b32 v82, v78, v28
	s_waitcnt lgkmcnt(4)
	v_add_f64 v[29:30], v[29:30], -v[79:80]
	ds_bpermute_b32 v79, v78, v25 offset:4
	ds_bpermute_b32 v80, v78, v26 offset:4
	s_waitcnt lgkmcnt(3)
	v_add_f64 v[33:34], v[33:34], -v[83:84]
	s_waitcnt lgkmcnt(0)
	v_add_f64 v[37:38], v[37:38], -v[79:80]
	v_mul_f64 v[29:30], v[3:4], v[29:30]
	v_add_f64 v[3:4], v[21:22], v[3:4]
	ds_bpermute_b32 v21, v78, v25 offset:12
	ds_bpermute_b32 v22, v78, v26 offset:12
	;; [unrolled: 1-line block ×4, first 2 shown]
	v_mul_f64 v[37:38], v[5:6], v[37:38]
	v_fma_f64 v[19:20], v[29:30], v[81:82], v[19:20]
	ds_bpermute_b32 v29, v78, v27 offset:4
	ds_bpermute_b32 v30, v78, v28 offset:4
	s_waitcnt lgkmcnt(4)
	v_add_f64 v[21:22], v[39:40], -v[21:22]
	v_add_f64 v[3:4], v[5:6], v[3:4]
	v_mul_f64 v[5:6], v[7:8], v[33:34]
	s_waitcnt lgkmcnt(2)
	v_add_f64 v[35:36], v[35:36], -v[79:80]
	ds_bpermute_b32 v33, v78, v25 offset:20
	s_waitcnt lgkmcnt(1)
	v_fma_f64 v[19:20], v[37:38], v[29:30], v[19:20]
	ds_bpermute_b32 v29, v78, v27 offset:8
	ds_bpermute_b32 v30, v78, v28 offset:8
	v_mul_f64 v[21:22], v[9:10], v[21:22]
	v_add_f64 v[3:4], v[7:8], v[3:4]
	ds_bpermute_b32 v34, v78, v26 offset:20
	ds_bpermute_b32 v7, v78, v27 offset:12
	;; [unrolled: 1-line block ×3, first 2 shown]
	s_waitcnt lgkmcnt(3)
	v_fma_f64 v[5:6], v[5:6], v[29:30], v[19:20]
	ds_bpermute_b32 v19, v78, v25 offset:24
	s_waitcnt lgkmcnt(3)
	v_add_f64 v[29:30], v[43:44], -v[33:34]
	v_mul_f64 v[33:34], v[11:12], v[35:36]
	v_add_f64 v[3:4], v[9:10], v[3:4]
	ds_bpermute_b32 v20, v78, v26 offset:24
	s_waitcnt lgkmcnt(2)
	v_fma_f64 v[5:6], v[21:22], v[7:8], v[5:6]
	ds_bpermute_b32 v7, v78, v27 offset:16
	ds_bpermute_b32 v8, v78, v28 offset:16
	s_waitcnt lgkmcnt(2)
	v_add_f64 v[9:10], v[41:42], -v[19:20]
	v_mul_f64 v[19:20], v[13:14], v[29:30]
	v_add_f64 v[3:4], v[11:12], v[3:4]
	ds_bpermute_b32 v11, v78, v27 offset:24
	ds_bpermute_b32 v12, v78, v28 offset:24
	s_waitcnt lgkmcnt(2)
	v_fma_f64 v[5:6], v[33:34], v[7:8], v[5:6]
	ds_bpermute_b32 v7, v78, v27 offset:20
	ds_bpermute_b32 v8, v78, v28 offset:20
	v_mul_f64 v[9:10], v[15:16], v[9:10]
	ds_bpermute_b32 v27, v78, v27 offset:28
	v_add_f64 v[3:4], v[13:14], v[3:4]
	ds_bpermute_b32 v28, v78, v28 offset:28
	s_waitcnt lgkmcnt(2)
	v_fma_f64 v[7:8], v[19:20], v[7:8], v[5:6]
	v_add_f64 v[5:6], v[15:16], v[3:4]
	v_fma_f64 v[3:4], v[9:10], v[11:12], v[7:8]
	ds_bpermute_b32 v7, v78, v25 offset:28
	ds_bpermute_b32 v8, v78, v26 offset:28
.LBB32_4:                               ;   in Loop: Header=BB32_5 Depth=1
	v_mov_b32_e32 v9, s27
	v_add_co_u32_e32 v46, vcc, s26, v46
	v_addc_co_u32_e32 v47, vcc, v47, v9, vcc
	v_add_co_u32_e32 v48, vcc, s26, v48
	v_addc_co_u32_e32 v49, vcc, v49, v9, vcc
	;; [unrolled: 2-line block ×5, first 2 shown]
	v_add_co_u32_e32 v56, vcc, s26, v56
	s_waitcnt lgkmcnt(0)
	v_add_f64 v[7:8], v[31:32], -v[7:8]
	v_addc_co_u32_e32 v57, vcc, v57, v9, vcc
	v_add_co_u32_e32 v58, vcc, s26, v58
	v_addc_co_u32_e32 v59, vcc, v59, v9, vcc
	v_add_co_u32_e32 v60, vcc, s26, v60
	;; [unrolled: 2-line block ×4, first 2 shown]
	v_add_f64 v[21:22], v[5:6], v[17:18]
	v_mul_f64 v[5:6], v[17:18], v[7:8]
	v_addc_co_u32_e32 v65, vcc, v65, v9, vcc
	v_add_co_u32_e32 v66, vcc, s26, v66
	v_addc_co_u32_e32 v67, vcc, v67, v9, vcc
	v_add_co_u32_e32 v68, vcc, s26, v68
	;; [unrolled: 2-line block ×4, first 2 shown]
	v_fma_f64 v[19:20], v[5:6], v[27:28], v[3:4]
	v_addc_co_u32_e32 v73, vcc, v73, v9, vcc
	v_add_co_u32_e32 v74, vcc, s26, v74
	v_addc_co_u32_e32 v75, vcc, v75, v9, vcc
	s_add_u32 s30, s30, s7
	v_add_co_u32_e32 v76, vcc, s26, v76
	v_mov_b32_e32 v3, s12
	s_addc_u32 s31, s31, 0
	v_addc_co_u32_e32 v77, vcc, v77, v9, vcc
	v_mov_b32_e32 v4, s13
	v_cmp_lt_i64_e32 vcc, s[30:31], v[3:4]
	s_add_u32 s28, s28, s7
	s_addc_u32 s29, s29, 0
	s_cbranch_vccz .LBB32_49
.LBB32_5:                               ; =>This Inner Loop Header: Depth=1
	v_mov_b32_e32 v3, s12
	v_mov_b32_e32 v4, s13
	v_cmp_ge_i64_e32 vcc, s[28:29], v[3:4]
	v_mov_b32_e32 v3, s29
	v_add_co_u32_e64 v79, s[8:9], s28, v45
	v_addc_co_u32_e64 v80, s[8:9], 0, v3, s[8:9]
	s_mov_b64 s[8:9], -1
	s_and_b64 vcc, exec, vcc
                                        ; implicit-def: $vgpr3_vgpr4_vgpr5_vgpr6_vgpr7_vgpr8_vgpr9_vgpr10_vgpr11_vgpr12_vgpr13_vgpr14_vgpr15_vgpr16_vgpr17_vgpr18
                                        ; implicit-def: $vgpr27_vgpr28
                                        ; implicit-def: $vgpr31_vgpr32
                                        ; implicit-def: $vgpr7
                                        ; implicit-def: $vgpr5_vgpr6
                                        ; implicit-def: $vgpr3_vgpr4
	s_cbranch_vccz .LBB32_27
; %bb.6:                                ;   in Loop: Header=BB32_5 Depth=1
	s_load_dword s8, s[24:25], 0xc
	v_mov_b32_e32 v29, 0
	v_mov_b32_e32 v27, 0
	;; [unrolled: 1-line block ×4, first 2 shown]
	s_waitcnt lgkmcnt(0)
	s_and_b32 s8, s8, 0xffff
	v_mad_u32_u24 v3, v1, s8, v0
	v_and_b32_e32 v3, 63, v3
	v_mov_b32_e32 v28, 0
	v_mov_b32_e32 v26, 0
	v_cmp_gt_u32_e32 vcc, 8, v3
	s_and_saveexec_b64 s[8:9], vcc
	s_cbranch_execz .LBB32_10
; %bb.7:                                ;   in Loop: Header=BB32_5 Depth=1
	v_add_co_u32_e32 v3, vcc, v79, v3
	v_addc_co_u32_e32 v4, vcc, 0, v80, vcc
	v_add_co_u32_e32 v3, vcc, 0xffffffc1, v3
	v_addc_co_u32_e32 v4, vcc, -1, v4, vcc
	v_cmp_gt_i64_e32 vcc, s[12:13], v[3:4]
	v_mov_b32_e32 v25, 0
	v_mov_b32_e32 v27, 0
	v_mov_b32_e32 v26, 0
	v_mov_b32_e32 v28, 0
	s_and_saveexec_b64 s[34:35], vcc
	s_cbranch_execz .LBB32_9
; %bb.8:                                ;   in Loop: Header=BB32_5 Depth=1
	v_lshlrev_b64 v[3:4], 3, v[3:4]
	v_mov_b32_e32 v6, s23
	v_add_co_u32_e32 v5, vcc, s22, v3
	v_addc_co_u32_e32 v6, vcc, v6, v4, vcc
	v_mov_b32_e32 v7, s21
	v_add_co_u32_e32 v3, vcc, s20, v3
	v_addc_co_u32_e32 v4, vcc, v7, v4, vcc
	global_load_dwordx2 v[25:26], v[3:4], off
	global_load_dwordx2 v[27:28], v[5:6], off
.LBB32_9:                               ;   in Loop: Header=BB32_5 Depth=1
	s_or_b64 exec, exec, s[34:35]
.LBB32_10:                              ;   in Loop: Header=BB32_5 Depth=1
	s_or_b64 exec, exec, s[8:9]
	v_add_co_u32_e32 v3, vcc, 0xffffffc1, v79
	v_addc_co_u32_e32 v4, vcc, -1, v80, vcc
	v_cmp_gt_i64_e32 vcc, s[12:13], v[3:4]
	v_mov_b32_e32 v3, v2
	v_mov_b32_e32 v4, v2
	v_mov_b32_e32 v5, v2
	v_mov_b32_e32 v6, v2
	v_mov_b32_e32 v7, v2
	v_mov_b32_e32 v8, v2
	v_mov_b32_e32 v9, v2
	v_mov_b32_e32 v10, v2
	v_mov_b32_e32 v11, v2
	v_mov_b32_e32 v12, v2
	v_mov_b32_e32 v13, v2
	v_mov_b32_e32 v14, v2
	v_mov_b32_e32 v15, v2
	v_mov_b32_e32 v16, v2
	v_mov_b32_e32 v17, v2
	v_mov_b32_e32 v18, v17
	v_mov_b32_e32 v17, v16
	v_mov_b32_e32 v16, v15
	v_mov_b32_e32 v15, v14
	v_mov_b32_e32 v14, v13
	v_mov_b32_e32 v13, v12
	v_mov_b32_e32 v12, v11
	v_mov_b32_e32 v11, v10
	v_mov_b32_e32 v10, v9
	v_mov_b32_e32 v9, v8
	v_mov_b32_e32 v8, v7
	v_mov_b32_e32 v7, v6
	v_mov_b32_e32 v6, v5
	v_mov_b32_e32 v5, v4
	v_mov_b32_e32 v4, v3
	v_mov_b32_e32 v3, v2
	s_and_b64 s[34:35], s[2:3], vcc
	s_and_saveexec_b64 s[8:9], s[34:35]
	s_cbranch_execz .LBB32_12
; %bb.11:                               ;   in Loop: Header=BB32_5 Depth=1
	v_add_co_u32_e32 v3, vcc, v46, v23
	v_addc_co_u32_e32 v4, vcc, v47, v24, vcc
	v_add_co_u32_e32 v5, vcc, v48, v23
	v_addc_co_u32_e32 v6, vcc, v49, v24, vcc
	global_load_dwordx2 v[3:4], v[3:4], off
	v_mov_b32_e32 v7, v2
	global_load_dwordx2 v[29:30], v[5:6], off
	v_mov_b32_e32 v5, v2
	v_mov_b32_e32 v6, v2
	;; [unrolled: 1-line block ×13, first 2 shown]
.LBB32_12:                              ;   in Loop: Header=BB32_5 Depth=1
	s_or_b64 exec, exec, s[8:9]
	v_add_co_u32_e32 v31, vcc, 0xffffffc2, v79
	v_addc_co_u32_e32 v32, vcc, -1, v80, vcc
	v_cmp_gt_i64_e32 vcc, s[12:13], v[31:32]
	v_mov_b32_e32 v33, 0
	v_mov_b32_e32 v35, 0
	v_mov_b32_e32 v34, 0
	v_mov_b32_e32 v36, 0
	s_and_b64 s[34:35], s[2:3], vcc
	s_and_saveexec_b64 s[8:9], s[34:35]
	s_cbranch_execz .LBB32_14
; %bb.13:                               ;   in Loop: Header=BB32_5 Depth=1
	v_add_co_u32_e32 v5, vcc, v74, v23
	v_addc_co_u32_e32 v6, vcc, v75, v24, vcc
	v_add_co_u32_e32 v31, vcc, v76, v23
	v_addc_co_u32_e32 v32, vcc, v77, v24, vcc
	global_load_dwordx2 v[5:6], v[5:6], off
	s_nop 0
	global_load_dwordx2 v[35:36], v[31:32], off
.LBB32_14:                              ;   in Loop: Header=BB32_5 Depth=1
	s_or_b64 exec, exec, s[8:9]
	v_add_co_u32_e32 v31, vcc, 0xffffffc3, v79
	v_addc_co_u32_e32 v32, vcc, -1, v80, vcc
	v_cmp_gt_i64_e32 vcc, s[12:13], v[31:32]
	s_and_b64 s[34:35], s[2:3], vcc
	s_and_saveexec_b64 s[8:9], s[34:35]
	s_cbranch_execz .LBB32_16
; %bb.15:                               ;   in Loop: Header=BB32_5 Depth=1
	v_add_co_u32_e32 v7, vcc, v70, v23
	v_addc_co_u32_e32 v8, vcc, v71, v24, vcc
	v_add_co_u32_e32 v31, vcc, v72, v23
	v_addc_co_u32_e32 v32, vcc, v73, v24, vcc
	global_load_dwordx2 v[7:8], v[7:8], off
	s_nop 0
	global_load_dwordx2 v[33:34], v[31:32], off
.LBB32_16:                              ;   in Loop: Header=BB32_5 Depth=1
	s_or_b64 exec, exec, s[8:9]
	v_add_co_u32_e32 v31, vcc, 0xffffffc4, v79
	v_addc_co_u32_e32 v32, vcc, -1, v80, vcc
	v_cmp_gt_i64_e32 vcc, s[12:13], v[31:32]
	v_mov_b32_e32 v37, 0
	v_mov_b32_e32 v39, 0
	v_mov_b32_e32 v38, 0
	v_mov_b32_e32 v40, 0
	s_and_b64 s[34:35], s[2:3], vcc
	s_and_saveexec_b64 s[8:9], s[34:35]
	s_cbranch_execz .LBB32_18
; %bb.17:                               ;   in Loop: Header=BB32_5 Depth=1
	v_add_co_u32_e32 v9, vcc, v66, v23
	v_addc_co_u32_e32 v10, vcc, v67, v24, vcc
	v_add_co_u32_e32 v31, vcc, v68, v23
	v_addc_co_u32_e32 v32, vcc, v69, v24, vcc
	global_load_dwordx2 v[9:10], v[9:10], off
	s_nop 0
	global_load_dwordx2 v[39:40], v[31:32], off
.LBB32_18:                              ;   in Loop: Header=BB32_5 Depth=1
	s_or_b64 exec, exec, s[8:9]
	v_add_co_u32_e32 v31, vcc, 0xffffffc5, v79
	v_addc_co_u32_e32 v32, vcc, -1, v80, vcc
	v_cmp_gt_i64_e32 vcc, s[12:13], v[31:32]
	s_and_b64 s[34:35], s[2:3], vcc
	s_and_saveexec_b64 s[8:9], s[34:35]
	s_cbranch_execz .LBB32_20
; %bb.19:                               ;   in Loop: Header=BB32_5 Depth=1
	v_add_co_u32_e32 v11, vcc, v62, v23
	v_addc_co_u32_e32 v12, vcc, v63, v24, vcc
	v_add_co_u32_e32 v31, vcc, v64, v23
	v_addc_co_u32_e32 v32, vcc, v65, v24, vcc
	global_load_dwordx2 v[11:12], v[11:12], off
	s_nop 0
	global_load_dwordx2 v[37:38], v[31:32], off
.LBB32_20:                              ;   in Loop: Header=BB32_5 Depth=1
	;; [unrolled: 36-line block ×3, first 2 shown]
	s_or_b64 exec, exec, s[8:9]
	v_add_co_u32_e32 v31, vcc, 0xffffffc8, v79
	v_addc_co_u32_e32 v32, vcc, -1, v80, vcc
	v_cmp_gt_i64_e32 vcc, s[12:13], v[31:32]
	v_mov_b32_e32 v31, 0
	v_mov_b32_e32 v32, 0
	s_and_b64 s[34:35], s[2:3], vcc
	s_and_saveexec_b64 s[8:9], s[34:35]
	s_cbranch_execz .LBB32_26
; %bb.25:                               ;   in Loop: Header=BB32_5 Depth=1
	v_add_co_u32_e32 v17, vcc, v50, v23
	v_addc_co_u32_e32 v18, vcc, v51, v24, vcc
	v_add_co_u32_e32 v31, vcc, v52, v23
	v_addc_co_u32_e32 v32, vcc, v53, v24, vcc
	global_load_dwordx2 v[17:18], v[17:18], off
	s_nop 0
	global_load_dwordx2 v[31:32], v[31:32], off
.LBB32_26:                              ;   in Loop: Header=BB32_5 Depth=1
	s_or_b64 exec, exec, s[8:9]
	s_waitcnt vmcnt(1)
	ds_bpermute_b32 v81, v78, v25
	ds_bpermute_b32 v82, v78, v26
	s_waitcnt vmcnt(0)
	ds_bpermute_b32 v83, v78, v27
	ds_bpermute_b32 v85, v78, v25 offset:8
	ds_bpermute_b32 v86, v78, v26 offset:8
	ds_bpermute_b32 v84, v78, v28
	s_waitcnt lgkmcnt(4)
	v_add_f64 v[29:30], v[29:30], -v[81:82]
	ds_bpermute_b32 v81, v78, v25 offset:4
	ds_bpermute_b32 v82, v78, v26 offset:4
	s_waitcnt lgkmcnt(3)
	v_add_f64 v[33:34], v[33:34], -v[85:86]
	ds_bpermute_b32 v85, v78, v25 offset:16
	ds_bpermute_b32 v86, v78, v26 offset:16
	s_mov_b64 s[8:9], 0
	s_waitcnt lgkmcnt(2)
	v_add_f64 v[35:36], v[35:36], -v[81:82]
	v_mul_f64 v[29:30], v[3:4], v[29:30]
	v_add_f64 v[3:4], v[21:22], v[3:4]
	ds_bpermute_b32 v81, v78, v25 offset:12
	ds_bpermute_b32 v82, v78, v26 offset:12
	s_waitcnt lgkmcnt(2)
	v_add_f64 v[37:38], v[37:38], -v[85:86]
	v_mul_f64 v[35:36], v[5:6], v[35:36]
	v_fma_f64 v[29:30], v[29:30], v[83:84], v[19:20]
	ds_bpermute_b32 v83, v78, v27 offset:4
	ds_bpermute_b32 v84, v78, v28 offset:4
	s_waitcnt lgkmcnt(2)
	v_add_f64 v[39:40], v[39:40], -v[81:82]
	v_add_f64 v[3:4], v[5:6], v[3:4]
	v_mul_f64 v[5:6], v[7:8], v[33:34]
	ds_bpermute_b32 v33, v78, v27 offset:8
	ds_bpermute_b32 v34, v78, v28 offset:8
	s_waitcnt lgkmcnt(2)
	v_fma_f64 v[29:30], v[35:36], v[83:84], v[29:30]
	ds_bpermute_b32 v35, v78, v25 offset:20
	ds_bpermute_b32 v36, v78, v26 offset:20
	v_mul_f64 v[39:40], v[9:10], v[39:40]
	v_add_f64 v[3:4], v[7:8], v[3:4]
	ds_bpermute_b32 v7, v78, v27 offset:12
	ds_bpermute_b32 v8, v78, v28 offset:12
	s_waitcnt lgkmcnt(4)
	v_fma_f64 v[5:6], v[5:6], v[33:34], v[29:30]
	s_waitcnt lgkmcnt(2)
	v_add_f64 v[33:34], v[43:44], -v[35:36]
	v_mul_f64 v[35:36], v[11:12], v[37:38]
	ds_bpermute_b32 v29, v78, v25 offset:24
	v_add_f64 v[3:4], v[9:10], v[3:4]
	ds_bpermute_b32 v30, v78, v26 offset:24
	s_waitcnt lgkmcnt(2)
	v_fma_f64 v[5:6], v[39:40], v[7:8], v[5:6]
	ds_bpermute_b32 v7, v78, v27 offset:16
	ds_bpermute_b32 v8, v78, v28 offset:16
	s_waitcnt lgkmcnt(2)
	v_add_f64 v[9:10], v[41:42], -v[29:30]
	v_mul_f64 v[29:30], v[13:14], v[33:34]
	v_add_f64 v[3:4], v[11:12], v[3:4]
	ds_bpermute_b32 v11, v78, v27 offset:24
	ds_bpermute_b32 v12, v78, v28 offset:24
	s_waitcnt lgkmcnt(2)
	v_fma_f64 v[5:6], v[35:36], v[7:8], v[5:6]
	ds_bpermute_b32 v7, v78, v27 offset:20
	ds_bpermute_b32 v8, v78, v28 offset:20
	v_mul_f64 v[9:10], v[15:16], v[9:10]
	ds_bpermute_b32 v27, v78, v27 offset:28
	v_add_f64 v[3:4], v[13:14], v[3:4]
	ds_bpermute_b32 v28, v78, v28 offset:28
	s_waitcnt lgkmcnt(2)
	v_fma_f64 v[7:8], v[29:30], v[7:8], v[5:6]
	v_add_f64 v[5:6], v[15:16], v[3:4]
	v_fma_f64 v[3:4], v[9:10], v[11:12], v[7:8]
	ds_bpermute_b32 v7, v78, v25 offset:28
	ds_bpermute_b32 v8, v78, v26 offset:28
.LBB32_27:                              ;   in Loop: Header=BB32_5 Depth=1
	s_and_b64 vcc, exec, s[8:9]
	s_cbranch_vccz .LBB32_4
; %bb.28:                               ;   in Loop: Header=BB32_5 Depth=1
	s_load_dword s8, s[24:25], 0x0
	v_mov_b32_e32 v29, 0
	s_waitcnt lgkmcnt(0)
	v_mov_b32_e32 v27, 0
	v_mov_b32_e32 v25, 0
	;; [unrolled: 1-line block ×3, first 2 shown]
	s_cmp_lt_u32 s6, s8
	s_cselect_b32 s8, 12, 18
	s_add_u32 s8, s24, s8
	s_addc_u32 s9, s25, 0
	global_load_ushort v3, v2, s[8:9]
	v_mov_b32_e32 v28, 0
	v_mov_b32_e32 v26, 0
	s_waitcnt vmcnt(0)
	v_mad_u32_u24 v3, v1, v3, v0
	v_and_b32_e32 v3, 63, v3
	v_cmp_gt_u32_e32 vcc, 8, v3
	s_and_saveexec_b64 s[8:9], vcc
	s_cbranch_execz .LBB32_32
; %bb.29:                               ;   in Loop: Header=BB32_5 Depth=1
	v_add_co_u32_e32 v3, vcc, v79, v3
	v_addc_co_u32_e32 v4, vcc, 0, v80, vcc
	v_add_co_u32_e32 v3, vcc, 0xffffffc1, v3
	v_addc_co_u32_e32 v4, vcc, -1, v4, vcc
	v_cmp_gt_i64_e32 vcc, s[12:13], v[3:4]
	v_mov_b32_e32 v25, 0
	v_mov_b32_e32 v27, 0
	;; [unrolled: 1-line block ×4, first 2 shown]
	s_and_saveexec_b64 s[34:35], vcc
	s_cbranch_execz .LBB32_31
; %bb.30:                               ;   in Loop: Header=BB32_5 Depth=1
	v_lshlrev_b64 v[3:4], 3, v[3:4]
	v_mov_b32_e32 v6, s23
	v_add_co_u32_e32 v5, vcc, s22, v3
	v_addc_co_u32_e32 v6, vcc, v6, v4, vcc
	v_mov_b32_e32 v7, s21
	v_add_co_u32_e32 v3, vcc, s20, v3
	v_addc_co_u32_e32 v4, vcc, v7, v4, vcc
	global_load_dwordx2 v[25:26], v[3:4], off
	global_load_dwordx2 v[27:28], v[5:6], off
.LBB32_31:                              ;   in Loop: Header=BB32_5 Depth=1
	s_or_b64 exec, exec, s[34:35]
.LBB32_32:                              ;   in Loop: Header=BB32_5 Depth=1
	s_or_b64 exec, exec, s[8:9]
	v_mov_b32_e32 v3, v2
	v_mov_b32_e32 v4, v2
	;; [unrolled: 1-line block ×31, first 2 shown]
	s_and_saveexec_b64 s[8:9], s[2:3]
	s_cbranch_execz .LBB32_34
; %bb.33:                               ;   in Loop: Header=BB32_5 Depth=1
	v_add_co_u32_e32 v3, vcc, v46, v23
	v_addc_co_u32_e32 v4, vcc, v47, v24, vcc
	v_add_co_u32_e32 v5, vcc, v48, v23
	v_addc_co_u32_e32 v6, vcc, v49, v24, vcc
	global_load_dwordx2 v[3:4], v[3:4], off
	v_mov_b32_e32 v7, v2
	global_load_dwordx2 v[29:30], v[5:6], off
	v_mov_b32_e32 v5, v2
	v_mov_b32_e32 v6, v2
	;; [unrolled: 1-line block ×13, first 2 shown]
.LBB32_34:                              ;   in Loop: Header=BB32_5 Depth=1
	s_or_b64 exec, exec, s[8:9]
	v_mov_b32_e32 v33, 0
	v_mov_b32_e32 v37, 0
	v_mov_b32_e32 v34, 0
	v_mov_b32_e32 v38, 0
	s_and_saveexec_b64 s[8:9], s[2:3]
	s_cbranch_execz .LBB32_36
; %bb.35:                               ;   in Loop: Header=BB32_5 Depth=1
	v_add_co_u32_e32 v5, vcc, v74, v23
	v_addc_co_u32_e32 v6, vcc, v75, v24, vcc
	v_add_co_u32_e32 v31, vcc, v76, v23
	v_addc_co_u32_e32 v32, vcc, v77, v24, vcc
	global_load_dwordx2 v[5:6], v[5:6], off
	s_nop 0
	global_load_dwordx2 v[37:38], v[31:32], off
.LBB32_36:                              ;   in Loop: Header=BB32_5 Depth=1
	s_or_b64 exec, exec, s[8:9]
	s_and_saveexec_b64 s[8:9], s[2:3]
	s_cbranch_execz .LBB32_38
; %bb.37:                               ;   in Loop: Header=BB32_5 Depth=1
	v_add_co_u32_e32 v7, vcc, v70, v23
	v_addc_co_u32_e32 v8, vcc, v71, v24, vcc
	v_add_co_u32_e32 v31, vcc, v72, v23
	v_addc_co_u32_e32 v32, vcc, v73, v24, vcc
	global_load_dwordx2 v[7:8], v[7:8], off
	s_nop 0
	global_load_dwordx2 v[33:34], v[31:32], off
.LBB32_38:                              ;   in Loop: Header=BB32_5 Depth=1
	s_or_b64 exec, exec, s[8:9]
	v_mov_b32_e32 v35, 0
	v_mov_b32_e32 v39, 0
	v_mov_b32_e32 v36, 0
	v_mov_b32_e32 v40, 0
	s_and_saveexec_b64 s[8:9], s[2:3]
	s_cbranch_execz .LBB32_40
; %bb.39:                               ;   in Loop: Header=BB32_5 Depth=1
	v_add_co_u32_e32 v9, vcc, v66, v23
	v_addc_co_u32_e32 v10, vcc, v67, v24, vcc
	v_add_co_u32_e32 v31, vcc, v68, v23
	v_addc_co_u32_e32 v32, vcc, v69, v24, vcc
	global_load_dwordx2 v[9:10], v[9:10], off
	s_nop 0
	global_load_dwordx2 v[39:40], v[31:32], off
.LBB32_40:                              ;   in Loop: Header=BB32_5 Depth=1
	s_or_b64 exec, exec, s[8:9]
	s_and_saveexec_b64 s[8:9], s[2:3]
	s_cbranch_execz .LBB32_42
; %bb.41:                               ;   in Loop: Header=BB32_5 Depth=1
	v_add_co_u32_e32 v11, vcc, v62, v23
	v_addc_co_u32_e32 v12, vcc, v63, v24, vcc
	v_add_co_u32_e32 v31, vcc, v64, v23
	v_addc_co_u32_e32 v32, vcc, v65, v24, vcc
	global_load_dwordx2 v[11:12], v[11:12], off
	s_nop 0
	global_load_dwordx2 v[35:36], v[31:32], off
.LBB32_42:                              ;   in Loop: Header=BB32_5 Depth=1
	;; [unrolled: 28-line block ×3, first 2 shown]
	s_or_b64 exec, exec, s[8:9]
	v_mov_b32_e32 v31, 0
	v_mov_b32_e32 v32, 0
	s_and_saveexec_b64 s[8:9], s[2:3]
	s_cbranch_execz .LBB32_3
; %bb.47:                               ;   in Loop: Header=BB32_5 Depth=1
	v_add_co_u32_e32 v17, vcc, v50, v23
	v_addc_co_u32_e32 v18, vcc, v51, v24, vcc
	v_add_co_u32_e32 v31, vcc, v52, v23
	v_addc_co_u32_e32 v32, vcc, v53, v24, vcc
	global_load_dwordx2 v[17:18], v[17:18], off
	s_nop 0
	global_load_dwordx2 v[31:32], v[31:32], off
	s_branch .LBB32_3
.LBB32_48:
                                        ; implicit-def: $vgpr21_vgpr22
                                        ; implicit-def: $vgpr19_vgpr20
	s_branch .LBB32_50
.LBB32_49:
	s_cbranch_execnz .LBB32_81
.LBB32_50:
	v_mov_b32_e32 v21, 0
	v_mov_b32_e32 v19, 0
	v_mov_b32_e32 v22, 0
	s_and_b64 vcc, exec, s[0:1]
	v_mov_b32_e32 v20, 0
	s_cbranch_vccnz .LBB32_81
; %bb.51:
	v_lshlrev_b32_e32 v73, 3, v1
	v_add_co_u32_e32 v6, vcc, s10, v73
	v_addc_co_u32_e64 v7, s[0:1], 0, 0, vcc
	s_load_dword s7, s[4:5], 0x44
	v_mul_lo_u32 v2, s15, v6
	v_mul_lo_u32 v3, s14, v7
	v_mad_u64_u32 v[4:5], s[0:1], s14, v6, 0
	s_add_u32 s2, s4, 64
	s_addc_u32 s3, s5, 0
	v_add3_u32 v5, v5, v3, v2
	s_waitcnt lgkmcnt(0)
	s_lshl_b32 s7, s7, 6
	v_lshlrev_b64 v[2:3], 3, v[4:5]
	s_mul_i32 s0, s15, s7
	s_mul_hi_u32 s1, s14, s7
	v_mov_b32_e32 v8, s17
	v_add_co_u32_e32 v74, vcc, s16, v2
	s_add_i32 s1, s1, s0
	s_mul_i32 s0, s14, s7
	v_addc_co_u32_e32 v75, vcc, v8, v3, vcc
	s_lshl_b64 s[8:9], s[0:1], 3
	v_mov_b32_e32 v8, s19
	v_add_co_u32_e32 v76, vcc, s18, v2
	s_add_u32 s24, s10, 63
	v_addc_co_u32_e32 v77, vcc, v8, v3, vcc
	s_addc_u32 s25, 0, 0
	v_lshlrev_b32_e32 v2, 6, v1
	s_lshl_b64 s[0:1], s[10:11], 3
	v_mov_b32_e32 v3, s1
	v_add_co_u32_e32 v8, vcc, s0, v2
	v_addc_co_u32_e32 v9, vcc, 0, v3, vcc
	v_add_co_u32_e32 v12, vcc, 8, v8
	v_addc_co_u32_e32 v10, vcc, 0, v9, vcc
	v_mov_b32_e32 v2, s16
	v_mul_lo_u32 v14, s14, v10
	v_mov_b32_e32 v10, s18
	v_mov_b32_e32 v3, s17
	;; [unrolled: 1-line block ×3, first 2 shown]
	v_mad_u64_u32 v[23:24], s[0:1], s14, v12, v[2:3]
	v_mul_lo_u32 v15, s15, v12
	v_mad_u64_u32 v[25:26], s[0:1], s14, v12, v[10:11]
	v_add_co_u32_e32 v12, vcc, 16, v8
	v_addc_co_u32_e32 v16, vcc, 0, v9, vcc
	v_mov_b32_e32 v13, s15
	v_add_co_u32_e32 v4, vcc, s14, v4
	v_addc_co_u32_e32 v5, vcc, v5, v13, vcc
	v_mul_lo_u32 v17, s15, v12
	v_mad_u64_u32 v[27:28], s[0:1], s14, v12, v[2:3]
	v_mad_u64_u32 v[29:30], s[0:1], s14, v12, v[10:11]
	v_add_co_u32_e32 v12, vcc, 24, v8
	v_addc_co_u32_e32 v13, vcc, 0, v9, vcc
	v_add3_u32 v24, v15, v24, v14
	v_add3_u32 v26, v15, v26, v14
	v_mul_lo_u32 v13, s14, v13
	v_mul_lo_u32 v14, s15, v12
	v_mad_u64_u32 v[31:32], s[0:1], s14, v12, v[2:3]
	v_mad_u64_u32 v[33:34], s[0:1], s14, v12, v[10:11]
	v_add_co_u32_e32 v12, vcc, 32, v8
	v_mul_lo_u32 v16, s14, v16
	v_addc_co_u32_e32 v15, vcc, 0, v9, vcc
	v_mul_lo_u32 v18, s15, v12
	v_mad_u64_u32 v[35:36], s[0:1], s14, v12, v[2:3]
	v_mad_u64_u32 v[37:38], s[0:1], s14, v12, v[10:11]
	v_add_co_u32_e32 v12, vcc, 40, v8
	v_add3_u32 v32, v14, v32, v13
	v_add3_u32 v34, v14, v34, v13
	v_addc_co_u32_e32 v13, vcc, 0, v9, vcc
	v_mul_lo_u32 v14, s15, v12
	v_mad_u64_u32 v[39:40], s[0:1], s14, v12, v[2:3]
	v_mad_u64_u32 v[41:42], s[0:1], s14, v12, v[10:11]
	v_add_co_u32_e32 v12, vcc, 48, v8
	v_add3_u32 v28, v17, v28, v16
	v_add3_u32 v30, v17, v30, v16
	v_addc_co_u32_e32 v16, vcc, 0, v9, vcc
	v_add_co_u32_e32 v8, vcc, 56, v8
	v_addc_co_u32_e32 v9, vcc, 0, v9, vcc
	v_mad_u64_u32 v[43:44], s[0:1], s14, v12, v[2:3]
	v_mad_u64_u32 v[47:48], s[0:1], s14, v8, v[2:3]
	v_add_co_u32_e32 v2, vcc, 7, v6
	v_addc_co_u32_e32 v3, vcc, 0, v7, vcc
	v_mad_u64_u32 v[45:46], s[0:1], s14, v12, v[10:11]
	v_mad_u64_u32 v[49:50], s[0:1], s14, v8, v[10:11]
	v_mul_lo_u32 v10, s14, v3
	v_mul_lo_u32 v11, s15, v2
	v_mad_u64_u32 v[2:3], s[0:1], s14, v2, 0
	v_mul_lo_u32 v9, s14, v9
	v_mul_lo_u32 v8, s15, v8
	v_add3_u32 v3, v3, v10, v11
	v_lshlrev_b64 v[2:3], 3, v[2:3]
	v_mul_lo_u32 v17, s15, v12
	v_add3_u32 v48, v8, v48, v9
	v_add3_u32 v50, v8, v50, v9
	v_mov_b32_e32 v8, s17
	v_add_co_u32_e32 v78, vcc, s16, v2
	v_addc_co_u32_e32 v79, vcc, v8, v3, vcc
	v_add_co_u32_e32 v8, vcc, 6, v6
	v_addc_co_u32_e32 v9, vcc, 0, v7, vcc
	v_mul_lo_u32 v11, s14, v9
	v_mul_lo_u32 v12, s15, v8
	v_mad_u64_u32 v[8:9], s[0:1], s14, v8, 0
	v_mov_b32_e32 v10, s19
	v_add_co_u32_e32 v80, vcc, s18, v2
	v_add3_u32 v9, v9, v11, v12
	v_addc_co_u32_e32 v81, vcc, v10, v3, vcc
	v_lshlrev_b64 v[2:3], 3, v[8:9]
	v_mov_b32_e32 v8, s17
	v_add_co_u32_e32 v82, vcc, s16, v2
	v_addc_co_u32_e32 v83, vcc, v8, v3, vcc
	v_add_co_u32_e32 v8, vcc, 5, v6
	v_addc_co_u32_e32 v9, vcc, 0, v7, vcc
	v_mul_lo_u32 v11, s14, v9
	v_mul_lo_u32 v12, s15, v8
	v_mad_u64_u32 v[8:9], s[0:1], s14, v8, 0
	v_add_co_u32_e32 v84, vcc, s18, v2
	v_add3_u32 v9, v9, v11, v12
	v_addc_co_u32_e32 v85, vcc, v10, v3, vcc
	v_lshlrev_b64 v[2:3], 3, v[8:9]
	v_mov_b32_e32 v8, s17
	v_add_co_u32_e32 v86, vcc, s16, v2
	v_addc_co_u32_e32 v87, vcc, v8, v3, vcc
	v_add_co_u32_e32 v8, vcc, 4, v6
	v_addc_co_u32_e32 v9, vcc, 0, v7, vcc
	v_mul_lo_u32 v11, s14, v9
	v_mul_lo_u32 v12, s15, v8
	v_mad_u64_u32 v[8:9], s[0:1], s14, v8, 0
	;; [unrolled: 12-line block ×4, first 2 shown]
	v_mov_b32_e32 v8, s19
	v_add_co_u32_e32 v96, vcc, s18, v2
	v_add3_u32 v7, v7, v9, v10
	v_addc_co_u32_e32 v97, vcc, v8, v3, vcc
	v_lshlrev_b64 v[2:3], 3, v[6:7]
	v_mov_b32_e32 v6, s17
	v_add_co_u32_e32 v98, vcc, s16, v2
	v_addc_co_u32_e32 v99, vcc, v6, v3, vcc
	v_mov_b32_e32 v6, s19
	v_add_co_u32_e32 v100, vcc, s18, v2
	v_addc_co_u32_e32 v101, vcc, v6, v3, vcc
	v_lshlrev_b64 v[2:3], 3, v[4:5]
	v_mov_b32_e32 v4, s17
	v_add_co_u32_e32 v102, vcc, s16, v2
	v_addc_co_u32_e32 v103, vcc, v4, v3, vcc
	v_mov_b32_e32 v4, s19
	v_add_co_u32_e32 v104, vcc, s18, v2
	v_mov_b32_e32 v2, 0
	v_mul_lo_u32 v15, s14, v15
	v_mul_lo_u32 v13, s14, v13
	;; [unrolled: 1-line block ×3, first 2 shown]
	v_addc_co_u32_e32 v105, vcc, v4, v3, vcc
	v_add_u32_e32 v3, s33, v0
	v_mov_b32_e32 v4, v2
	v_lshlrev_b64 v[51:52], 3, v[3:4]
	v_mbcnt_lo_u32_b32 v3, -1, 0
	v_mbcnt_hi_u32_b32 v3, -1, v3
	v_lshlrev_b32_e32 v3, 2, v3
	v_mov_b32_e32 v19, 0
	v_mov_b32_e32 v21, 0
	v_add3_u32 v36, v18, v36, v15
	v_add3_u32 v38, v18, v38, v15
	;; [unrolled: 1-line block ×6, first 2 shown]
	v_mov_b32_e32 v20, 0
	v_mov_b32_e32 v22, 0
	v_and_b32_e32 v106, 0x100, v3
	s_branch .LBB32_55
.LBB32_52:                              ;   in Loop: Header=BB32_55 Depth=1
	s_or_b64 exec, exec, s[16:17]
.LBB32_53:                              ;   in Loop: Header=BB32_55 Depth=1
	s_or_b64 exec, exec, s[0:1]
	v_add_co_u32_e32 v7, vcc, v76, v51
	v_addc_co_u32_e32 v8, vcc, v77, v52, vcc
	global_load_dwordx2 v[9:10], v[7:8], off
	v_add_co_u32_e32 v7, vcc, v74, v51
	v_addc_co_u32_e32 v8, vcc, v75, v52, vcc
	v_add_co_u32_e32 v11, vcc, v25, v51
	v_addc_co_u32_e32 v12, vcc, v26, v52, vcc
	global_load_dwordx2 v[7:8], v[7:8], off
	s_waitcnt vmcnt(3)
	ds_bpermute_b32 v107, v106, v5
	global_load_dwordx2 v[15:16], v[11:12], off
	v_add_co_u32_e32 v11, vcc, v23, v51
	v_addc_co_u32_e32 v12, vcc, v24, v52, vcc
	v_add_co_u32_e32 v13, vcc, v29, v51
	v_addc_co_u32_e32 v14, vcc, v30, v52, vcc
	global_load_dwordx2 v[53:54], v[13:14], off
	s_nop 0
	global_load_dwordx2 v[13:14], v[11:12], off
	v_add_co_u32_e32 v11, vcc, v27, v51
	v_addc_co_u32_e32 v12, vcc, v28, v52, vcc
	v_add_co_u32_e32 v17, vcc, v33, v51
	v_addc_co_u32_e32 v18, vcc, v34, v52, vcc
	global_load_dwordx2 v[11:12], v[11:12], off
	ds_bpermute_b32 v108, v106, v6
	global_load_dwordx2 v[55:56], v[17:18], off
	v_add_co_u32_e32 v17, vcc, v37, v51
	v_addc_co_u32_e32 v18, vcc, v38, v52, vcc
	v_add_co_u32_e32 v57, vcc, v31, v51
	v_addc_co_u32_e32 v58, vcc, v32, v52, vcc
	global_load_dwordx2 v[57:58], v[57:58], off
	v_add_co_u32_e32 v59, vcc, v41, v51
	global_load_dwordx2 v[61:62], v[17:18], off
	v_addc_co_u32_e32 v60, vcc, v42, v52, vcc
	v_add_co_u32_e32 v17, vcc, v45, v51
	v_addc_co_u32_e32 v18, vcc, v46, v52, vcc
	global_load_dwordx2 v[59:60], v[59:60], off
	s_nop 0
	global_load_dwordx2 v[63:64], v[17:18], off
	v_add_co_u32_e32 v17, vcc, v35, v51
	v_addc_co_u32_e32 v18, vcc, v36, v52, vcc
	global_load_dwordx2 v[65:66], v[17:18], off
	v_add_co_u32_e32 v17, vcc, v39, v51
	v_addc_co_u32_e32 v18, vcc, v40, v52, vcc
	v_add_co_u32_e32 v67, vcc, v49, v51
	v_addc_co_u32_e32 v68, vcc, v50, v52, vcc
	global_load_dwordx2 v[69:70], v[17:18], off
	s_nop 0
	global_load_dwordx2 v[67:68], v[67:68], off
	v_add_co_u32_e32 v17, vcc, v43, v51
	v_addc_co_u32_e32 v18, vcc, v44, v52, vcc
	global_load_dwordx2 v[71:72], v[17:18], off
	v_add_co_u32_e32 v17, vcc, v47, v51
	v_addc_co_u32_e32 v18, vcc, v48, v52, vcc
	global_load_dwordx2 v[17:18], v[17:18], off
	ds_bpermute_b32 v109, v106, v5 offset:8
	ds_bpermute_b32 v110, v106, v6 offset:8
	;; [unrolled: 1-line block ×4, first 2 shown]
	s_waitcnt vmcnt(15) lgkmcnt(4)
	v_add_f64 v[9:10], v[9:10], -v[107:108]
	ds_bpermute_b32 v107, v106, v5 offset:4
	ds_bpermute_b32 v108, v106, v6 offset:4
	s_waitcnt vmcnt(14)
	v_mul_f64 v[9:10], v[7:8], v[9:10]
	v_add_f64 v[7:8], v[21:22], v[7:8]
	s_waitcnt vmcnt(13) lgkmcnt(0)
	v_add_f64 v[15:16], v[15:16], -v[107:108]
	ds_bpermute_b32 v107, v106, v3
	ds_bpermute_b32 v108, v106, v4
	ds_bpermute_b32 v21, v106, v5 offset:16
	ds_bpermute_b32 v22, v106, v6 offset:16
	s_waitcnt lgkmcnt(2)
	v_fma_f64 v[9:10], v[9:10], v[107:108], v[19:20]
	s_waitcnt vmcnt(12)
	v_add_f64 v[53:54], v[53:54], -v[109:110]
	s_waitcnt vmcnt(11)
	v_mul_f64 v[15:16], v[13:14], v[15:16]
	ds_bpermute_b32 v19, v106, v3 offset:4
	ds_bpermute_b32 v20, v106, v4 offset:4
	v_add_f64 v[7:8], v[7:8], v[13:14]
	ds_bpermute_b32 v13, v106, v3 offset:8
	ds_bpermute_b32 v14, v106, v4 offset:8
	s_waitcnt lgkmcnt(2)
	v_fma_f64 v[9:10], v[15:16], v[19:20], v[9:10]
	s_waitcnt vmcnt(10)
	v_mul_f64 v[53:54], v[11:12], v[53:54]
	ds_bpermute_b32 v15, v106, v5 offset:20
	s_waitcnt vmcnt(9)
	v_add_f64 v[55:56], v[55:56], -v[111:112]
	v_add_f64 v[7:8], v[7:8], v[11:12]
	ds_bpermute_b32 v16, v106, v6 offset:20
	ds_bpermute_b32 v11, v106, v5 offset:24
	;; [unrolled: 1-line block ×4, first 2 shown]
	s_waitcnt lgkmcnt(5)
	v_fma_f64 v[9:10], v[53:54], v[13:14], v[9:10]
	ds_bpermute_b32 v13, v106, v3 offset:12
	ds_bpermute_b32 v14, v106, v4 offset:12
	s_waitcnt vmcnt(8)
	v_add_f64 v[7:8], v[7:8], v[57:58]
	ds_bpermute_b32 v6, v106, v6 offset:28
	s_waitcnt vmcnt(7)
	v_add_f64 v[19:20], v[61:62], -v[21:22]
	v_mul_f64 v[21:22], v[57:58], v[55:56]
	s_waitcnt vmcnt(6) lgkmcnt(6)
	v_add_f64 v[15:16], v[59:60], -v[15:16]
	s_waitcnt vmcnt(5) lgkmcnt(4)
	v_add_f64 v[11:12], v[63:64], -v[11:12]
	s_waitcnt lgkmcnt(1)
	v_fma_f64 v[9:10], v[21:22], v[13:14], v[9:10]
	ds_bpermute_b32 v13, v106, v3 offset:16
	ds_bpermute_b32 v14, v106, v4 offset:16
	s_waitcnt vmcnt(4)
	v_mul_f64 v[19:20], v[65:66], v[19:20]
	v_add_f64 v[7:8], v[7:8], v[65:66]
	s_waitcnt vmcnt(3)
	v_mul_f64 v[15:16], v[69:70], v[15:16]
	s_waitcnt lgkmcnt(0)
	v_fma_f64 v[9:10], v[19:20], v[13:14], v[9:10]
	s_waitcnt vmcnt(2)
	v_add_f64 v[5:6], v[67:68], -v[5:6]
	ds_bpermute_b32 v13, v106, v3 offset:20
	ds_bpermute_b32 v14, v106, v4 offset:20
	v_add_f64 v[7:8], v[7:8], v[69:70]
	s_waitcnt vmcnt(1)
	v_mul_f64 v[11:12], v[71:72], v[11:12]
	ds_bpermute_b32 v19, v106, v3 offset:24
	ds_bpermute_b32 v20, v106, v4 offset:24
	s_waitcnt lgkmcnt(2)
	v_fma_f64 v[9:10], v[15:16], v[13:14], v[9:10]
	ds_bpermute_b32 v13, v106, v3 offset:28
	s_waitcnt vmcnt(0)
	v_mul_f64 v[5:6], v[17:18], v[5:6]
	ds_bpermute_b32 v14, v106, v4 offset:28
	v_add_f64 v[3:4], v[7:8], v[71:72]
	s_waitcnt lgkmcnt(2)
	v_fma_f64 v[7:8], v[11:12], v[19:20], v[9:10]
	s_waitcnt lgkmcnt(0)
	v_mul_f64 v[5:6], v[5:6], v[13:14]
.LBB32_54:                              ;   in Loop: Header=BB32_55 Depth=1
	v_add_f64 v[19:20], v[7:8], v[5:6]
	v_mov_b32_e32 v5, s9
	v_add_co_u32_e32 v74, vcc, s8, v74
	v_addc_co_u32_e32 v75, vcc, v75, v5, vcc
	v_add_co_u32_e32 v76, vcc, s8, v76
	v_addc_co_u32_e32 v77, vcc, v77, v5, vcc
	;; [unrolled: 2-line block ×26, first 2 shown]
	v_add_co_u32_e32 v98, vcc, s8, v98
	v_add_f64 v[21:22], v[3:4], v[17:18]
	v_addc_co_u32_e32 v99, vcc, v99, v5, vcc
	v_add_co_u32_e32 v100, vcc, s8, v100
	v_addc_co_u32_e32 v101, vcc, v101, v5, vcc
	s_add_u32 s10, s10, s7
	v_add_co_u32_e32 v102, vcc, s8, v102
	v_mov_b32_e32 v3, s12
	s_addc_u32 s11, s11, 0
	v_addc_co_u32_e32 v103, vcc, v103, v5, vcc
	v_mov_b32_e32 v4, s13
	v_cmp_ge_i64_e32 vcc, s[10:11], v[3:4]
	s_add_u32 s24, s24, s7
	v_add_co_u32_e64 v104, s[0:1], s8, v104
	s_addc_u32 s25, s25, 0
	v_addc_co_u32_e64 v105, s[0:1], v105, v5, s[0:1]
	s_cbranch_vccnz .LBB32_81
.LBB32_55:                              ; =>This Inner Loop Header: Depth=1
	v_mov_b32_e32 v3, s12
	v_mov_b32_e32 v4, s13
	v_cmp_ge_i64_e32 vcc, s[24:25], v[3:4]
	v_mov_b32_e32 v3, s25
	v_add_co_u32_e64 v107, s[0:1], s24, v73
	v_addc_co_u32_e64 v108, s[0:1], 0, v3, s[0:1]
	s_mov_b64 s[0:1], -1
	s_and_b64 vcc, exec, vcc
                                        ; implicit-def: $vgpr17_vgpr18
                                        ; implicit-def: $vgpr5_vgpr6
                                        ; implicit-def: $vgpr3_vgpr4
                                        ; implicit-def: $vgpr7_vgpr8
	s_cbranch_vccz .LBB32_77
; %bb.56:                               ;   in Loop: Header=BB32_55 Depth=1
	s_load_dword s0, s[2:3], 0xc
	v_mov_b32_e32 v57, 0
	v_mov_b32_e32 v53, 0
	;; [unrolled: 1-line block ×4, first 2 shown]
	s_waitcnt lgkmcnt(0)
	s_and_b32 s0, s0, 0xffff
	v_mad_u32_u24 v3, v1, s0, v0
	v_and_b32_e32 v3, 63, v3
	v_mov_b32_e32 v54, 0
	v_mov_b32_e32 v56, 0
	v_cmp_gt_u32_e32 vcc, 8, v3
	s_and_saveexec_b64 s[0:1], vcc
	s_cbranch_execz .LBB32_60
; %bb.57:                               ;   in Loop: Header=BB32_55 Depth=1
	v_add_co_u32_e32 v3, vcc, v107, v3
	v_addc_co_u32_e32 v4, vcc, 0, v108, vcc
	v_add_co_u32_e32 v3, vcc, 0xffffffc1, v3
	v_addc_co_u32_e32 v4, vcc, -1, v4, vcc
	v_cmp_gt_i64_e32 vcc, s[12:13], v[3:4]
	v_mov_b32_e32 v55, 0
	v_mov_b32_e32 v53, 0
	v_mov_b32_e32 v56, 0
	v_mov_b32_e32 v54, 0
	s_and_saveexec_b64 s[16:17], vcc
	s_cbranch_execz .LBB32_59
; %bb.58:                               ;   in Loop: Header=BB32_55 Depth=1
	v_lshlrev_b64 v[3:4], 3, v[3:4]
	v_mov_b32_e32 v6, s23
	v_add_co_u32_e32 v5, vcc, s22, v3
	v_addc_co_u32_e32 v6, vcc, v6, v4, vcc
	v_mov_b32_e32 v7, s21
	v_add_co_u32_e32 v3, vcc, s20, v3
	v_addc_co_u32_e32 v4, vcc, v7, v4, vcc
	global_load_dwordx2 v[55:56], v[3:4], off
	global_load_dwordx2 v[53:54], v[5:6], off
.LBB32_59:                              ;   in Loop: Header=BB32_55 Depth=1
	s_or_b64 exec, exec, s[16:17]
.LBB32_60:                              ;   in Loop: Header=BB32_55 Depth=1
	s_or_b64 exec, exec, s[0:1]
	v_add_co_u32_e32 v3, vcc, 0xffffffc1, v107
	v_addc_co_u32_e32 v4, vcc, -1, v108, vcc
	v_cmp_gt_i64_e32 vcc, s[12:13], v[3:4]
	v_mov_b32_e32 v3, v2
	v_mov_b32_e32 v4, v2
	;; [unrolled: 1-line block ×31, first 2 shown]
	s_and_saveexec_b64 s[0:1], vcc
	s_cbranch_execz .LBB32_62
; %bb.61:                               ;   in Loop: Header=BB32_55 Depth=1
	v_add_co_u32_e32 v3, vcc, v74, v51
	v_addc_co_u32_e32 v4, vcc, v75, v52, vcc
	v_add_co_u32_e32 v5, vcc, v76, v51
	v_addc_co_u32_e32 v6, vcc, v77, v52, vcc
	global_load_dwordx2 v[3:4], v[3:4], off
	v_mov_b32_e32 v7, v2
	global_load_dwordx2 v[57:58], v[5:6], off
	v_mov_b32_e32 v5, v2
	v_mov_b32_e32 v6, v2
	;; [unrolled: 1-line block ×13, first 2 shown]
.LBB32_62:                              ;   in Loop: Header=BB32_55 Depth=1
	s_or_b64 exec, exec, s[0:1]
	v_add_co_u32_e32 v59, vcc, 0xffffffc2, v107
	v_addc_co_u32_e32 v60, vcc, -1, v108, vcc
	v_cmp_gt_i64_e32 vcc, s[12:13], v[59:60]
	v_mov_b32_e32 v59, 0
	v_mov_b32_e32 v61, 0
	v_mov_b32_e32 v60, 0
	v_mov_b32_e32 v62, 0
	s_and_saveexec_b64 s[0:1], vcc
	s_cbranch_execz .LBB32_64
; %bb.63:                               ;   in Loop: Header=BB32_55 Depth=1
	v_add_co_u32_e32 v5, vcc, v102, v51
	v_addc_co_u32_e32 v6, vcc, v103, v52, vcc
	v_add_co_u32_e32 v61, vcc, v104, v51
	v_addc_co_u32_e32 v62, vcc, v105, v52, vcc
	global_load_dwordx2 v[5:6], v[5:6], off
	s_nop 0
	global_load_dwordx2 v[61:62], v[61:62], off
.LBB32_64:                              ;   in Loop: Header=BB32_55 Depth=1
	s_or_b64 exec, exec, s[0:1]
	v_add_co_u32_e32 v63, vcc, 0xffffffc3, v107
	v_addc_co_u32_e32 v64, vcc, -1, v108, vcc
	v_cmp_gt_i64_e32 vcc, s[12:13], v[63:64]
	s_and_saveexec_b64 s[0:1], vcc
	s_cbranch_execz .LBB32_66
; %bb.65:                               ;   in Loop: Header=BB32_55 Depth=1
	v_add_co_u32_e32 v7, vcc, v98, v51
	v_addc_co_u32_e32 v8, vcc, v99, v52, vcc
	v_add_co_u32_e32 v59, vcc, v100, v51
	v_addc_co_u32_e32 v60, vcc, v101, v52, vcc
	global_load_dwordx2 v[7:8], v[7:8], off
	s_nop 0
	global_load_dwordx2 v[59:60], v[59:60], off
.LBB32_66:                              ;   in Loop: Header=BB32_55 Depth=1
	s_or_b64 exec, exec, s[0:1]
	v_add_co_u32_e32 v63, vcc, 0xffffffc4, v107
	v_addc_co_u32_e32 v64, vcc, -1, v108, vcc
	v_cmp_gt_i64_e32 vcc, s[12:13], v[63:64]
	v_mov_b32_e32 v63, 0
	v_mov_b32_e32 v65, 0
	v_mov_b32_e32 v64, 0
	v_mov_b32_e32 v66, 0
	s_and_saveexec_b64 s[0:1], vcc
	s_cbranch_execz .LBB32_68
; %bb.67:                               ;   in Loop: Header=BB32_55 Depth=1
	v_add_co_u32_e32 v9, vcc, v94, v51
	v_addc_co_u32_e32 v10, vcc, v95, v52, vcc
	v_add_co_u32_e32 v65, vcc, v96, v51
	v_addc_co_u32_e32 v66, vcc, v97, v52, vcc
	global_load_dwordx2 v[9:10], v[9:10], off
	s_nop 0
	global_load_dwordx2 v[65:66], v[65:66], off
.LBB32_68:                              ;   in Loop: Header=BB32_55 Depth=1
	s_or_b64 exec, exec, s[0:1]
	v_add_co_u32_e32 v67, vcc, 0xffffffc5, v107
	v_addc_co_u32_e32 v68, vcc, -1, v108, vcc
	v_cmp_gt_i64_e32 vcc, s[12:13], v[67:68]
	s_and_saveexec_b64 s[0:1], vcc
	s_cbranch_execz .LBB32_70
; %bb.69:                               ;   in Loop: Header=BB32_55 Depth=1
	v_add_co_u32_e32 v11, vcc, v90, v51
	v_addc_co_u32_e32 v12, vcc, v91, v52, vcc
	v_add_co_u32_e32 v63, vcc, v92, v51
	v_addc_co_u32_e32 v64, vcc, v93, v52, vcc
	global_load_dwordx2 v[11:12], v[11:12], off
	s_nop 0
	global_load_dwordx2 v[63:64], v[63:64], off
.LBB32_70:                              ;   in Loop: Header=BB32_55 Depth=1
	;; [unrolled: 34-line block ×3, first 2 shown]
	s_or_b64 exec, exec, s[0:1]
	v_add_co_u32_e32 v71, vcc, 0xffffffc8, v107
	v_addc_co_u32_e32 v72, vcc, -1, v108, vcc
	v_cmp_gt_i64_e32 vcc, s[12:13], v[71:72]
	v_mov_b32_e32 v71, 0
	v_mov_b32_e32 v72, 0
	s_and_saveexec_b64 s[0:1], vcc
	s_cbranch_execz .LBB32_76
; %bb.75:                               ;   in Loop: Header=BB32_55 Depth=1
	v_add_co_u32_e32 v17, vcc, v78, v51
	v_addc_co_u32_e32 v18, vcc, v79, v52, vcc
	v_add_co_u32_e32 v71, vcc, v80, v51
	v_addc_co_u32_e32 v72, vcc, v81, v52, vcc
	global_load_dwordx2 v[17:18], v[17:18], off
	s_nop 0
	global_load_dwordx2 v[71:72], v[71:72], off
.LBB32_76:                              ;   in Loop: Header=BB32_55 Depth=1
	s_or_b64 exec, exec, s[0:1]
	s_waitcnt vmcnt(1)
	ds_bpermute_b32 v109, v106, v55
	ds_bpermute_b32 v110, v106, v56
	s_waitcnt vmcnt(0)
	ds_bpermute_b32 v111, v106, v53
	ds_bpermute_b32 v113, v106, v55 offset:8
	ds_bpermute_b32 v114, v106, v56 offset:8
	ds_bpermute_b32 v112, v106, v54
	s_waitcnt lgkmcnt(4)
	v_add_f64 v[57:58], v[57:58], -v[109:110]
	ds_bpermute_b32 v109, v106, v55 offset:4
	ds_bpermute_b32 v110, v106, v56 offset:4
	s_waitcnt lgkmcnt(3)
	v_add_f64 v[59:60], v[59:60], -v[113:114]
	ds_bpermute_b32 v113, v106, v55 offset:16
	ds_bpermute_b32 v114, v106, v56 offset:16
	s_mov_b64 s[0:1], 0
	s_waitcnt lgkmcnt(2)
	v_add_f64 v[61:62], v[61:62], -v[109:110]
	v_mul_f64 v[57:58], v[3:4], v[57:58]
	v_add_f64 v[3:4], v[21:22], v[3:4]
	ds_bpermute_b32 v109, v106, v55 offset:12
	ds_bpermute_b32 v110, v106, v56 offset:12
	s_waitcnt lgkmcnt(2)
	v_add_f64 v[63:64], v[63:64], -v[113:114]
	v_mul_f64 v[61:62], v[5:6], v[61:62]
	v_fma_f64 v[57:58], v[57:58], v[111:112], v[19:20]
	ds_bpermute_b32 v111, v106, v53 offset:4
	ds_bpermute_b32 v112, v106, v54 offset:4
	s_waitcnt lgkmcnt(2)
	v_add_f64 v[65:66], v[65:66], -v[109:110]
	v_add_f64 v[3:4], v[5:6], v[3:4]
	v_mul_f64 v[5:6], v[7:8], v[59:60]
	ds_bpermute_b32 v59, v106, v53 offset:8
	ds_bpermute_b32 v60, v106, v54 offset:8
	s_waitcnt lgkmcnt(2)
	v_fma_f64 v[57:58], v[61:62], v[111:112], v[57:58]
	ds_bpermute_b32 v61, v106, v55 offset:20
	ds_bpermute_b32 v62, v106, v56 offset:20
	v_mul_f64 v[65:66], v[9:10], v[65:66]
	v_add_f64 v[3:4], v[7:8], v[3:4]
	ds_bpermute_b32 v7, v106, v53 offset:12
	ds_bpermute_b32 v8, v106, v54 offset:12
	s_waitcnt lgkmcnt(4)
	v_fma_f64 v[5:6], v[5:6], v[59:60], v[57:58]
	s_waitcnt lgkmcnt(2)
	v_add_f64 v[59:60], v[69:70], -v[61:62]
	v_mul_f64 v[61:62], v[11:12], v[63:64]
	ds_bpermute_b32 v57, v106, v55 offset:24
	v_add_f64 v[3:4], v[9:10], v[3:4]
	ds_bpermute_b32 v58, v106, v56 offset:24
	ds_bpermute_b32 v9, v106, v55 offset:28
	;; [unrolled: 1-line block ×3, first 2 shown]
	s_waitcnt lgkmcnt(4)
	v_fma_f64 v[5:6], v[65:66], v[7:8], v[5:6]
	ds_bpermute_b32 v7, v106, v53 offset:16
	ds_bpermute_b32 v8, v106, v54 offset:16
	s_waitcnt lgkmcnt(4)
	v_add_f64 v[55:56], v[67:68], -v[57:58]
	v_mul_f64 v[57:58], v[13:14], v[59:60]
	v_add_f64 v[3:4], v[11:12], v[3:4]
	ds_bpermute_b32 v11, v106, v53 offset:24
	ds_bpermute_b32 v12, v106, v54 offset:24
	s_waitcnt lgkmcnt(2)
	v_fma_f64 v[5:6], v[61:62], v[7:8], v[5:6]
	v_add_f64 v[7:8], v[71:72], -v[9:10]
	ds_bpermute_b32 v9, v106, v53 offset:20
	ds_bpermute_b32 v10, v106, v54 offset:20
	v_mul_f64 v[55:56], v[15:16], v[55:56]
	v_add_f64 v[3:4], v[13:14], v[3:4]
	ds_bpermute_b32 v13, v106, v53 offset:28
	ds_bpermute_b32 v14, v106, v54 offset:28
	s_waitcnt lgkmcnt(2)
	v_fma_f64 v[5:6], v[57:58], v[9:10], v[5:6]
	v_mul_f64 v[9:10], v[17:18], v[7:8]
	v_add_f64 v[3:4], v[15:16], v[3:4]
	v_fma_f64 v[7:8], v[55:56], v[11:12], v[5:6]
	s_waitcnt lgkmcnt(0)
	v_mul_f64 v[5:6], v[9:10], v[13:14]
.LBB32_77:                              ;   in Loop: Header=BB32_55 Depth=1
	s_and_b64 vcc, exec, s[0:1]
	s_cbranch_vccz .LBB32_54
; %bb.78:                               ;   in Loop: Header=BB32_55 Depth=1
	s_load_dword s0, s[2:3], 0x0
	v_mov_b32_e32 v3, 0
	v_mov_b32_e32 v4, 0
	s_waitcnt lgkmcnt(0)
	s_cmp_lt_u32 s6, s0
	s_cselect_b32 s0, 12, 18
	s_add_u32 s0, s2, s0
	s_addc_u32 s1, s3, 0
	global_load_ushort v5, v2, s[0:1]
	s_waitcnt vmcnt(0)
	v_mad_u32_u24 v5, v1, v5, v0
	v_and_b32_e32 v7, 63, v5
	v_mov_b32_e32 v5, 0
	v_mov_b32_e32 v6, 0
	v_cmp_gt_u32_e32 vcc, 8, v7
	s_and_saveexec_b64 s[0:1], vcc
	s_cbranch_execz .LBB32_53
; %bb.79:                               ;   in Loop: Header=BB32_55 Depth=1
	v_add_co_u32_e32 v3, vcc, v107, v7
	v_addc_co_u32_e32 v4, vcc, 0, v108, vcc
	v_add_co_u32_e32 v7, vcc, 0xffffffc1, v3
	v_addc_co_u32_e32 v8, vcc, -1, v4, vcc
	v_cmp_gt_i64_e32 vcc, s[12:13], v[7:8]
	v_mov_b32_e32 v5, 0
	v_mov_b32_e32 v3, 0
	;; [unrolled: 1-line block ×4, first 2 shown]
	s_and_saveexec_b64 s[16:17], vcc
	s_cbranch_execz .LBB32_52
; %bb.80:                               ;   in Loop: Header=BB32_55 Depth=1
	v_lshlrev_b64 v[3:4], 3, v[7:8]
	v_mov_b32_e32 v5, s23
	v_add_co_u32_e32 v7, vcc, s22, v3
	v_addc_co_u32_e32 v8, vcc, v5, v4, vcc
	v_mov_b32_e32 v5, s21
	v_add_co_u32_e32 v3, vcc, s20, v3
	v_addc_co_u32_e32 v4, vcc, v5, v4, vcc
	global_load_dwordx2 v[5:6], v[3:4], off
	s_nop 0
	global_load_dwordx2 v[3:4], v[7:8], off
	s_branch .LBB32_52
.LBB32_81:
	s_movk_i32 s0, 0x41
	v_mad_u32_u24 v2, v1, s0, v0
	v_lshl_add_u32 v2, v2, 3, 0
	ds_write_b64 v2, v[19:20]
	ds_write_b64 v2, v[21:22] offset:4160
	v_lshrrev_b32_e32 v2, 6, v0
	v_add_u32_e32 v8, v2, v1
	v_cmp_gt_u32_e32 vcc, 64, v8
	s_waitcnt lgkmcnt(0)
	s_barrier
	s_and_saveexec_b64 s[0:1], vcc
	s_cbranch_execz .LBB32_145
; %bb.82:
	s_load_dwordx4 s[8:11], s[4:5], 0x30
	v_and_b32_e32 v1, 63, v0
	v_cmp_gt_u32_e64 s[0:1], 8, v1
	v_mul_u32_u24_e32 v6, 0x41, v1
                                        ; implicit-def: $vgpr1_vgpr2
                                        ; implicit-def: $vgpr3_vgpr4
	s_and_saveexec_b64 s[2:3], s[0:1]
	s_cbranch_execz .LBB32_84
; %bb.83:
	v_add_u32_e32 v1, v8, v6
	v_lshl_add_u32 v1, v1, 3, 0
	ds_read_b64 v[3:4], v1
	ds_read_b64 v[1:2], v1 offset:4160
.LBB32_84:
	s_or_b64 exec, exec, s[2:3]
	v_mbcnt_lo_u32_b32 v5, -1, 0
	v_mbcnt_hi_u32_b32 v5, -1, v5
	v_and_b32_e32 v7, 64, v5
	v_add_u32_e32 v14, 64, v7
	v_xor_b32_e32 v7, 4, v5
	v_cmp_lt_i32_e32 vcc, v7, v14
	v_cndmask_b32_e32 v7, v5, v7, vcc
	v_lshlrev_b32_e32 v7, 2, v7
	s_waitcnt lgkmcnt(0)
	ds_bpermute_b32 v9, v7, v3
	ds_bpermute_b32 v10, v7, v4
	;; [unrolled: 1-line block ×4, first 2 shown]
	v_cmp_eq_u32_e64 s[2:3], 0, v0
	s_mov_b32 s7, 0
	s_waitcnt lgkmcnt(2)
	v_add_f64 v[3:4], v[3:4], v[9:10]
	v_xor_b32_e32 v9, 2, v5
	s_waitcnt lgkmcnt(0)
	v_add_f64 v[1:2], v[1:2], v[11:12]
	v_cmp_lt_i32_e32 vcc, v9, v14
	v_cndmask_b32_e32 v9, v5, v9, vcc
	v_lshlrev_b32_e32 v9, 2, v9
	s_lshl_b64 s[4:5], s[6:7], 6
	s_cmp_lg_u64 s[8:9], 0
	ds_bpermute_b32 v10, v9, v3
	ds_bpermute_b32 v11, v9, v4
	;; [unrolled: 1-line block ×4, first 2 shown]
	s_cselect_b64 s[12:13], -1, 0
	s_cmp_lg_u64 s[10:11], 0
	s_waitcnt lgkmcnt(2)
	v_add_f64 v[3:4], v[3:4], v[10:11]
	s_cselect_b64 s[6:7], -1, 0
	s_waitcnt lgkmcnt(0)
	v_add_f64 v[11:12], v[1:2], v[12:13]
	v_xor_b32_e32 v1, 1, v5
	v_cmp_lt_i32_e32 vcc, v1, v14
	v_cndmask_b32_e32 v1, v5, v1, vcc
	v_lshlrev_b32_e32 v10, 2, v1
	v_mov_b32_e32 v5, s5
	ds_bpermute_b32 v1, v10, v3
	ds_bpermute_b32 v2, v10, v4
	;; [unrolled: 1-line block ×4, first 2 shown]
	s_waitcnt lgkmcnt(2)
	v_add_f64 v[0:1], v[3:4], v[1:2]
	v_or_b32_e32 v4, s4, v8
	s_waitcnt lgkmcnt(0)
	v_add_f64 v[2:3], v[11:12], v[13:14]
	v_cmp_gt_i64_e32 vcc, s[14:15], v[4:5]
	s_and_b64 s[18:19], s[2:3], vcc
	s_and_saveexec_b64 s[16:17], s[18:19]
	s_cbranch_execz .LBB32_89
; %bb.85:
	v_lshlrev_b64 v[4:5], 3, v[4:5]
	s_andn2_b64 vcc, exec, s[12:13]
	s_cbranch_vccnz .LBB32_87
; %bb.86:
	v_mov_b32_e32 v12, s9
	v_add_co_u32_e32 v11, vcc, s8, v4
	v_addc_co_u32_e32 v12, vcc, v12, v5, vcc
	global_store_dwordx2 v[11:12], v[0:1], off
.LBB32_87:
	s_andn2_b64 vcc, exec, s[6:7]
	s_cbranch_vccnz .LBB32_89
; %bb.88:
	v_mov_b32_e32 v11, s11
	v_add_co_u32_e32 v4, vcc, s10, v4
	v_addc_co_u32_e32 v5, vcc, v11, v5, vcc
	global_store_dwordx2 v[4:5], v[2:3], off
.LBB32_89:
	s_or_b64 exec, exec, s[16:17]
	v_cmp_gt_u32_e32 vcc, 56, v8
	s_and_b64 exec, exec, vcc
	s_cbranch_execz .LBB32_145
; %bb.90:
	s_and_saveexec_b64 s[16:17], s[0:1]
	s_cbranch_execz .LBB32_92
; %bb.91:
	v_add_u32_e32 v0, v8, v6
	v_lshl_add_u32 v2, v0, 3, 0
	ds_read_b64 v[0:1], v2 offset:64
	ds_read_b64 v[2:3], v2 offset:4224
.LBB32_92:
	s_or_b64 exec, exec, s[16:17]
	s_waitcnt lgkmcnt(1)
	ds_bpermute_b32 v4, v7, v0
	ds_bpermute_b32 v5, v7, v1
	s_waitcnt lgkmcnt(2)
	ds_bpermute_b32 v11, v7, v2
	ds_bpermute_b32 v12, v7, v3
	v_add_u32_e32 v13, 8, v8
	s_waitcnt lgkmcnt(2)
	v_add_f64 v[0:1], v[0:1], v[4:5]
	s_waitcnt lgkmcnt(0)
	v_add_f64 v[2:3], v[2:3], v[11:12]
	ds_bpermute_b32 v4, v9, v0
	ds_bpermute_b32 v5, v9, v1
	;; [unrolled: 1-line block ×4, first 2 shown]
	s_waitcnt lgkmcnt(2)
	v_add_f64 v[0:1], v[0:1], v[4:5]
	s_waitcnt lgkmcnt(0)
	v_add_f64 v[2:3], v[2:3], v[11:12]
	ds_bpermute_b32 v4, v10, v0
	ds_bpermute_b32 v5, v10, v1
	;; [unrolled: 1-line block ×4, first 2 shown]
	s_waitcnt lgkmcnt(2)
	v_add_f64 v[0:1], v[0:1], v[4:5]
	v_mov_b32_e32 v5, s5
	s_waitcnt lgkmcnt(0)
	v_add_f64 v[2:3], v[2:3], v[11:12]
	v_add_co_u32_e32 v4, vcc, s4, v13
	v_addc_co_u32_e32 v5, vcc, 0, v5, vcc
	v_cmp_gt_i64_e32 vcc, s[14:15], v[4:5]
	s_and_b64 s[18:19], s[2:3], vcc
	s_and_saveexec_b64 s[16:17], s[18:19]
	s_cbranch_execz .LBB32_97
; %bb.93:
	s_andn2_b64 vcc, exec, s[12:13]
	s_cbranch_vccnz .LBB32_95
; %bb.94:
	v_mov_b32_e32 v5, s5
	v_add_co_u32_e32 v4, vcc, s4, v8
	v_addc_co_u32_e32 v5, vcc, 0, v5, vcc
	v_lshlrev_b64 v[4:5], 3, v[4:5]
	v_mov_b32_e32 v11, s9
	v_add_co_u32_e32 v4, vcc, s8, v4
	v_addc_co_u32_e32 v5, vcc, v11, v5, vcc
	global_store_dwordx2 v[4:5], v[0:1], off offset:64
.LBB32_95:
	s_andn2_b64 vcc, exec, s[6:7]
	s_cbranch_vccnz .LBB32_97
; %bb.96:
	v_mov_b32_e32 v5, s5
	v_add_co_u32_e32 v4, vcc, s4, v8
	v_addc_co_u32_e32 v5, vcc, 0, v5, vcc
	v_lshlrev_b64 v[4:5], 3, v[4:5]
	v_mov_b32_e32 v11, s11
	v_add_co_u32_e32 v4, vcc, s10, v4
	v_addc_co_u32_e32 v5, vcc, v11, v5, vcc
	global_store_dwordx2 v[4:5], v[2:3], off offset:64
.LBB32_97:
	s_or_b64 exec, exec, s[16:17]
	v_cmp_gt_u32_e32 vcc, 48, v8
	s_and_b64 exec, exec, vcc
	s_cbranch_execz .LBB32_145
; %bb.98:
	s_and_saveexec_b64 s[16:17], s[0:1]
	s_cbranch_execz .LBB32_100
; %bb.99:
	v_add_u32_e32 v0, v8, v6
	v_lshl_add_u32 v2, v0, 3, 0
	ds_read_b64 v[0:1], v2 offset:128
	ds_read_b64 v[2:3], v2 offset:4288
.LBB32_100:
	s_or_b64 exec, exec, s[16:17]
	s_waitcnt lgkmcnt(1)
	ds_bpermute_b32 v4, v7, v0
	ds_bpermute_b32 v5, v7, v1
	s_waitcnt lgkmcnt(2)
	ds_bpermute_b32 v11, v7, v2
	ds_bpermute_b32 v12, v7, v3
	v_add_u32_e32 v13, 16, v8
	s_waitcnt lgkmcnt(2)
	v_add_f64 v[0:1], v[0:1], v[4:5]
	s_waitcnt lgkmcnt(0)
	v_add_f64 v[2:3], v[2:3], v[11:12]
	ds_bpermute_b32 v4, v9, v0
	ds_bpermute_b32 v5, v9, v1
	;; [unrolled: 1-line block ×4, first 2 shown]
	s_waitcnt lgkmcnt(2)
	v_add_f64 v[0:1], v[0:1], v[4:5]
	s_waitcnt lgkmcnt(0)
	v_add_f64 v[2:3], v[2:3], v[11:12]
	ds_bpermute_b32 v4, v10, v0
	ds_bpermute_b32 v5, v10, v1
	;; [unrolled: 1-line block ×4, first 2 shown]
	s_waitcnt lgkmcnt(2)
	v_add_f64 v[0:1], v[0:1], v[4:5]
	v_mov_b32_e32 v5, s5
	s_waitcnt lgkmcnt(0)
	v_add_f64 v[2:3], v[2:3], v[11:12]
	v_add_co_u32_e32 v4, vcc, s4, v13
	v_addc_co_u32_e32 v5, vcc, 0, v5, vcc
	v_cmp_gt_i64_e32 vcc, s[14:15], v[4:5]
	s_and_b64 s[18:19], s[2:3], vcc
	s_and_saveexec_b64 s[16:17], s[18:19]
	s_cbranch_execz .LBB32_105
; %bb.101:
	s_andn2_b64 vcc, exec, s[12:13]
	s_cbranch_vccnz .LBB32_103
; %bb.102:
	v_mov_b32_e32 v5, s5
	v_add_co_u32_e32 v4, vcc, s4, v8
	v_addc_co_u32_e32 v5, vcc, 0, v5, vcc
	v_lshlrev_b64 v[4:5], 3, v[4:5]
	v_mov_b32_e32 v11, s9
	v_add_co_u32_e32 v4, vcc, s8, v4
	v_addc_co_u32_e32 v5, vcc, v11, v5, vcc
	global_store_dwordx2 v[4:5], v[0:1], off offset:128
.LBB32_103:
	s_andn2_b64 vcc, exec, s[6:7]
	s_cbranch_vccnz .LBB32_105
; %bb.104:
	v_mov_b32_e32 v5, s5
	v_add_co_u32_e32 v4, vcc, s4, v8
	v_addc_co_u32_e32 v5, vcc, 0, v5, vcc
	v_lshlrev_b64 v[4:5], 3, v[4:5]
	v_mov_b32_e32 v11, s11
	v_add_co_u32_e32 v4, vcc, s10, v4
	v_addc_co_u32_e32 v5, vcc, v11, v5, vcc
	global_store_dwordx2 v[4:5], v[2:3], off offset:128
.LBB32_105:
	s_or_b64 exec, exec, s[16:17]
	v_cmp_gt_u32_e32 vcc, 40, v8
	s_and_b64 exec, exec, vcc
	s_cbranch_execz .LBB32_145
; %bb.106:
	s_and_saveexec_b64 s[16:17], s[0:1]
	s_cbranch_execz .LBB32_108
; %bb.107:
	v_add_u32_e32 v0, v8, v6
	v_lshl_add_u32 v2, v0, 3, 0
	ds_read_b64 v[0:1], v2 offset:192
	ds_read_b64 v[2:3], v2 offset:4352
.LBB32_108:
	s_or_b64 exec, exec, s[16:17]
	s_waitcnt lgkmcnt(1)
	ds_bpermute_b32 v4, v7, v0
	ds_bpermute_b32 v5, v7, v1
	s_waitcnt lgkmcnt(2)
	ds_bpermute_b32 v11, v7, v2
	ds_bpermute_b32 v12, v7, v3
	v_add_u32_e32 v13, 24, v8
	s_waitcnt lgkmcnt(2)
	v_add_f64 v[0:1], v[0:1], v[4:5]
	s_waitcnt lgkmcnt(0)
	v_add_f64 v[2:3], v[2:3], v[11:12]
	ds_bpermute_b32 v4, v9, v0
	ds_bpermute_b32 v5, v9, v1
	;; [unrolled: 1-line block ×4, first 2 shown]
	s_waitcnt lgkmcnt(2)
	v_add_f64 v[0:1], v[0:1], v[4:5]
	s_waitcnt lgkmcnt(0)
	v_add_f64 v[2:3], v[2:3], v[11:12]
	ds_bpermute_b32 v4, v10, v0
	ds_bpermute_b32 v5, v10, v1
	;; [unrolled: 1-line block ×4, first 2 shown]
	s_waitcnt lgkmcnt(2)
	v_add_f64 v[0:1], v[0:1], v[4:5]
	v_mov_b32_e32 v5, s5
	s_waitcnt lgkmcnt(0)
	v_add_f64 v[2:3], v[2:3], v[11:12]
	v_add_co_u32_e32 v4, vcc, s4, v13
	v_addc_co_u32_e32 v5, vcc, 0, v5, vcc
	v_cmp_gt_i64_e32 vcc, s[14:15], v[4:5]
	s_and_b64 s[18:19], s[2:3], vcc
	s_and_saveexec_b64 s[16:17], s[18:19]
	s_cbranch_execz .LBB32_113
; %bb.109:
	s_andn2_b64 vcc, exec, s[12:13]
	s_cbranch_vccnz .LBB32_111
; %bb.110:
	v_mov_b32_e32 v5, s5
	v_add_co_u32_e32 v4, vcc, s4, v8
	v_addc_co_u32_e32 v5, vcc, 0, v5, vcc
	v_lshlrev_b64 v[4:5], 3, v[4:5]
	v_mov_b32_e32 v11, s9
	v_add_co_u32_e32 v4, vcc, s8, v4
	v_addc_co_u32_e32 v5, vcc, v11, v5, vcc
	global_store_dwordx2 v[4:5], v[0:1], off offset:192
.LBB32_111:
	s_andn2_b64 vcc, exec, s[6:7]
	s_cbranch_vccnz .LBB32_113
; %bb.112:
	v_mov_b32_e32 v5, s5
	v_add_co_u32_e32 v4, vcc, s4, v8
	v_addc_co_u32_e32 v5, vcc, 0, v5, vcc
	v_lshlrev_b64 v[4:5], 3, v[4:5]
	v_mov_b32_e32 v11, s11
	v_add_co_u32_e32 v4, vcc, s10, v4
	v_addc_co_u32_e32 v5, vcc, v11, v5, vcc
	global_store_dwordx2 v[4:5], v[2:3], off offset:192
.LBB32_113:
	s_or_b64 exec, exec, s[16:17]
	v_cmp_gt_u32_e32 vcc, 32, v8
	s_and_b64 exec, exec, vcc
	s_cbranch_execz .LBB32_145
; %bb.114:
	s_and_saveexec_b64 s[16:17], s[0:1]
	s_cbranch_execz .LBB32_116
; %bb.115:
	v_add_u32_e32 v0, v8, v6
	v_lshl_add_u32 v2, v0, 3, 0
	ds_read_b64 v[0:1], v2 offset:256
	ds_read_b64 v[2:3], v2 offset:4416
.LBB32_116:
	s_or_b64 exec, exec, s[16:17]
	s_waitcnt lgkmcnt(1)
	ds_bpermute_b32 v4, v7, v0
	ds_bpermute_b32 v5, v7, v1
	s_waitcnt lgkmcnt(2)
	ds_bpermute_b32 v11, v7, v2
	ds_bpermute_b32 v12, v7, v3
	s_waitcnt lgkmcnt(2)
	v_add_f64 v[0:1], v[0:1], v[4:5]
	s_waitcnt lgkmcnt(0)
	v_add_f64 v[2:3], v[2:3], v[11:12]
	ds_bpermute_b32 v4, v9, v0
	ds_bpermute_b32 v5, v9, v1
	;; [unrolled: 1-line block ×4, first 2 shown]
	s_waitcnt lgkmcnt(2)
	v_add_f64 v[0:1], v[0:1], v[4:5]
	s_waitcnt lgkmcnt(0)
	v_add_f64 v[2:3], v[2:3], v[11:12]
	ds_bpermute_b32 v4, v10, v0
	ds_bpermute_b32 v5, v10, v1
	;; [unrolled: 1-line block ×4, first 2 shown]
	s_waitcnt lgkmcnt(2)
	v_add_f64 v[0:1], v[0:1], v[4:5]
	v_add_u32_e32 v4, 32, v8
	s_waitcnt lgkmcnt(0)
	v_add_f64 v[2:3], v[2:3], v[11:12]
	v_or_b32_e32 v4, s4, v4
	v_mov_b32_e32 v5, s5
	v_cmp_gt_i64_e32 vcc, s[14:15], v[4:5]
	s_and_b64 s[18:19], s[2:3], vcc
	s_and_saveexec_b64 s[16:17], s[18:19]
	s_cbranch_execz .LBB32_121
; %bb.117:
	s_andn2_b64 vcc, exec, s[12:13]
	s_cbranch_vccnz .LBB32_119
; %bb.118:
	v_mov_b32_e32 v5, s5
	v_add_co_u32_e32 v4, vcc, s4, v8
	v_addc_co_u32_e32 v5, vcc, 0, v5, vcc
	v_lshlrev_b64 v[4:5], 3, v[4:5]
	v_mov_b32_e32 v11, s9
	v_add_co_u32_e32 v4, vcc, s8, v4
	v_addc_co_u32_e32 v5, vcc, v11, v5, vcc
	global_store_dwordx2 v[4:5], v[0:1], off offset:256
.LBB32_119:
	s_andn2_b64 vcc, exec, s[6:7]
	s_cbranch_vccnz .LBB32_121
; %bb.120:
	v_mov_b32_e32 v5, s5
	v_add_co_u32_e32 v4, vcc, s4, v8
	v_addc_co_u32_e32 v5, vcc, 0, v5, vcc
	v_lshlrev_b64 v[4:5], 3, v[4:5]
	v_mov_b32_e32 v11, s11
	v_add_co_u32_e32 v4, vcc, s10, v4
	v_addc_co_u32_e32 v5, vcc, v11, v5, vcc
	global_store_dwordx2 v[4:5], v[2:3], off offset:256
.LBB32_121:
	s_or_b64 exec, exec, s[16:17]
	v_cmp_gt_u32_e32 vcc, 24, v8
	s_and_b64 exec, exec, vcc
	s_cbranch_execz .LBB32_145
; %bb.122:
	s_and_saveexec_b64 s[16:17], s[0:1]
	s_cbranch_execz .LBB32_124
; %bb.123:
	v_add_u32_e32 v0, v8, v6
	v_lshl_add_u32 v2, v0, 3, 0
	ds_read_b64 v[0:1], v2 offset:320
	ds_read_b64 v[2:3], v2 offset:4480
.LBB32_124:
	s_or_b64 exec, exec, s[16:17]
	s_waitcnt lgkmcnt(1)
	ds_bpermute_b32 v4, v7, v0
	ds_bpermute_b32 v5, v7, v1
	s_waitcnt lgkmcnt(2)
	ds_bpermute_b32 v11, v7, v2
	ds_bpermute_b32 v12, v7, v3
	v_add_u32_e32 v13, 40, v8
	s_waitcnt lgkmcnt(2)
	v_add_f64 v[0:1], v[0:1], v[4:5]
	s_waitcnt lgkmcnt(0)
	v_add_f64 v[2:3], v[2:3], v[11:12]
	ds_bpermute_b32 v4, v9, v0
	ds_bpermute_b32 v5, v9, v1
	;; [unrolled: 1-line block ×4, first 2 shown]
	s_waitcnt lgkmcnt(2)
	v_add_f64 v[0:1], v[0:1], v[4:5]
	s_waitcnt lgkmcnt(0)
	v_add_f64 v[2:3], v[2:3], v[11:12]
	ds_bpermute_b32 v4, v10, v0
	ds_bpermute_b32 v5, v10, v1
	;; [unrolled: 1-line block ×4, first 2 shown]
	s_waitcnt lgkmcnt(2)
	v_add_f64 v[0:1], v[0:1], v[4:5]
	v_mov_b32_e32 v5, s5
	s_waitcnt lgkmcnt(0)
	v_add_f64 v[2:3], v[2:3], v[11:12]
	v_add_co_u32_e32 v4, vcc, s4, v13
	v_addc_co_u32_e32 v5, vcc, 0, v5, vcc
	v_cmp_gt_i64_e32 vcc, s[14:15], v[4:5]
	s_and_b64 s[18:19], s[2:3], vcc
	s_and_saveexec_b64 s[16:17], s[18:19]
	s_cbranch_execz .LBB32_129
; %bb.125:
	s_andn2_b64 vcc, exec, s[12:13]
	s_cbranch_vccnz .LBB32_127
; %bb.126:
	v_mov_b32_e32 v5, s5
	v_add_co_u32_e32 v4, vcc, s4, v8
	v_addc_co_u32_e32 v5, vcc, 0, v5, vcc
	v_lshlrev_b64 v[4:5], 3, v[4:5]
	v_mov_b32_e32 v11, s9
	v_add_co_u32_e32 v4, vcc, s8, v4
	v_addc_co_u32_e32 v5, vcc, v11, v5, vcc
	global_store_dwordx2 v[4:5], v[0:1], off offset:320
.LBB32_127:
	s_andn2_b64 vcc, exec, s[6:7]
	s_cbranch_vccnz .LBB32_129
; %bb.128:
	v_mov_b32_e32 v5, s5
	v_add_co_u32_e32 v4, vcc, s4, v8
	v_addc_co_u32_e32 v5, vcc, 0, v5, vcc
	v_lshlrev_b64 v[4:5], 3, v[4:5]
	v_mov_b32_e32 v11, s11
	v_add_co_u32_e32 v4, vcc, s10, v4
	v_addc_co_u32_e32 v5, vcc, v11, v5, vcc
	global_store_dwordx2 v[4:5], v[2:3], off offset:320
.LBB32_129:
	s_or_b64 exec, exec, s[16:17]
	v_cmp_gt_u32_e32 vcc, 16, v8
	s_and_b64 exec, exec, vcc
	s_cbranch_execz .LBB32_145
; %bb.130:
	s_and_saveexec_b64 s[16:17], s[0:1]
	s_cbranch_execz .LBB32_132
; %bb.131:
	v_add_u32_e32 v0, v8, v6
	v_lshl_add_u32 v2, v0, 3, 0
	ds_read_b64 v[0:1], v2 offset:384
	ds_read_b64 v[2:3], v2 offset:4544
.LBB32_132:
	s_or_b64 exec, exec, s[16:17]
	s_waitcnt lgkmcnt(1)
	ds_bpermute_b32 v4, v7, v0
	ds_bpermute_b32 v5, v7, v1
	s_waitcnt lgkmcnt(2)
	ds_bpermute_b32 v11, v7, v2
	ds_bpermute_b32 v12, v7, v3
	s_waitcnt lgkmcnt(2)
	v_add_f64 v[0:1], v[0:1], v[4:5]
	s_waitcnt lgkmcnt(0)
	v_add_f64 v[2:3], v[2:3], v[11:12]
	ds_bpermute_b32 v4, v9, v0
	ds_bpermute_b32 v5, v9, v1
	;; [unrolled: 1-line block ×4, first 2 shown]
	s_waitcnt lgkmcnt(2)
	v_add_f64 v[0:1], v[0:1], v[4:5]
	s_waitcnt lgkmcnt(0)
	v_add_f64 v[2:3], v[2:3], v[11:12]
	ds_bpermute_b32 v4, v10, v0
	ds_bpermute_b32 v5, v10, v1
	;; [unrolled: 1-line block ×4, first 2 shown]
	s_waitcnt lgkmcnt(2)
	v_add_f64 v[0:1], v[0:1], v[4:5]
	v_add_u32_e32 v4, 48, v8
	s_waitcnt lgkmcnt(0)
	v_add_f64 v[2:3], v[2:3], v[11:12]
	v_or_b32_e32 v4, s4, v4
	v_mov_b32_e32 v5, s5
	v_cmp_gt_i64_e32 vcc, s[14:15], v[4:5]
	s_and_b64 s[18:19], s[2:3], vcc
	s_and_saveexec_b64 s[16:17], s[18:19]
	s_cbranch_execz .LBB32_137
; %bb.133:
	s_andn2_b64 vcc, exec, s[12:13]
	s_cbranch_vccnz .LBB32_135
; %bb.134:
	v_mov_b32_e32 v5, s5
	v_add_co_u32_e32 v4, vcc, s4, v8
	v_addc_co_u32_e32 v5, vcc, 0, v5, vcc
	v_lshlrev_b64 v[4:5], 3, v[4:5]
	v_mov_b32_e32 v11, s9
	v_add_co_u32_e32 v4, vcc, s8, v4
	v_addc_co_u32_e32 v5, vcc, v11, v5, vcc
	global_store_dwordx2 v[4:5], v[0:1], off offset:384
.LBB32_135:
	s_andn2_b64 vcc, exec, s[6:7]
	s_cbranch_vccnz .LBB32_137
; %bb.136:
	v_mov_b32_e32 v5, s5
	v_add_co_u32_e32 v4, vcc, s4, v8
	v_addc_co_u32_e32 v5, vcc, 0, v5, vcc
	v_lshlrev_b64 v[4:5], 3, v[4:5]
	v_mov_b32_e32 v11, s11
	v_add_co_u32_e32 v4, vcc, s10, v4
	v_addc_co_u32_e32 v5, vcc, v11, v5, vcc
	global_store_dwordx2 v[4:5], v[2:3], off offset:384
.LBB32_137:
	s_or_b64 exec, exec, s[16:17]
	v_cmp_gt_u32_e32 vcc, 8, v8
	s_and_b64 exec, exec, vcc
	s_cbranch_execz .LBB32_145
; %bb.138:
	s_and_saveexec_b64 s[16:17], s[0:1]
	s_cbranch_execz .LBB32_140
; %bb.139:
	v_add_u32_e32 v0, v8, v6
	v_lshl_add_u32 v2, v0, 3, 0
	ds_read_b64 v[0:1], v2 offset:448
	ds_read_b64 v[2:3], v2 offset:4608
.LBB32_140:
	s_or_b64 exec, exec, s[16:17]
	s_waitcnt lgkmcnt(1)
	ds_bpermute_b32 v4, v7, v0
	ds_bpermute_b32 v5, v7, v1
	s_waitcnt lgkmcnt(2)
	ds_bpermute_b32 v6, v7, v2
	ds_bpermute_b32 v7, v7, v3
	s_waitcnt lgkmcnt(2)
	v_add_f64 v[0:1], v[0:1], v[4:5]
	s_waitcnt lgkmcnt(0)
	v_add_f64 v[2:3], v[2:3], v[6:7]
	ds_bpermute_b32 v4, v9, v0
	ds_bpermute_b32 v5, v9, v1
	;; [unrolled: 1-line block ×4, first 2 shown]
	v_add_u32_e32 v9, 56, v8
	v_or_b32_e32 v9, s4, v9
	s_waitcnt lgkmcnt(2)
	v_add_f64 v[4:5], v[0:1], v[4:5]
	s_waitcnt lgkmcnt(0)
	v_add_f64 v[0:1], v[2:3], v[6:7]
	ds_bpermute_b32 v6, v10, v4
	ds_bpermute_b32 v7, v10, v5
	;; [unrolled: 1-line block ×4, first 2 shown]
	v_mov_b32_e32 v10, s5
	v_cmp_gt_i64_e32 vcc, s[14:15], v[9:10]
	s_and_b64 s[0:1], s[2:3], vcc
	s_and_b64 exec, exec, s[0:1]
	s_cbranch_execz .LBB32_145
; %bb.141:
	s_andn2_b64 vcc, exec, s[12:13]
	s_cbranch_vccnz .LBB32_143
; %bb.142:
	s_waitcnt lgkmcnt(2)
	v_add_f64 v[4:5], v[4:5], v[6:7]
	v_mov_b32_e32 v7, s5
	v_add_co_u32_e32 v6, vcc, s4, v8
	v_addc_co_u32_e32 v7, vcc, 0, v7, vcc
	v_lshlrev_b64 v[6:7], 3, v[6:7]
	v_mov_b32_e32 v9, s9
	v_add_co_u32_e32 v6, vcc, s8, v6
	v_addc_co_u32_e32 v7, vcc, v9, v7, vcc
	global_store_dwordx2 v[6:7], v[4:5], off offset:448
.LBB32_143:
	s_andn2_b64 vcc, exec, s[6:7]
	s_cbranch_vccnz .LBB32_145
; %bb.144:
	s_waitcnt lgkmcnt(0)
	v_add_f64 v[0:1], v[0:1], v[2:3]
	v_mov_b32_e32 v3, s5
	v_add_co_u32_e32 v2, vcc, s4, v8
	v_addc_co_u32_e32 v3, vcc, 0, v3, vcc
	v_lshlrev_b64 v[2:3], 3, v[2:3]
	v_mov_b32_e32 v4, s11
	v_add_co_u32_e32 v2, vcc, s10, v2
	v_addc_co_u32_e32 v3, vcc, v4, v3, vcc
	global_store_dwordx2 v[2:3], v[0:1], off offset:448
.LBB32_145:
	s_endpgm
	.section	.rodata,"a",@progbits
	.p2align	6, 0x0
	.amdhsa_kernel _ZN2at6native12_GLOBAL__N_135GammaBetaBackwardCUDAKernelTemplateIddLj64ELj8ELj64ELb0ELb0ELb0EEEvllPKT_S5_PKT0_S8_PS3_S9_
		.amdhsa_group_segment_fixed_size 0
		.amdhsa_private_segment_fixed_size 0
		.amdhsa_kernarg_size 320
		.amdhsa_user_sgpr_count 6
		.amdhsa_user_sgpr_private_segment_buffer 1
		.amdhsa_user_sgpr_dispatch_ptr 0
		.amdhsa_user_sgpr_queue_ptr 0
		.amdhsa_user_sgpr_kernarg_segment_ptr 1
		.amdhsa_user_sgpr_dispatch_id 0
		.amdhsa_user_sgpr_flat_scratch_init 0
		.amdhsa_user_sgpr_private_segment_size 0
		.amdhsa_uses_dynamic_stack 0
		.amdhsa_system_sgpr_private_segment_wavefront_offset 0
		.amdhsa_system_sgpr_workgroup_id_x 1
		.amdhsa_system_sgpr_workgroup_id_y 1
		.amdhsa_system_sgpr_workgroup_id_z 0
		.amdhsa_system_sgpr_workgroup_info 0
		.amdhsa_system_vgpr_workitem_id 1
		.amdhsa_next_free_vgpr 115
		.amdhsa_next_free_sgpr 36
		.amdhsa_reserve_vcc 1
		.amdhsa_reserve_flat_scratch 0
		.amdhsa_float_round_mode_32 0
		.amdhsa_float_round_mode_16_64 0
		.amdhsa_float_denorm_mode_32 3
		.amdhsa_float_denorm_mode_16_64 3
		.amdhsa_dx10_clamp 1
		.amdhsa_ieee_mode 1
		.amdhsa_fp16_overflow 0
		.amdhsa_exception_fp_ieee_invalid_op 0
		.amdhsa_exception_fp_denorm_src 0
		.amdhsa_exception_fp_ieee_div_zero 0
		.amdhsa_exception_fp_ieee_overflow 0
		.amdhsa_exception_fp_ieee_underflow 0
		.amdhsa_exception_fp_ieee_inexact 0
		.amdhsa_exception_int_div_zero 0
	.end_amdhsa_kernel
	.section	.text._ZN2at6native12_GLOBAL__N_135GammaBetaBackwardCUDAKernelTemplateIddLj64ELj8ELj64ELb0ELb0ELb0EEEvllPKT_S5_PKT0_S8_PS3_S9_,"axG",@progbits,_ZN2at6native12_GLOBAL__N_135GammaBetaBackwardCUDAKernelTemplateIddLj64ELj8ELj64ELb0ELb0ELb0EEEvllPKT_S5_PKT0_S8_PS3_S9_,comdat
.Lfunc_end32:
	.size	_ZN2at6native12_GLOBAL__N_135GammaBetaBackwardCUDAKernelTemplateIddLj64ELj8ELj64ELb0ELb0ELb0EEEvllPKT_S5_PKT0_S8_PS3_S9_, .Lfunc_end32-_ZN2at6native12_GLOBAL__N_135GammaBetaBackwardCUDAKernelTemplateIddLj64ELj8ELj64ELb0ELb0ELb0EEEvllPKT_S5_PKT0_S8_PS3_S9_
                                        ; -- End function
	.set _ZN2at6native12_GLOBAL__N_135GammaBetaBackwardCUDAKernelTemplateIddLj64ELj8ELj64ELb0ELb0ELb0EEEvllPKT_S5_PKT0_S8_PS3_S9_.num_vgpr, 115
	.set _ZN2at6native12_GLOBAL__N_135GammaBetaBackwardCUDAKernelTemplateIddLj64ELj8ELj64ELb0ELb0ELb0EEEvllPKT_S5_PKT0_S8_PS3_S9_.num_agpr, 0
	.set _ZN2at6native12_GLOBAL__N_135GammaBetaBackwardCUDAKernelTemplateIddLj64ELj8ELj64ELb0ELb0ELb0EEEvllPKT_S5_PKT0_S8_PS3_S9_.numbered_sgpr, 36
	.set _ZN2at6native12_GLOBAL__N_135GammaBetaBackwardCUDAKernelTemplateIddLj64ELj8ELj64ELb0ELb0ELb0EEEvllPKT_S5_PKT0_S8_PS3_S9_.num_named_barrier, 0
	.set _ZN2at6native12_GLOBAL__N_135GammaBetaBackwardCUDAKernelTemplateIddLj64ELj8ELj64ELb0ELb0ELb0EEEvllPKT_S5_PKT0_S8_PS3_S9_.private_seg_size, 0
	.set _ZN2at6native12_GLOBAL__N_135GammaBetaBackwardCUDAKernelTemplateIddLj64ELj8ELj64ELb0ELb0ELb0EEEvllPKT_S5_PKT0_S8_PS3_S9_.uses_vcc, 1
	.set _ZN2at6native12_GLOBAL__N_135GammaBetaBackwardCUDAKernelTemplateIddLj64ELj8ELj64ELb0ELb0ELb0EEEvllPKT_S5_PKT0_S8_PS3_S9_.uses_flat_scratch, 0
	.set _ZN2at6native12_GLOBAL__N_135GammaBetaBackwardCUDAKernelTemplateIddLj64ELj8ELj64ELb0ELb0ELb0EEEvllPKT_S5_PKT0_S8_PS3_S9_.has_dyn_sized_stack, 0
	.set _ZN2at6native12_GLOBAL__N_135GammaBetaBackwardCUDAKernelTemplateIddLj64ELj8ELj64ELb0ELb0ELb0EEEvllPKT_S5_PKT0_S8_PS3_S9_.has_recursion, 0
	.set _ZN2at6native12_GLOBAL__N_135GammaBetaBackwardCUDAKernelTemplateIddLj64ELj8ELj64ELb0ELb0ELb0EEEvllPKT_S5_PKT0_S8_PS3_S9_.has_indirect_call, 0
	.section	.AMDGPU.csdata,"",@progbits
; Kernel info:
; codeLenInByte = 10896
; TotalNumSgprs: 40
; NumVgprs: 115
; ScratchSize: 0
; MemoryBound: 0
; FloatMode: 240
; IeeeMode: 1
; LDSByteSize: 0 bytes/workgroup (compile time only)
; SGPRBlocks: 4
; VGPRBlocks: 28
; NumSGPRsForWavesPerEU: 40
; NumVGPRsForWavesPerEU: 115
; Occupancy: 2
; WaveLimiterHint : 0
; COMPUTE_PGM_RSRC2:SCRATCH_EN: 0
; COMPUTE_PGM_RSRC2:USER_SGPR: 6
; COMPUTE_PGM_RSRC2:TRAP_HANDLER: 0
; COMPUTE_PGM_RSRC2:TGID_X_EN: 1
; COMPUTE_PGM_RSRC2:TGID_Y_EN: 1
; COMPUTE_PGM_RSRC2:TGID_Z_EN: 0
; COMPUTE_PGM_RSRC2:TIDIG_COMP_CNT: 1
	.section	.text._ZN2at6native12_GLOBAL__N_135GammaBetaBackwardCUDAKernelTemplateIddLj64ELj16ELj128ELb0ELb1ELb0EEEvllPKT_S5_PKT0_S8_PS3_S9_,"axG",@progbits,_ZN2at6native12_GLOBAL__N_135GammaBetaBackwardCUDAKernelTemplateIddLj64ELj16ELj128ELb0ELb1ELb0EEEvllPKT_S5_PKT0_S8_PS3_S9_,comdat
	.globl	_ZN2at6native12_GLOBAL__N_135GammaBetaBackwardCUDAKernelTemplateIddLj64ELj16ELj128ELb0ELb1ELb0EEEvllPKT_S5_PKT0_S8_PS3_S9_ ; -- Begin function _ZN2at6native12_GLOBAL__N_135GammaBetaBackwardCUDAKernelTemplateIddLj64ELj16ELj128ELb0ELb1ELb0EEEvllPKT_S5_PKT0_S8_PS3_S9_
	.p2align	8
	.type	_ZN2at6native12_GLOBAL__N_135GammaBetaBackwardCUDAKernelTemplateIddLj64ELj16ELj128ELb0ELb1ELb0EEEvllPKT_S5_PKT0_S8_PS3_S9_,@function
_ZN2at6native12_GLOBAL__N_135GammaBetaBackwardCUDAKernelTemplateIddLj64ELj16ELj128ELb0ELb1ELb0EEEvllPKT_S5_PKT0_S8_PS3_S9_: ; @_ZN2at6native12_GLOBAL__N_135GammaBetaBackwardCUDAKernelTemplateIddLj64ELj16ELj128ELb0ELb1ELb0EEEvllPKT_S5_PKT0_S8_PS3_S9_
; %bb.0:
	s_load_dwordx4 s[20:23], s[4:5], 0x0
	s_lshl_b32 s24, s7, 7
	s_mov_b32 s25, 0
	v_mov_b32_e32 v2, s24
	v_mov_b32_e32 v3, s25
	s_waitcnt lgkmcnt(0)
	v_cmp_gt_i64_e32 vcc, s[20:21], v[2:3]
	s_cbranch_vccnz .LBB33_2
; %bb.1:
	s_mov_b64 s[0:1], 0
	s_branch .LBB33_3
.LBB33_2:
	s_mov_b64 s[0:1], -1
.LBB33_3:
	s_load_dwordx4 s[16:19], s[4:5], 0x30
	v_mov_b32_e32 v8, 0
	v_mov_b32_e32 v12, 0
	;; [unrolled: 1-line block ×3, first 2 shown]
	s_andn2_b64 vcc, exec, s[0:1]
	v_mov_b32_e32 v13, 0
	v_mbcnt_lo_u32_b32 v24, -1, 0
	s_cbranch_vccnz .LBB33_10
; %bb.4:
	s_load_dword s0, s[4:5], 0x4c
	s_load_dword s2, s[4:5], 0x44
	s_load_dwordx8 s[8:15], s[4:5], 0x10
	v_lshlrev_b32_e32 v2, 3, v1
	v_mbcnt_hi_u32_b32 v4, -1, v24
	v_lshlrev_b32_e32 v4, 2, v4
	v_add_co_u32_e32 v2, vcc, s24, v2
	v_and_b32_e32 v25, 0x100, v4
	s_waitcnt lgkmcnt(0)
	s_lshl_b32 s4, s2, 7
	v_addc_co_u32_e64 v4, s[2:3], 0, 0, vcc
	v_mul_lo_u32 v10, s23, v2
	v_mul_lo_u32 v11, s22, v4
	v_mad_u64_u32 v[8:9], s[2:3], s22, v2, 0
	s_and_b32 s0, s0, 0xffff
	v_mad_u32_u24 v3, v1, s0, v0
	v_and_b32_e32 v3, 63, v3
	v_mov_b32_e32 v7, 0
	v_lshl_add_u32 v6, s6, 6, v0
	v_add3_u32 v9, v9, v11, v10
	v_add_co_u32_e32 v2, vcc, v2, v3
	v_lshlrev_b64 v[8:9], 3, v[8:9]
	v_lshlrev_b64 v[6:7], 3, v[6:7]
	v_cmp_gt_u32_e64 s[0:1], 8, v3
	v_addc_co_u32_e32 v3, vcc, 0, v4, vcc
	v_add_co_u32_e32 v32, vcc, v8, v6
	s_mul_i32 s2, s23, s4
	s_mul_hi_u32 s3, s22, s4
	s_mov_b32 s5, 0
	v_lshlrev_b64 v[4:5], 3, v[2:3]
	v_addc_co_u32_e32 v33, vcc, v9, v7, vcc
	s_add_i32 s3, s3, s2
	s_mul_i32 s2, s22, s4
	v_mov_b32_e32 v12, 0
	v_mov_b32_e32 v8, 0
	v_or_b32_e32 v26, 4, v25
	v_or_b32_e32 v27, 8, v25
	;; [unrolled: 1-line block ×6, first 2 shown]
	s_lshl_b64 s[26:27], s[4:5], 3
	s_lshl_b64 s[28:29], s[2:3], 3
	;; [unrolled: 1-line block ×3, first 2 shown]
	v_mov_b32_e32 v13, 0
	v_mov_b32_e32 v9, 0
	v_or_b32_e32 v34, 28, v25
	s_branch .LBB33_7
.LBB33_5:                               ;   in Loop: Header=BB33_7 Depth=1
	s_or_b64 exec, exec, s[30:31]
.LBB33_6:                               ;   in Loop: Header=BB33_7 Depth=1
	s_or_b64 exec, exec, s[2:3]
	v_mov_b32_e32 v15, s11
	v_add_co_u32_e32 v14, vcc, s10, v32
	v_addc_co_u32_e32 v15, vcc, v15, v33, vcc
	global_load_dwordx2 v[16:17], v[14:15], off
	v_mov_b32_e32 v19, s9
	v_add_co_u32_e32 v18, vcc, s8, v32
	v_mov_b32_e32 v35, s23
	v_add_co_u32_e64 v20, s[2:3], s22, v14
	v_addc_co_u32_e64 v21, s[2:3], v15, v35, s[2:3]
	v_addc_co_u32_e32 v19, vcc, v19, v33, vcc
	global_load_dwordx2 v[36:37], v[20:21], off
	global_load_dwordx2 v[22:23], v[18:19], off
	v_add_co_u32_e32 v18, vcc, s22, v18
	v_addc_co_u32_e32 v19, vcc, v19, v35, vcc
	global_load_dwordx2 v[14:15], v[18:19], off
	s_waitcnt vmcnt(5)
	ds_bpermute_b32 v38, v25, v10
	ds_bpermute_b32 v39, v25, v11
	v_add_co_u32_e32 v18, vcc, s22, v18
	v_addc_co_u32_e32 v19, vcc, v19, v35, vcc
	v_add_co_u32_e32 v20, vcc, s22, v20
	v_addc_co_u32_e32 v21, vcc, v21, v35, vcc
	s_waitcnt vmcnt(4)
	ds_bpermute_b32 v40, v28, v6
	ds_bpermute_b32 v41, v28, v7
	;; [unrolled: 1-line block ×4, first 2 shown]
	s_add_u32 s24, s24, s4
	s_addc_u32 s25, s25, 0
	v_add_co_u32_e64 v32, s[2:3], s28, v32
	s_waitcnt vmcnt(3) lgkmcnt(4)
	v_add_f64 v[16:17], v[16:17], -v[38:39]
	ds_bpermute_b32 v38, v26, v10
	ds_bpermute_b32 v39, v26, v11
	s_waitcnt vmcnt(2) lgkmcnt(0)
	v_add_f64 v[36:37], v[36:37], -v[38:39]
	s_waitcnt vmcnt(1)
	v_mul_f64 v[16:17], v[22:23], v[16:17]
	ds_bpermute_b32 v38, v25, v6
	ds_bpermute_b32 v39, v25, v7
	v_add_f64 v[8:9], v[8:9], v[22:23]
	s_waitcnt vmcnt(0)
	v_mul_f64 v[36:37], v[14:15], v[36:37]
	s_waitcnt lgkmcnt(0)
	v_fma_f64 v[12:13], v[16:17], v[38:39], v[12:13]
	global_load_dwordx2 v[16:17], v[20:21], off
	ds_bpermute_b32 v38, v26, v6
	ds_bpermute_b32 v39, v26, v7
	v_add_f64 v[8:9], v[8:9], v[14:15]
	s_waitcnt lgkmcnt(0)
	v_fma_f64 v[36:37], v[36:37], v[38:39], v[12:13]
	global_load_dwordx2 v[12:13], v[18:19], off
	ds_bpermute_b32 v38, v27, v10
	ds_bpermute_b32 v39, v27, v11
	s_waitcnt vmcnt(1) lgkmcnt(0)
	v_add_f64 v[16:17], v[16:17], -v[38:39]
	v_add_co_u32_e32 v38, vcc, s22, v20
	v_addc_co_u32_e32 v39, vcc, v21, v35, vcc
	ds_bpermute_b32 v20, v27, v6
	ds_bpermute_b32 v21, v27, v7
	v_add_co_u32_e32 v18, vcc, s22, v18
	s_waitcnt vmcnt(0)
	v_mul_f64 v[16:17], v[12:13], v[16:17]
	v_addc_co_u32_e32 v19, vcc, v19, v35, vcc
	v_add_f64 v[8:9], v[8:9], v[12:13]
	s_waitcnt lgkmcnt(0)
	v_fma_f64 v[16:17], v[16:17], v[20:21], v[36:37]
	global_load_dwordx2 v[20:21], v[38:39], off
	ds_bpermute_b32 v36, v28, v10
	ds_bpermute_b32 v37, v28, v11
	s_waitcnt vmcnt(0) lgkmcnt(0)
	v_add_f64 v[36:37], v[20:21], -v[36:37]
	global_load_dwordx2 v[20:21], v[18:19], off
	s_waitcnt vmcnt(0)
	v_mul_f64 v[36:37], v[20:21], v[36:37]
	v_add_f64 v[8:9], v[8:9], v[20:21]
	v_fma_f64 v[16:17], v[36:37], v[40:41], v[16:17]
	v_add_co_u32_e32 v36, vcc, s22, v18
	v_addc_co_u32_e32 v37, vcc, v19, v35, vcc
	v_add_co_u32_e32 v38, vcc, s22, v38
	v_addc_co_u32_e32 v39, vcc, v39, v35, vcc
	global_load_dwordx2 v[40:41], v[38:39], off
	ds_bpermute_b32 v18, v29, v10
	ds_bpermute_b32 v19, v29, v11
	v_add_co_u32_e32 v22, vcc, s22, v36
	v_addc_co_u32_e32 v23, vcc, v37, v35, vcc
	s_waitcnt vmcnt(0) lgkmcnt(0)
	v_add_f64 v[40:41], v[40:41], -v[18:19]
	global_load_dwordx2 v[18:19], v[36:37], off
	v_add_co_u32_e32 v36, vcc, s22, v38
	v_addc_co_u32_e32 v37, vcc, v39, v35, vcc
	v_add_co_u32_e32 v14, vcc, s22, v36
	v_addc_co_u32_e32 v15, vcc, v37, v35, vcc
	global_load_dwordx2 v[36:37], v[36:37], off
	v_add_co_u32_e32 v12, vcc, s22, v14
	v_addc_co_u32_e32 v13, vcc, v15, v35, vcc
	v_add_co_u32_e32 v38, vcc, s22, v22
	global_load_dwordx2 v[14:15], v[14:15], off
	v_addc_co_u32_e32 v39, vcc, v23, v35, vcc
	global_load_dwordx2 v[22:23], v[22:23], off
	v_add_co_u32_e32 v20, vcc, s22, v38
	v_addc_co_u32_e32 v21, vcc, v39, v35, vcc
	global_load_dwordx2 v[12:13], v[12:13], off
	s_nop 0
	global_load_dwordx2 v[38:39], v[38:39], off
	s_nop 0
	global_load_dwordx2 v[20:21], v[20:21], off
	ds_bpermute_b32 v35, v30, v6
	v_add_co_u32_e32 v4, vcc, s26, v4
	s_waitcnt vmcnt(6)
	v_mul_f64 v[40:41], v[18:19], v[40:41]
	v_add_f64 v[8:9], v[8:9], v[18:19]
	v_fma_f64 v[16:17], v[40:41], v[42:43], v[16:17]
	ds_bpermute_b32 v40, v30, v10
	ds_bpermute_b32 v41, v30, v11
	;; [unrolled: 1-line block ×6, first 2 shown]
	s_waitcnt vmcnt(5) lgkmcnt(4)
	v_add_f64 v[36:37], v[36:37], -v[40:41]
	s_waitcnt vmcnt(4) lgkmcnt(2)
	v_add_f64 v[14:15], v[14:15], -v[42:43]
	s_waitcnt vmcnt(3)
	v_add_f64 v[8:9], v[8:9], v[22:23]
	s_waitcnt vmcnt(2) lgkmcnt(0)
	v_add_f64 v[10:11], v[12:13], -v[10:11]
	v_mul_f64 v[18:19], v[22:23], v[36:37]
	ds_bpermute_b32 v36, v30, v7
	s_waitcnt vmcnt(1)
	v_mul_f64 v[12:13], v[38:39], v[14:15]
	v_add_f64 v[8:9], v[8:9], v[38:39]
	s_waitcnt vmcnt(0)
	v_mul_f64 v[10:11], v[20:21], v[10:11]
	s_waitcnt lgkmcnt(0)
	v_fma_f64 v[14:15], v[18:19], v[35:36], v[16:17]
	ds_bpermute_b32 v16, v31, v6
	ds_bpermute_b32 v17, v31, v7
	;; [unrolled: 1-line block ×4, first 2 shown]
	v_add_f64 v[8:9], v[8:9], v[20:21]
	v_mov_b32_e32 v18, s27
	v_addc_co_u32_e32 v5, vcc, v5, v18, vcc
	s_waitcnt lgkmcnt(2)
	v_fma_f64 v[12:13], v[12:13], v[16:17], v[14:15]
	v_add_co_u32_e32 v2, vcc, s4, v2
	v_addc_co_u32_e32 v3, vcc, 0, v3, vcc
	s_waitcnt lgkmcnt(0)
	v_fma_f64 v[12:13], v[10:11], v[6:7], v[12:13]
	v_mov_b32_e32 v6, s20
	v_mov_b32_e32 v7, s21
	v_cmp_lt_i64_e32 vcc, s[24:25], v[6:7]
	v_mov_b32_e32 v10, s29
	v_addc_co_u32_e64 v33, s[2:3], v33, v10, s[2:3]
	s_cbranch_vccz .LBB33_10
.LBB33_7:                               ; =>This Inner Loop Header: Depth=1
	v_mov_b32_e32 v6, 0
	v_mov_b32_e32 v10, 0
	;; [unrolled: 1-line block ×4, first 2 shown]
	s_and_saveexec_b64 s[2:3], s[0:1]
	s_cbranch_execz .LBB33_6
; %bb.8:                                ;   in Loop: Header=BB33_7 Depth=1
	v_cmp_gt_i64_e32 vcc, s[20:21], v[2:3]
	v_mov_b32_e32 v10, 0
	v_mov_b32_e32 v6, 0
	;; [unrolled: 1-line block ×4, first 2 shown]
	s_and_saveexec_b64 s[30:31], vcc
	s_cbranch_execz .LBB33_5
; %bb.9:                                ;   in Loop: Header=BB33_7 Depth=1
	v_mov_b32_e32 v6, s15
	v_add_co_u32_e32 v14, vcc, s14, v4
	v_addc_co_u32_e32 v15, vcc, v6, v5, vcc
	v_mov_b32_e32 v6, s13
	v_add_co_u32_e32 v16, vcc, s12, v4
	v_addc_co_u32_e32 v17, vcc, v6, v5, vcc
	global_load_dwordx2 v[10:11], v[16:17], off
	global_load_dwordx2 v[6:7], v[14:15], off
	s_branch .LBB33_5
.LBB33_10:
	s_movk_i32 s0, 0x41
	v_mad_u32_u24 v2, v1, s0, v0
	v_lshl_add_u32 v2, v2, 3, 0
	ds_write_b64 v2, v[12:13]
	ds_write_b64 v2, v[8:9] offset:8320
	v_lshrrev_b32_e32 v2, 6, v0
	v_add_u32_e32 v8, v2, v1
	v_cmp_gt_u32_e32 vcc, 64, v8
	s_waitcnt lgkmcnt(0)
	s_barrier
	s_and_saveexec_b64 s[0:1], vcc
	s_cbranch_execz .LBB33_42
; %bb.11:
	v_and_b32_e32 v1, 63, v0
	v_cmp_gt_u32_e64 s[0:1], 16, v1
	v_mul_u32_u24_e32 v7, 0x41, v1
                                        ; implicit-def: $vgpr1_vgpr2
                                        ; implicit-def: $vgpr3_vgpr4
	s_and_saveexec_b64 s[2:3], s[0:1]
	s_cbranch_execz .LBB33_13
; %bb.12:
	v_add_u32_e32 v1, v8, v7
	v_lshl_add_u32 v1, v1, 3, 0
	ds_read_b64 v[3:4], v1
	ds_read_b64 v[1:2], v1 offset:8320
.LBB33_13:
	s_or_b64 exec, exec, s[2:3]
	v_mbcnt_hi_u32_b32 v14, -1, v24
	v_and_b32_e32 v5, 64, v14
	v_add_u32_e32 v15, 64, v5
	v_xor_b32_e32 v5, 8, v14
	v_cmp_lt_i32_e32 vcc, v5, v15
	v_cndmask_b32_e32 v5, v14, v5, vcc
	v_lshlrev_b32_e32 v9, 2, v5
	s_waitcnt lgkmcnt(1)
	ds_bpermute_b32 v5, v9, v3
	ds_bpermute_b32 v6, v9, v4
	s_waitcnt lgkmcnt(2)
	ds_bpermute_b32 v10, v9, v1
	ds_bpermute_b32 v11, v9, v2
	s_mov_b32 s7, 0
	s_lshl_b64 s[4:5], s[6:7], 6
	s_waitcnt lgkmcnt(2)
	v_add_f64 v[3:4], v[3:4], v[5:6]
	v_xor_b32_e32 v5, 4, v14
	s_waitcnt lgkmcnt(0)
	v_add_f64 v[1:2], v[1:2], v[10:11]
	v_cmp_lt_i32_e32 vcc, v5, v15
	v_cndmask_b32_e32 v5, v14, v5, vcc
	v_lshlrev_b32_e32 v10, 2, v5
	s_cmp_lg_u64 s[16:17], 0
	s_cselect_b64 s[8:9], -1, 0
	ds_bpermute_b32 v5, v10, v3
	ds_bpermute_b32 v6, v10, v4
	;; [unrolled: 1-line block ×4, first 2 shown]
	s_cmp_lg_u64 s[18:19], 0
	v_cmp_eq_u32_e64 s[2:3], 0, v0
	s_waitcnt lgkmcnt(2)
	v_add_f64 v[3:4], v[3:4], v[5:6]
	v_xor_b32_e32 v5, 2, v14
	s_waitcnt lgkmcnt(0)
	v_add_f64 v[1:2], v[1:2], v[11:12]
	v_cmp_lt_i32_e32 vcc, v5, v15
	v_cndmask_b32_e32 v5, v14, v5, vcc
	v_lshlrev_b32_e32 v11, 2, v5
	s_cselect_b64 s[6:7], -1, 0
	ds_bpermute_b32 v5, v11, v3
	ds_bpermute_b32 v6, v11, v4
	ds_bpermute_b32 v12, v11, v1
	ds_bpermute_b32 v13, v11, v2
	s_waitcnt lgkmcnt(2)
	v_add_f64 v[3:4], v[3:4], v[5:6]
	s_waitcnt lgkmcnt(0)
	v_add_f64 v[5:6], v[1:2], v[12:13]
	v_xor_b32_e32 v1, 1, v14
	v_cmp_lt_i32_e32 vcc, v1, v15
	v_cndmask_b32_e32 v1, v14, v1, vcc
	v_lshlrev_b32_e32 v12, 2, v1
	ds_bpermute_b32 v1, v12, v3
	ds_bpermute_b32 v2, v12, v4
	;; [unrolled: 1-line block ×4, first 2 shown]
	s_waitcnt lgkmcnt(2)
	v_add_f64 v[1:2], v[3:4], v[1:2]
	s_waitcnt lgkmcnt(0)
	v_add_f64 v[3:4], v[5:6], v[13:14]
	s_and_saveexec_b64 s[10:11], s[2:3]
	s_cbranch_execz .LBB33_18
; %bb.14:
	v_mov_b32_e32 v6, s5
	v_or_b32_e32 v5, s4, v8
	v_lshlrev_b64 v[5:6], 3, v[5:6]
	s_andn2_b64 vcc, exec, s[8:9]
	s_cbranch_vccnz .LBB33_16
; %bb.15:
	v_mov_b32_e32 v0, s17
	v_add_co_u32_e32 v13, vcc, s16, v5
	v_addc_co_u32_e32 v14, vcc, v0, v6, vcc
	global_store_dwordx2 v[13:14], v[1:2], off
.LBB33_16:
	s_andn2_b64 vcc, exec, s[6:7]
	s_cbranch_vccnz .LBB33_18
; %bb.17:
	v_mov_b32_e32 v0, s19
	v_add_co_u32_e32 v5, vcc, s18, v5
	v_addc_co_u32_e32 v6, vcc, v0, v6, vcc
	global_store_dwordx2 v[5:6], v[3:4], off
.LBB33_18:
	s_or_b64 exec, exec, s[10:11]
	v_cmp_gt_u32_e32 vcc, 48, v8
	s_and_b64 exec, exec, vcc
	s_cbranch_execz .LBB33_42
; %bb.19:
	s_and_saveexec_b64 s[10:11], s[0:1]
	s_cbranch_execz .LBB33_21
; %bb.20:
	v_add_u32_e32 v0, v8, v7
	v_lshl_add_u32 v0, v0, 3, 0
	ds_read_b64 v[1:2], v0 offset:128
	ds_read_b64 v[3:4], v0 offset:8448
.LBB33_21:
	s_or_b64 exec, exec, s[10:11]
	s_waitcnt lgkmcnt(1)
	ds_bpermute_b32 v5, v9, v1
	ds_bpermute_b32 v6, v9, v2
	s_waitcnt lgkmcnt(2)
	ds_bpermute_b32 v13, v9, v3
	ds_bpermute_b32 v14, v9, v4
	s_waitcnt lgkmcnt(2)
	v_add_f64 v[0:1], v[1:2], v[5:6]
	s_waitcnt lgkmcnt(0)
	v_add_f64 v[2:3], v[3:4], v[13:14]
	ds_bpermute_b32 v4, v10, v0
	ds_bpermute_b32 v5, v10, v1
	ds_bpermute_b32 v13, v10, v2
	ds_bpermute_b32 v14, v10, v3
	s_waitcnt lgkmcnt(2)
	v_add_f64 v[0:1], v[0:1], v[4:5]
	s_waitcnt lgkmcnt(0)
	v_add_f64 v[2:3], v[2:3], v[13:14]
	ds_bpermute_b32 v4, v11, v0
	ds_bpermute_b32 v5, v11, v1
	;; [unrolled: 8-line block ×3, first 2 shown]
	ds_bpermute_b32 v13, v12, v2
	ds_bpermute_b32 v14, v12, v3
	s_waitcnt lgkmcnt(2)
	v_add_f64 v[0:1], v[0:1], v[4:5]
	s_waitcnt lgkmcnt(0)
	v_add_f64 v[2:3], v[2:3], v[13:14]
	s_and_saveexec_b64 s[10:11], s[2:3]
	s_cbranch_execz .LBB33_26
; %bb.22:
	s_andn2_b64 vcc, exec, s[8:9]
	s_cbranch_vccnz .LBB33_24
; %bb.23:
	v_mov_b32_e32 v5, s5
	v_add_co_u32_e32 v4, vcc, s4, v8
	v_addc_co_u32_e32 v5, vcc, 0, v5, vcc
	v_lshlrev_b64 v[4:5], 3, v[4:5]
	v_mov_b32_e32 v6, s17
	v_add_co_u32_e32 v4, vcc, s16, v4
	v_addc_co_u32_e32 v5, vcc, v6, v5, vcc
	global_store_dwordx2 v[4:5], v[0:1], off offset:128
.LBB33_24:
	s_andn2_b64 vcc, exec, s[6:7]
	s_cbranch_vccnz .LBB33_26
; %bb.25:
	v_mov_b32_e32 v5, s5
	v_add_co_u32_e32 v4, vcc, s4, v8
	v_addc_co_u32_e32 v5, vcc, 0, v5, vcc
	v_lshlrev_b64 v[4:5], 3, v[4:5]
	v_mov_b32_e32 v6, s19
	v_add_co_u32_e32 v4, vcc, s18, v4
	v_addc_co_u32_e32 v5, vcc, v6, v5, vcc
	global_store_dwordx2 v[4:5], v[2:3], off offset:128
.LBB33_26:
	s_or_b64 exec, exec, s[10:11]
	v_cmp_gt_u32_e32 vcc, 32, v8
	s_and_b64 exec, exec, vcc
	s_cbranch_execz .LBB33_42
; %bb.27:
	s_and_saveexec_b64 s[10:11], s[0:1]
	s_cbranch_execz .LBB33_29
; %bb.28:
	v_add_u32_e32 v0, v8, v7
	v_lshl_add_u32 v2, v0, 3, 0
	ds_read_b64 v[0:1], v2 offset:256
	ds_read_b64 v[2:3], v2 offset:8576
.LBB33_29:
	s_or_b64 exec, exec, s[10:11]
	s_waitcnt lgkmcnt(1)
	ds_bpermute_b32 v4, v9, v0
	ds_bpermute_b32 v5, v9, v1
	s_waitcnt lgkmcnt(2)
	ds_bpermute_b32 v13, v9, v2
	ds_bpermute_b32 v14, v9, v3
	s_waitcnt lgkmcnt(2)
	v_add_f64 v[0:1], v[0:1], v[4:5]
	s_waitcnt lgkmcnt(0)
	v_add_f64 v[2:3], v[2:3], v[13:14]
	ds_bpermute_b32 v4, v10, v0
	ds_bpermute_b32 v5, v10, v1
	ds_bpermute_b32 v13, v10, v2
	ds_bpermute_b32 v14, v10, v3
	s_waitcnt lgkmcnt(2)
	v_add_f64 v[0:1], v[0:1], v[4:5]
	s_waitcnt lgkmcnt(0)
	v_add_f64 v[2:3], v[2:3], v[13:14]
	ds_bpermute_b32 v4, v11, v0
	ds_bpermute_b32 v5, v11, v1
	;; [unrolled: 8-line block ×3, first 2 shown]
	ds_bpermute_b32 v13, v12, v2
	ds_bpermute_b32 v14, v12, v3
	s_waitcnt lgkmcnt(2)
	v_add_f64 v[0:1], v[0:1], v[4:5]
	s_waitcnt lgkmcnt(0)
	v_add_f64 v[2:3], v[2:3], v[13:14]
	s_and_saveexec_b64 s[10:11], s[2:3]
	s_cbranch_execz .LBB33_34
; %bb.30:
	s_andn2_b64 vcc, exec, s[8:9]
	s_cbranch_vccnz .LBB33_32
; %bb.31:
	v_mov_b32_e32 v5, s5
	v_add_co_u32_e32 v4, vcc, s4, v8
	v_addc_co_u32_e32 v5, vcc, 0, v5, vcc
	v_lshlrev_b64 v[4:5], 3, v[4:5]
	v_mov_b32_e32 v6, s17
	v_add_co_u32_e32 v4, vcc, s16, v4
	v_addc_co_u32_e32 v5, vcc, v6, v5, vcc
	global_store_dwordx2 v[4:5], v[0:1], off offset:256
.LBB33_32:
	s_andn2_b64 vcc, exec, s[6:7]
	s_cbranch_vccnz .LBB33_34
; %bb.33:
	v_mov_b32_e32 v5, s5
	v_add_co_u32_e32 v4, vcc, s4, v8
	v_addc_co_u32_e32 v5, vcc, 0, v5, vcc
	v_lshlrev_b64 v[4:5], 3, v[4:5]
	v_mov_b32_e32 v6, s19
	v_add_co_u32_e32 v4, vcc, s18, v4
	v_addc_co_u32_e32 v5, vcc, v6, v5, vcc
	global_store_dwordx2 v[4:5], v[2:3], off offset:256
.LBB33_34:
	s_or_b64 exec, exec, s[10:11]
	v_cmp_gt_u32_e32 vcc, 16, v8
	s_and_b64 exec, exec, vcc
	s_cbranch_execz .LBB33_42
; %bb.35:
	s_and_saveexec_b64 s[10:11], s[0:1]
	s_cbranch_execz .LBB33_37
; %bb.36:
	v_add_u32_e32 v0, v8, v7
	v_lshl_add_u32 v2, v0, 3, 0
	ds_read_b64 v[0:1], v2 offset:384
	ds_read_b64 v[2:3], v2 offset:8704
.LBB33_37:
	s_or_b64 exec, exec, s[10:11]
	s_waitcnt lgkmcnt(1)
	ds_bpermute_b32 v4, v9, v0
	ds_bpermute_b32 v5, v9, v1
	s_waitcnt lgkmcnt(2)
	ds_bpermute_b32 v6, v9, v2
	ds_bpermute_b32 v7, v9, v3
	s_waitcnt lgkmcnt(2)
	v_add_f64 v[0:1], v[0:1], v[4:5]
	s_waitcnt lgkmcnt(0)
	v_add_f64 v[2:3], v[2:3], v[6:7]
	ds_bpermute_b32 v4, v10, v0
	ds_bpermute_b32 v5, v10, v1
	ds_bpermute_b32 v6, v10, v2
	ds_bpermute_b32 v7, v10, v3
	s_waitcnt lgkmcnt(2)
	v_add_f64 v[0:1], v[0:1], v[4:5]
	s_waitcnt lgkmcnt(0)
	v_add_f64 v[2:3], v[2:3], v[6:7]
	ds_bpermute_b32 v4, v11, v0
	ds_bpermute_b32 v5, v11, v1
	;; [unrolled: 8-line block ×3, first 2 shown]
	ds_bpermute_b32 v2, v12, v0
	ds_bpermute_b32 v3, v12, v1
	s_and_b64 exec, exec, s[2:3]
	s_cbranch_execz .LBB33_42
; %bb.38:
	s_andn2_b64 vcc, exec, s[8:9]
	s_cbranch_vccnz .LBB33_40
; %bb.39:
	s_waitcnt lgkmcnt(2)
	v_add_f64 v[4:5], v[4:5], v[6:7]
	v_mov_b32_e32 v7, s5
	v_add_co_u32_e32 v6, vcc, s4, v8
	v_addc_co_u32_e32 v7, vcc, 0, v7, vcc
	v_lshlrev_b64 v[6:7], 3, v[6:7]
	v_mov_b32_e32 v9, s17
	v_add_co_u32_e32 v6, vcc, s16, v6
	v_addc_co_u32_e32 v7, vcc, v9, v7, vcc
	global_store_dwordx2 v[6:7], v[4:5], off offset:384
.LBB33_40:
	s_andn2_b64 vcc, exec, s[6:7]
	s_cbranch_vccnz .LBB33_42
; %bb.41:
	s_waitcnt lgkmcnt(0)
	v_add_f64 v[0:1], v[0:1], v[2:3]
	v_mov_b32_e32 v3, s5
	v_add_co_u32_e32 v2, vcc, s4, v8
	v_addc_co_u32_e32 v3, vcc, 0, v3, vcc
	v_lshlrev_b64 v[2:3], 3, v[2:3]
	v_mov_b32_e32 v4, s19
	v_add_co_u32_e32 v2, vcc, s18, v2
	v_addc_co_u32_e32 v3, vcc, v4, v3, vcc
	global_store_dwordx2 v[2:3], v[0:1], off offset:384
.LBB33_42:
	s_endpgm
	.section	.rodata,"a",@progbits
	.p2align	6, 0x0
	.amdhsa_kernel _ZN2at6native12_GLOBAL__N_135GammaBetaBackwardCUDAKernelTemplateIddLj64ELj16ELj128ELb0ELb1ELb0EEEvllPKT_S5_PKT0_S8_PS3_S9_
		.amdhsa_group_segment_fixed_size 0
		.amdhsa_private_segment_fixed_size 0
		.amdhsa_kernarg_size 320
		.amdhsa_user_sgpr_count 6
		.amdhsa_user_sgpr_private_segment_buffer 1
		.amdhsa_user_sgpr_dispatch_ptr 0
		.amdhsa_user_sgpr_queue_ptr 0
		.amdhsa_user_sgpr_kernarg_segment_ptr 1
		.amdhsa_user_sgpr_dispatch_id 0
		.amdhsa_user_sgpr_flat_scratch_init 0
		.amdhsa_user_sgpr_private_segment_size 0
		.amdhsa_uses_dynamic_stack 0
		.amdhsa_system_sgpr_private_segment_wavefront_offset 0
		.amdhsa_system_sgpr_workgroup_id_x 1
		.amdhsa_system_sgpr_workgroup_id_y 1
		.amdhsa_system_sgpr_workgroup_id_z 0
		.amdhsa_system_sgpr_workgroup_info 0
		.amdhsa_system_vgpr_workitem_id 1
		.amdhsa_next_free_vgpr 44
		.amdhsa_next_free_sgpr 32
		.amdhsa_reserve_vcc 1
		.amdhsa_reserve_flat_scratch 0
		.amdhsa_float_round_mode_32 0
		.amdhsa_float_round_mode_16_64 0
		.amdhsa_float_denorm_mode_32 3
		.amdhsa_float_denorm_mode_16_64 3
		.amdhsa_dx10_clamp 1
		.amdhsa_ieee_mode 1
		.amdhsa_fp16_overflow 0
		.amdhsa_exception_fp_ieee_invalid_op 0
		.amdhsa_exception_fp_denorm_src 0
		.amdhsa_exception_fp_ieee_div_zero 0
		.amdhsa_exception_fp_ieee_overflow 0
		.amdhsa_exception_fp_ieee_underflow 0
		.amdhsa_exception_fp_ieee_inexact 0
		.amdhsa_exception_int_div_zero 0
	.end_amdhsa_kernel
	.section	.text._ZN2at6native12_GLOBAL__N_135GammaBetaBackwardCUDAKernelTemplateIddLj64ELj16ELj128ELb0ELb1ELb0EEEvllPKT_S5_PKT0_S8_PS3_S9_,"axG",@progbits,_ZN2at6native12_GLOBAL__N_135GammaBetaBackwardCUDAKernelTemplateIddLj64ELj16ELj128ELb0ELb1ELb0EEEvllPKT_S5_PKT0_S8_PS3_S9_,comdat
.Lfunc_end33:
	.size	_ZN2at6native12_GLOBAL__N_135GammaBetaBackwardCUDAKernelTemplateIddLj64ELj16ELj128ELb0ELb1ELb0EEEvllPKT_S5_PKT0_S8_PS3_S9_, .Lfunc_end33-_ZN2at6native12_GLOBAL__N_135GammaBetaBackwardCUDAKernelTemplateIddLj64ELj16ELj128ELb0ELb1ELb0EEEvllPKT_S5_PKT0_S8_PS3_S9_
                                        ; -- End function
	.set _ZN2at6native12_GLOBAL__N_135GammaBetaBackwardCUDAKernelTemplateIddLj64ELj16ELj128ELb0ELb1ELb0EEEvllPKT_S5_PKT0_S8_PS3_S9_.num_vgpr, 44
	.set _ZN2at6native12_GLOBAL__N_135GammaBetaBackwardCUDAKernelTemplateIddLj64ELj16ELj128ELb0ELb1ELb0EEEvllPKT_S5_PKT0_S8_PS3_S9_.num_agpr, 0
	.set _ZN2at6native12_GLOBAL__N_135GammaBetaBackwardCUDAKernelTemplateIddLj64ELj16ELj128ELb0ELb1ELb0EEEvllPKT_S5_PKT0_S8_PS3_S9_.numbered_sgpr, 32
	.set _ZN2at6native12_GLOBAL__N_135GammaBetaBackwardCUDAKernelTemplateIddLj64ELj16ELj128ELb0ELb1ELb0EEEvllPKT_S5_PKT0_S8_PS3_S9_.num_named_barrier, 0
	.set _ZN2at6native12_GLOBAL__N_135GammaBetaBackwardCUDAKernelTemplateIddLj64ELj16ELj128ELb0ELb1ELb0EEEvllPKT_S5_PKT0_S8_PS3_S9_.private_seg_size, 0
	.set _ZN2at6native12_GLOBAL__N_135GammaBetaBackwardCUDAKernelTemplateIddLj64ELj16ELj128ELb0ELb1ELb0EEEvllPKT_S5_PKT0_S8_PS3_S9_.uses_vcc, 1
	.set _ZN2at6native12_GLOBAL__N_135GammaBetaBackwardCUDAKernelTemplateIddLj64ELj16ELj128ELb0ELb1ELb0EEEvllPKT_S5_PKT0_S8_PS3_S9_.uses_flat_scratch, 0
	.set _ZN2at6native12_GLOBAL__N_135GammaBetaBackwardCUDAKernelTemplateIddLj64ELj16ELj128ELb0ELb1ELb0EEEvllPKT_S5_PKT0_S8_PS3_S9_.has_dyn_sized_stack, 0
	.set _ZN2at6native12_GLOBAL__N_135GammaBetaBackwardCUDAKernelTemplateIddLj64ELj16ELj128ELb0ELb1ELb0EEEvllPKT_S5_PKT0_S8_PS3_S9_.has_recursion, 0
	.set _ZN2at6native12_GLOBAL__N_135GammaBetaBackwardCUDAKernelTemplateIddLj64ELj16ELj128ELb0ELb1ELb0EEEvllPKT_S5_PKT0_S8_PS3_S9_.has_indirect_call, 0
	.section	.AMDGPU.csdata,"",@progbits
; Kernel info:
; codeLenInByte = 3136
; TotalNumSgprs: 36
; NumVgprs: 44
; ScratchSize: 0
; MemoryBound: 0
; FloatMode: 240
; IeeeMode: 1
; LDSByteSize: 0 bytes/workgroup (compile time only)
; SGPRBlocks: 4
; VGPRBlocks: 10
; NumSGPRsForWavesPerEU: 36
; NumVGPRsForWavesPerEU: 44
; Occupancy: 5
; WaveLimiterHint : 0
; COMPUTE_PGM_RSRC2:SCRATCH_EN: 0
; COMPUTE_PGM_RSRC2:USER_SGPR: 6
; COMPUTE_PGM_RSRC2:TRAP_HANDLER: 0
; COMPUTE_PGM_RSRC2:TGID_X_EN: 1
; COMPUTE_PGM_RSRC2:TGID_Y_EN: 1
; COMPUTE_PGM_RSRC2:TGID_Z_EN: 0
; COMPUTE_PGM_RSRC2:TIDIG_COMP_CNT: 1
	.section	.text._ZN2at6native12_GLOBAL__N_135GammaBetaBackwardCUDAKernelTemplateIddLj64ELj16ELj128ELb0ELb0ELb0EEEvllPKT_S5_PKT0_S8_PS3_S9_,"axG",@progbits,_ZN2at6native12_GLOBAL__N_135GammaBetaBackwardCUDAKernelTemplateIddLj64ELj16ELj128ELb0ELb0ELb0EEEvllPKT_S5_PKT0_S8_PS3_S9_,comdat
	.globl	_ZN2at6native12_GLOBAL__N_135GammaBetaBackwardCUDAKernelTemplateIddLj64ELj16ELj128ELb0ELb0ELb0EEEvllPKT_S5_PKT0_S8_PS3_S9_ ; -- Begin function _ZN2at6native12_GLOBAL__N_135GammaBetaBackwardCUDAKernelTemplateIddLj64ELj16ELj128ELb0ELb0ELb0EEEvllPKT_S5_PKT0_S8_PS3_S9_
	.p2align	8
	.type	_ZN2at6native12_GLOBAL__N_135GammaBetaBackwardCUDAKernelTemplateIddLj64ELj16ELj128ELb0ELb0ELb0EEEvllPKT_S5_PKT0_S8_PS3_S9_,@function
_ZN2at6native12_GLOBAL__N_135GammaBetaBackwardCUDAKernelTemplateIddLj64ELj16ELj128ELb0ELb0ELb0EEEvllPKT_S5_PKT0_S8_PS3_S9_: ; @_ZN2at6native12_GLOBAL__N_135GammaBetaBackwardCUDAKernelTemplateIddLj64ELj16ELj128ELb0ELb0ELb0EEEvllPKT_S5_PKT0_S8_PS3_S9_
; %bb.0:
	s_mov_b64 s[38:39], s[2:3]
	s_mov_b64 s[36:37], s[0:1]
	s_add_u32 s36, s36, s8
	s_addc_u32 s37, s37, 0
	buffer_store_dword v1, off, s[36:39], 0 offset:72 ; 4-byte Folded Spill
	s_load_dwordx8 s[12:19], s[4:5], 0x0
	s_load_dwordx4 s[20:23], s[4:5], 0x20
	s_lshl_b32 s33, s6, 6
	s_or_b32 s0, s33, 63
	v_mov_b32_e32 v17, v0
	v_mov_b32_e32 v0, s0
	;; [unrolled: 1-line block ×3, first 2 shown]
	s_lshl_b32 s10, s7, 7
	s_mov_b32 s11, 0
	s_waitcnt lgkmcnt(0)
	v_cmp_le_i64_e32 vcc, s[14:15], v[0:1]
	v_mov_b32_e32 v0, s10
	v_mov_b32_e32 v1, s11
	v_cmp_gt_i64_e64 s[0:1], s[12:13], v[0:1]
	v_cndmask_b32_e64 v0, 0, 1, s[0:1]
	v_cmp_ne_u32_e64 s[0:1], 1, v0
	s_cbranch_vccz .LBB34_48
; %bb.1:
	v_mov_b32_e32 v0, 0
	v_mov_b32_e32 v1, 0
	buffer_store_dword v0, off, s[36:39], 0 ; 4-byte Folded Spill
	s_nop 0
	buffer_store_dword v1, off, s[36:39], 0 offset:4 ; 4-byte Folded Spill
	v_mov_b32_e32 v0, 0
	s_and_b64 vcc, exec, s[0:1]
	v_mov_b32_e32 v1, 0
	buffer_store_dword v0, off, s[36:39], 0 offset:8 ; 4-byte Folded Spill
	s_nop 0
	buffer_store_dword v1, off, s[36:39], 0 offset:12 ; 4-byte Folded Spill
	s_cbranch_vccnz .LBB34_50
; %bb.2:
	buffer_load_dword v0, off, s[36:39], 0 offset:72 ; 4-byte Folded Reload
	v_mov_b32_e32 v2, 0
	s_load_dword s7, s[4:5], 0x44
	v_add_u32_e32 v5, s33, v17
	v_mov_b32_e32 v6, v2
	v_lshlrev_b64 v[23:24], 3, v[5:6]
	s_add_u32 s24, s4, 64
	s_addc_u32 s25, s5, 0
	s_waitcnt lgkmcnt(0)
	s_lshl_b32 s7, s7, 7
	s_mul_i32 s8, s15, s7
	s_mul_hi_u32 s9, s14, s7
	s_add_i32 s9, s9, s8
	s_mul_i32 s8, s14, s7
	s_lshl_b64 s[26:27], s[8:9], 3
	v_mov_b32_e32 v9, s19
	buffer_store_dword v17, off, s[36:39], 0 offset:156 ; 4-byte Folded Spill
	s_add_u32 s28, s10, 0x7f
	s_addc_u32 s29, 0, 0
	s_mov_b64 s[30:31], s[10:11]
	s_waitcnt vmcnt(1)
	v_lshlrev_b32_e32 v0, 3, v0
	v_add_co_u32_e32 v3, vcc, s10, v0
	v_addc_co_u32_e64 v4, s[2:3], 0, 0, vcc
	buffer_store_dword v0, off, s[36:39], 0 offset:76 ; 4-byte Folded Spill
	v_mul_lo_u32 v7, s15, v3
	v_mul_lo_u32 v8, s14, v4
	v_mad_u64_u32 v[0:1], s[2:3], s14, v3, 0
	v_cmp_gt_i64_e64 s[2:3], s[14:15], v[5:6]
	v_add3_u32 v1, v1, v8, v7
	v_lshlrev_b64 v[5:6], 3, v[0:1]
	v_mov_b32_e32 v7, s17
	v_add_co_u32_e32 v8, vcc, s16, v5
	v_addc_co_u32_e32 v7, vcc, v7, v6, vcc
	buffer_store_dword v7, off, s[36:39], 0 offset:20 ; 4-byte Folded Spill
	v_add_co_u32_e32 v7, vcc, 7, v3
	buffer_store_dword v8, off, s[36:39], 0 offset:16 ; 4-byte Folded Spill
	v_addc_co_u32_e32 v8, vcc, 0, v4, vcc
	v_mul_lo_u32 v10, s15, v7
	v_mul_lo_u32 v11, s14, v8
	v_mad_u64_u32 v[7:8], s[8:9], s14, v7, 0
	v_add_co_u32_e32 v5, vcc, s18, v5
	buffer_store_dword v5, off, s[36:39], 0 offset:24 ; 4-byte Folded Spill
	v_addc_co_u32_e32 v5, vcc, v9, v6, vcc
	v_add3_u32 v8, v8, v11, v10
	buffer_store_dword v5, off, s[36:39], 0 offset:28 ; 4-byte Folded Spill
	v_lshlrev_b64 v[5:6], 3, v[7:8]
	v_mov_b32_e32 v7, s17
	v_add_co_u32_e32 v8, vcc, s16, v5
	v_addc_co_u32_e32 v7, vcc, v7, v6, vcc
	buffer_store_dword v7, off, s[36:39], 0 offset:36 ; 4-byte Folded Spill
	v_add_co_u32_e32 v7, vcc, 6, v3
	buffer_store_dword v8, off, s[36:39], 0 offset:32 ; 4-byte Folded Spill
	v_addc_co_u32_e32 v8, vcc, 0, v4, vcc
	v_mul_lo_u32 v10, s15, v7
	v_mul_lo_u32 v11, s14, v8
	v_mad_u64_u32 v[7:8], s[8:9], s14, v7, 0
	v_add_co_u32_e32 v5, vcc, s18, v5
	buffer_store_dword v5, off, s[36:39], 0 offset:40 ; 4-byte Folded Spill
	v_addc_co_u32_e32 v5, vcc, v9, v6, vcc
	v_add3_u32 v8, v8, v11, v10
	buffer_store_dword v5, off, s[36:39], 0 offset:44 ; 4-byte Folded Spill
	;; [unrolled: 16-line block ×3, first 2 shown]
	v_lshlrev_b64 v[5:6], 3, v[7:8]
	v_mov_b32_e32 v7, s17
	v_add_co_u32_e32 v52, vcc, s16, v5
	v_addc_co_u32_e32 v53, vcc, v7, v6, vcc
	v_add_co_u32_e32 v7, vcc, 4, v3
	v_addc_co_u32_e32 v8, vcc, 0, v4, vcc
	v_mul_lo_u32 v10, s15, v7
	v_mul_lo_u32 v11, s14, v8
	v_mad_u64_u32 v[7:8], s[8:9], s14, v7, 0
	v_add_co_u32_e32 v54, vcc, s18, v5
	v_add3_u32 v8, v8, v11, v10
	v_addc_co_u32_e32 v55, vcc, v9, v6, vcc
	v_lshlrev_b64 v[5:6], 3, v[7:8]
	v_mov_b32_e32 v7, s17
	v_add_co_u32_e32 v56, vcc, s16, v5
	v_addc_co_u32_e32 v57, vcc, v7, v6, vcc
	v_add_co_u32_e32 v7, vcc, 3, v3
	v_addc_co_u32_e32 v8, vcc, 0, v4, vcc
	v_mul_lo_u32 v10, s15, v7
	v_mul_lo_u32 v11, s14, v8
	v_mad_u64_u32 v[7:8], s[8:9], s14, v7, 0
	v_add_co_u32_e32 v58, vcc, s18, v5
	v_add3_u32 v8, v8, v11, v10
	v_addc_co_u32_e32 v59, vcc, v9, v6, vcc
	v_lshlrev_b64 v[5:6], 3, v[7:8]
	v_mov_b32_e32 v7, s17
	v_add_co_u32_e32 v60, vcc, s16, v5
	v_addc_co_u32_e32 v61, vcc, v7, v6, vcc
	v_add_co_u32_e32 v3, vcc, 2, v3
	v_addc_co_u32_e32 v4, vcc, 0, v4, vcc
	v_mul_lo_u32 v8, s15, v3
	v_mul_lo_u32 v9, s14, v4
	v_mad_u64_u32 v[3:4], s[8:9], s14, v3, 0
	v_mov_b32_e32 v7, s19
	v_add_co_u32_e32 v62, vcc, s18, v5
	v_add3_u32 v4, v4, v9, v8
	v_lshlrev_b64 v[3:4], 3, v[3:4]
	v_addc_co_u32_e32 v63, vcc, v7, v6, vcc
	v_mov_b32_e32 v5, s17
	v_add_co_u32_e32 v39, vcc, s16, v3
	v_addc_co_u32_e32 v25, vcc, v5, v4, vcc
	v_mov_b32_e32 v5, s19
	v_add_co_u32_e32 v26, vcc, s18, v3
	;; [unrolled: 3-line block ×3, first 2 shown]
	v_addc_co_u32_e32 v1, vcc, v1, v3, vcc
	v_lshlrev_b64 v[0:1], 3, v[0:1]
	v_mov_b32_e32 v3, s17
	v_add_co_u32_e32 v32, vcc, s16, v0
	v_addc_co_u32_e32 v40, vcc, v3, v1, vcc
	v_mov_b32_e32 v3, s19
	v_add_co_u32_e32 v41, vcc, s18, v0
	v_addc_co_u32_e32 v42, vcc, v3, v1, vcc
	v_mov_b32_e32 v0, 0
	v_mov_b32_e32 v1, 0
	buffer_store_dword v0, off, s[36:39], 0 offset:8 ; 4-byte Folded Spill
	s_nop 0
	buffer_store_dword v1, off, s[36:39], 0 offset:12 ; 4-byte Folded Spill
	v_mbcnt_lo_u32_b32 v0, -1, 0
	v_mbcnt_hi_u32_b32 v0, -1, v0
	v_lshlrev_b32_e32 v0, 2, v0
	v_and_b32_e32 v43, 0x100, v0
	v_mov_b32_e32 v0, 0
	v_mov_b32_e32 v1, 0
	buffer_store_dword v0, off, s[36:39], 0 ; 4-byte Folded Spill
	s_nop 0
	buffer_store_dword v1, off, s[36:39], 0 offset:4 ; 4-byte Folded Spill
	s_branch .LBB34_5
.LBB34_3:                               ;   in Loop: Header=BB34_5 Depth=1
	s_or_b64 exec, exec, s[8:9]
	ds_bpermute_b32 v46, v43, v27
	ds_bpermute_b32 v47, v43, v28
	;; [unrolled: 1-line block ×4, first 2 shown]
	s_waitcnt lgkmcnt(2)
	v_add_f64 v[0:1], v[0:1], -v[46:47]
	buffer_load_dword v46, off, s[36:39], 0 offset:8 ; 4-byte Folded Reload
	buffer_load_dword v47, off, s[36:39], 0 offset:12 ; 4-byte Folded Reload
	v_mul_f64 v[0:1], v[3:4], v[0:1]
	s_waitcnt vmcnt(0) lgkmcnt(0)
	v_fma_f64 v[0:1], v[0:1], v[44:45], v[46:47]
	buffer_load_dword v44, off, s[36:39], 0 ; 4-byte Folded Reload
	buffer_load_dword v45, off, s[36:39], 0 offset:4 ; 4-byte Folded Reload
	ds_bpermute_b32 v46, v43, v27 offset:4
	ds_bpermute_b32 v47, v43, v28 offset:4
	s_waitcnt lgkmcnt(0)
	v_add_f64 v[37:38], v[37:38], -v[46:47]
	v_mul_f64 v[37:38], v[5:6], v[37:38]
	s_waitcnt vmcnt(0)
	v_add_f64 v[3:4], v[44:45], v[3:4]
	ds_bpermute_b32 v44, v43, v29 offset:4
	ds_bpermute_b32 v45, v43, v30 offset:4
	s_waitcnt lgkmcnt(0)
	v_fma_f64 v[0:1], v[37:38], v[44:45], v[0:1]
	ds_bpermute_b32 v37, v43, v27 offset:8
	ds_bpermute_b32 v38, v43, v28 offset:8
	v_add_f64 v[3:4], v[5:6], v[3:4]
	ds_bpermute_b32 v5, v43, v29 offset:8
	ds_bpermute_b32 v6, v43, v30 offset:8
	s_waitcnt lgkmcnt(2)
	v_add_f64 v[33:34], v[33:34], -v[37:38]
	v_add_f64 v[3:4], v[7:8], v[3:4]
	v_mul_f64 v[33:34], v[7:8], v[33:34]
	ds_bpermute_b32 v7, v43, v27 offset:12
	ds_bpermute_b32 v8, v43, v28 offset:12
	v_add_f64 v[3:4], v[9:10], v[3:4]
	s_waitcnt lgkmcnt(0)
	v_add_f64 v[7:8], v[35:36], -v[7:8]
	v_fma_f64 v[0:1], v[33:34], v[5:6], v[0:1]
	ds_bpermute_b32 v5, v43, v29 offset:12
	ds_bpermute_b32 v6, v43, v30 offset:12
	v_add_f64 v[3:4], v[11:12], v[3:4]
	v_mul_f64 v[7:8], v[9:10], v[7:8]
	buffer_load_dword v9, off, s[36:39], 0 offset:80 ; 4-byte Folded Reload
	buffer_load_dword v10, off, s[36:39], 0 offset:84 ; 4-byte Folded Reload
	v_add_f64 v[3:4], v[13:14], v[3:4]
	s_waitcnt lgkmcnt(0)
	v_fma_f64 v[0:1], v[7:8], v[5:6], v[0:1]
	ds_bpermute_b32 v7, v43, v27 offset:16
	ds_bpermute_b32 v8, v43, v28 offset:16
	;; [unrolled: 1-line block ×4, first 2 shown]
	v_add_f64 v[3:4], v[15:16], v[3:4]
	s_waitcnt lgkmcnt(2)
	v_add_f64 v[7:8], v[19:20], -v[7:8]
	ds_bpermute_b32 v19, v43, v29 offset:28
	ds_bpermute_b32 v20, v43, v30 offset:28
	v_mul_f64 v[7:8], v[11:12], v[7:8]
	s_waitcnt lgkmcnt(2)
	v_fma_f64 v[0:1], v[7:8], v[5:6], v[0:1]
	ds_bpermute_b32 v7, v43, v27 offset:20
	ds_bpermute_b32 v8, v43, v28 offset:20
	;; [unrolled: 1-line block ×4, first 2 shown]
	s_waitcnt lgkmcnt(2)
	v_add_f64 v[7:8], v[21:22], -v[7:8]
	v_mul_f64 v[7:8], v[13:14], v[7:8]
	s_waitcnt lgkmcnt(0)
	v_fma_f64 v[0:1], v[7:8], v[5:6], v[0:1]
	ds_bpermute_b32 v7, v43, v27 offset:24
	ds_bpermute_b32 v8, v43, v28 offset:24
	;; [unrolled: 1-line block ×4, first 2 shown]
	s_waitcnt vmcnt(0) lgkmcnt(2)
	v_add_f64 v[7:8], v[9:10], -v[7:8]
	v_mul_f64 v[7:8], v[15:16], v[7:8]
	s_waitcnt lgkmcnt(0)
	v_fma_f64 v[0:1], v[7:8], v[5:6], v[0:1]
	ds_bpermute_b32 v5, v43, v27 offset:28
	ds_bpermute_b32 v6, v43, v28 offset:28
.LBB34_4:                               ;   in Loop: Header=BB34_5 Depth=1
	buffer_load_dword v7, off, s[36:39], 0 offset:64 ; 4-byte Folded Reload
	buffer_load_dword v8, off, s[36:39], 0 offset:68 ; 4-byte Folded Reload
	v_add_f64 v[3:4], v[3:4], v[17:18]
	s_add_u32 s30, s30, s7
	s_addc_u32 s31, s31, 0
	s_add_u32 s28, s28, s7
	s_addc_u32 s29, s29, 0
	buffer_store_dword v3, off, s[36:39], 0 ; 4-byte Folded Spill
	s_nop 0
	buffer_store_dword v4, off, s[36:39], 0 offset:4 ; 4-byte Folded Spill
	s_waitcnt vmcnt(2) lgkmcnt(0)
	v_add_f64 v[5:6], v[7:8], -v[5:6]
	v_mov_b32_e32 v7, s27
	v_mul_f64 v[3:4], v[17:18], v[5:6]
	buffer_load_dword v5, off, s[36:39], 0 offset:16 ; 4-byte Folded Reload
	v_fma_f64 v[0:1], v[3:4], v[19:20], v[0:1]
	s_waitcnt vmcnt(0)
	v_add_co_u32_e32 v5, vcc, s26, v5
	buffer_store_dword v5, off, s[36:39], 0 offset:16 ; 4-byte Folded Spill
	buffer_load_dword v5, off, s[36:39], 0 offset:20 ; 4-byte Folded Reload
	s_waitcnt vmcnt(0)
	v_addc_co_u32_e32 v5, vcc, v5, v7, vcc
	buffer_store_dword v5, off, s[36:39], 0 offset:20 ; 4-byte Folded Spill
	buffer_load_dword v5, off, s[36:39], 0 offset:24 ; 4-byte Folded Reload
	s_waitcnt vmcnt(0)
	v_add_co_u32_e32 v5, vcc, s26, v5
	buffer_store_dword v5, off, s[36:39], 0 offset:24 ; 4-byte Folded Spill
	buffer_load_dword v5, off, s[36:39], 0 offset:28 ; 4-byte Folded Reload
	s_waitcnt vmcnt(0)
	v_addc_co_u32_e32 v5, vcc, v5, v7, vcc
	buffer_store_dword v5, off, s[36:39], 0 offset:28 ; 4-byte Folded Spill
	buffer_store_dword v0, off, s[36:39], 0 offset:8 ; 4-byte Folded Spill
	s_nop 0
	buffer_store_dword v1, off, s[36:39], 0 offset:12 ; 4-byte Folded Spill
	buffer_load_dword v0, off, s[36:39], 0 offset:32 ; 4-byte Folded Reload
	s_waitcnt vmcnt(0)
	v_add_co_u32_e32 v0, vcc, s26, v0
	buffer_store_dword v0, off, s[36:39], 0 offset:32 ; 4-byte Folded Spill
	buffer_load_dword v0, off, s[36:39], 0 offset:36 ; 4-byte Folded Reload
	s_waitcnt vmcnt(0)
	v_addc_co_u32_e32 v0, vcc, v0, v7, vcc
	buffer_store_dword v0, off, s[36:39], 0 offset:36 ; 4-byte Folded Spill
	buffer_load_dword v0, off, s[36:39], 0 offset:40 ; 4-byte Folded Reload
	s_waitcnt vmcnt(0)
	v_add_co_u32_e32 v0, vcc, s26, v0
	buffer_store_dword v0, off, s[36:39], 0 offset:40 ; 4-byte Folded Spill
	buffer_load_dword v0, off, s[36:39], 0 offset:44 ; 4-byte Folded Reload
	s_waitcnt vmcnt(0)
	v_addc_co_u32_e32 v0, vcc, v0, v7, vcc
	;; [unrolled: 8-line block ×4, first 2 shown]
	v_add_co_u32_e32 v52, vcc, s26, v52
	v_addc_co_u32_e32 v53, vcc, v53, v7, vcc
	v_add_co_u32_e32 v54, vcc, s26, v54
	v_addc_co_u32_e32 v55, vcc, v55, v7, vcc
	;; [unrolled: 2-line block ×9, first 2 shown]
	buffer_store_dword v0, off, s[36:39], 0 offset:60 ; 4-byte Folded Spill
	v_add_co_u32_e32 v41, vcc, s26, v41
	v_mov_b32_e32 v0, s12
	v_addc_co_u32_e32 v42, vcc, v42, v7, vcc
	v_mov_b32_e32 v1, s13
	v_cmp_lt_i64_e32 vcc, s[30:31], v[0:1]
	s_cbranch_vccz .LBB34_49
.LBB34_5:                               ; =>This Inner Loop Header: Depth=1
	v_mov_b32_e32 v0, s12
	v_mov_b32_e32 v1, s13
	v_cmp_ge_i64_e32 vcc, s[28:29], v[0:1]
	buffer_load_dword v1, off, s[36:39], 0 offset:76 ; 4-byte Folded Reload
	v_mov_b32_e32 v0, s29
	s_and_b64 vcc, exec, vcc
                                        ; implicit-def: $vgpr3_vgpr4_vgpr5_vgpr6_vgpr7_vgpr8_vgpr9_vgpr10_vgpr11_vgpr12_vgpr13_vgpr14_vgpr15_vgpr16_vgpr17_vgpr18
                                        ; implicit-def: $vgpr19_vgpr20
                                        ; implicit-def: $vgpr5
                                        ; implicit-def: $vgpr3_vgpr4
	s_waitcnt vmcnt(0)
	v_add_co_u32_e64 v33, s[8:9], s28, v1
	v_addc_co_u32_e64 v34, s[8:9], 0, v0, s[8:9]
	s_mov_b64 s[8:9], -1
                                        ; implicit-def: $vgpr0_vgpr1
                                        ; kill: killed $vgpr0_vgpr1
                                        ; implicit-def: $vgpr0_vgpr1
	s_cbranch_vccz .LBB34_27
; %bb.6:                                ;   in Loop: Header=BB34_5 Depth=1
	s_load_dword s8, s[24:25], 0xc
	buffer_load_dword v0, off, s[36:39], 0 offset:156 ; 4-byte Folded Reload
	buffer_load_dword v1, off, s[36:39], 0 offset:72 ; 4-byte Folded Reload
	v_mov_b32_e32 v35, 0
	v_mov_b32_e32 v29, 0
	;; [unrolled: 1-line block ×3, first 2 shown]
	s_waitcnt lgkmcnt(0)
	s_and_b32 s8, s8, 0xffff
	v_mov_b32_e32 v36, 0
	v_mov_b32_e32 v30, 0
	;; [unrolled: 1-line block ×3, first 2 shown]
	s_waitcnt vmcnt(0)
	v_mad_u32_u24 v0, v1, s8, v0
	v_and_b32_e32 v0, 63, v0
	v_cmp_gt_u32_e32 vcc, 8, v0
	s_and_saveexec_b64 s[8:9], vcc
	s_cbranch_execz .LBB34_10
; %bb.7:                                ;   in Loop: Header=BB34_5 Depth=1
	v_add_co_u32_e32 v0, vcc, v33, v0
	v_addc_co_u32_e32 v1, vcc, 0, v34, vcc
	v_add_co_u32_e32 v0, vcc, 0xffffff81, v0
	v_addc_co_u32_e32 v1, vcc, -1, v1, vcc
	v_cmp_gt_i64_e32 vcc, s[12:13], v[0:1]
	v_mov_b32_e32 v27, 0
	v_mov_b32_e32 v29, 0
	;; [unrolled: 1-line block ×4, first 2 shown]
	s_and_saveexec_b64 s[34:35], vcc
	s_cbranch_execz .LBB34_9
; %bb.8:                                ;   in Loop: Header=BB34_5 Depth=1
	v_lshlrev_b64 v[0:1], 3, v[0:1]
	v_mov_b32_e32 v4, s23
	v_add_co_u32_e32 v3, vcc, s22, v0
	v_addc_co_u32_e32 v4, vcc, v4, v1, vcc
	v_mov_b32_e32 v5, s21
	v_add_co_u32_e32 v0, vcc, s20, v0
	v_addc_co_u32_e32 v1, vcc, v5, v1, vcc
	global_load_dwordx2 v[27:28], v[0:1], off
	global_load_dwordx2 v[29:30], v[3:4], off
.LBB34_9:                               ;   in Loop: Header=BB34_5 Depth=1
	s_or_b64 exec, exec, s[34:35]
.LBB34_10:                              ;   in Loop: Header=BB34_5 Depth=1
	s_or_b64 exec, exec, s[8:9]
	v_add_co_u32_e32 v0, vcc, 0xffffff81, v33
	v_addc_co_u32_e32 v1, vcc, -1, v34, vcc
	v_cmp_gt_i64_e32 vcc, s[12:13], v[0:1]
	v_mov_b32_e32 v3, v2
	v_mov_b32_e32 v4, v2
	;; [unrolled: 1-line block ×31, first 2 shown]
	s_and_b64 s[34:35], s[2:3], vcc
	s_and_saveexec_b64 s[8:9], s[34:35]
	s_cbranch_execz .LBB34_12
; %bb.11:                               ;   in Loop: Header=BB34_5 Depth=1
	buffer_load_dword v0, off, s[36:39], 0 offset:16 ; 4-byte Folded Reload
	buffer_load_dword v1, off, s[36:39], 0 offset:20 ; 4-byte Folded Reload
	v_mov_b32_e32 v5, v2
	v_mov_b32_e32 v6, v2
	;; [unrolled: 1-line block ×14, first 2 shown]
	s_waitcnt vmcnt(1)
	v_add_co_u32_e32 v0, vcc, v0, v23
	s_waitcnt vmcnt(0)
	v_addc_co_u32_e32 v1, vcc, v1, v24, vcc
	global_load_dwordx2 v[3:4], v[0:1], off
	s_nop 0
	buffer_load_dword v0, off, s[36:39], 0 offset:24 ; 4-byte Folded Reload
	buffer_load_dword v1, off, s[36:39], 0 offset:28 ; 4-byte Folded Reload
	s_waitcnt vmcnt(1)
	v_add_co_u32_e32 v0, vcc, v0, v23
	s_waitcnt vmcnt(0)
	v_addc_co_u32_e32 v1, vcc, v1, v24, vcc
	global_load_dwordx2 v[35:36], v[0:1], off
.LBB34_12:                              ;   in Loop: Header=BB34_5 Depth=1
	s_or_b64 exec, exec, s[8:9]
	v_add_co_u32_e32 v0, vcc, 0xffffff82, v33
	v_addc_co_u32_e32 v1, vcc, -1, v34, vcc
	v_cmp_gt_i64_e32 vcc, s[12:13], v[0:1]
	v_mov_b32_e32 v50, 0
	v_mov_b32_e32 v37, 0
	v_mov_b32_e32 v51, 0
	v_mov_b32_e32 v38, 0
	s_and_b64 s[34:35], s[2:3], vcc
	s_and_saveexec_b64 s[8:9], s[34:35]
	s_cbranch_execz .LBB34_14
; %bb.13:                               ;   in Loop: Header=BB34_5 Depth=1
	v_add_co_u32_e32 v0, vcc, v32, v23
	v_addc_co_u32_e32 v1, vcc, v40, v24, vcc
	global_load_dwordx2 v[5:6], v[0:1], off
	v_add_co_u32_e32 v0, vcc, v41, v23
	v_addc_co_u32_e32 v1, vcc, v42, v24, vcc
	global_load_dwordx2 v[37:38], v[0:1], off
.LBB34_14:                              ;   in Loop: Header=BB34_5 Depth=1
	s_or_b64 exec, exec, s[8:9]
	v_add_co_u32_e32 v0, vcc, 0xffffff83, v33
	v_addc_co_u32_e32 v1, vcc, -1, v34, vcc
	v_cmp_gt_i64_e32 vcc, s[12:13], v[0:1]
	s_and_b64 s[34:35], s[2:3], vcc
	s_and_saveexec_b64 s[8:9], s[34:35]
	s_cbranch_execz .LBB34_16
; %bb.15:                               ;   in Loop: Header=BB34_5 Depth=1
	v_add_co_u32_e32 v0, vcc, v39, v23
	v_addc_co_u32_e32 v1, vcc, v25, v24, vcc
	global_load_dwordx2 v[7:8], v[0:1], off
	v_add_co_u32_e32 v0, vcc, v26, v23
	v_addc_co_u32_e32 v1, vcc, v31, v24, vcc
	global_load_dwordx2 v[50:51], v[0:1], off
.LBB34_16:                              ;   in Loop: Header=BB34_5 Depth=1
	s_or_b64 exec, exec, s[8:9]
	v_add_co_u32_e32 v0, vcc, 0xffffff84, v33
	v_addc_co_u32_e32 v1, vcc, -1, v34, vcc
	v_cmp_gt_i64_e32 vcc, s[12:13], v[0:1]
	v_mov_b32_e32 v48, 0
	v_mov_b32_e32 v21, 0
	;; [unrolled: 1-line block ×4, first 2 shown]
	s_and_b64 s[34:35], s[2:3], vcc
	s_and_saveexec_b64 s[8:9], s[34:35]
	s_cbranch_execz .LBB34_18
; %bb.17:                               ;   in Loop: Header=BB34_5 Depth=1
	v_add_co_u32_e32 v0, vcc, v60, v23
	v_addc_co_u32_e32 v1, vcc, v61, v24, vcc
	global_load_dwordx2 v[9:10], v[0:1], off
	v_add_co_u32_e32 v0, vcc, v62, v23
	v_addc_co_u32_e32 v1, vcc, v63, v24, vcc
	global_load_dwordx2 v[21:22], v[0:1], off
.LBB34_18:                              ;   in Loop: Header=BB34_5 Depth=1
	s_or_b64 exec, exec, s[8:9]
	v_add_co_u32_e32 v0, vcc, 0xffffff85, v33
	v_addc_co_u32_e32 v1, vcc, -1, v34, vcc
	v_cmp_gt_i64_e32 vcc, s[12:13], v[0:1]
	s_and_b64 s[34:35], s[2:3], vcc
	s_and_saveexec_b64 s[8:9], s[34:35]
	s_cbranch_execz .LBB34_20
; %bb.19:                               ;   in Loop: Header=BB34_5 Depth=1
	v_add_co_u32_e32 v0, vcc, v56, v23
	v_addc_co_u32_e32 v1, vcc, v57, v24, vcc
	global_load_dwordx2 v[11:12], v[0:1], off
	v_add_co_u32_e32 v0, vcc, v58, v23
	v_addc_co_u32_e32 v1, vcc, v59, v24, vcc
	global_load_dwordx2 v[48:49], v[0:1], off
.LBB34_20:                              ;   in Loop: Header=BB34_5 Depth=1
	s_or_b64 exec, exec, s[8:9]
	v_add_co_u32_e32 v0, vcc, 0xffffff86, v33
	v_addc_co_u32_e32 v1, vcc, -1, v34, vcc
	v_cmp_gt_i64_e32 vcc, s[12:13], v[0:1]
	v_mov_b32_e32 v19, 0
	v_mov_b32_e32 v0, 0
	;; [unrolled: 1-line block ×4, first 2 shown]
	s_and_b64 s[34:35], s[2:3], vcc
	s_and_saveexec_b64 s[8:9], s[34:35]
	s_cbranch_execz .LBB34_22
; %bb.21:                               ;   in Loop: Header=BB34_5 Depth=1
	v_add_co_u32_e32 v0, vcc, v52, v23
	v_addc_co_u32_e32 v1, vcc, v53, v24, vcc
	global_load_dwordx2 v[13:14], v[0:1], off
	v_add_co_u32_e32 v0, vcc, v54, v23
	v_addc_co_u32_e32 v1, vcc, v55, v24, vcc
	global_load_dwordx2 v[0:1], v[0:1], off
.LBB34_22:                              ;   in Loop: Header=BB34_5 Depth=1
	s_or_b64 exec, exec, s[8:9]
	v_add_co_u32_e32 v44, vcc, 0xffffff87, v33
	v_addc_co_u32_e32 v45, vcc, -1, v34, vcc
	v_cmp_gt_i64_e32 vcc, s[12:13], v[44:45]
	s_and_b64 s[34:35], s[2:3], vcc
	s_and_saveexec_b64 s[8:9], s[34:35]
	s_cbranch_execz .LBB34_24
; %bb.23:                               ;   in Loop: Header=BB34_5 Depth=1
	buffer_load_dword v15, off, s[36:39], 0 offset:48 ; 4-byte Folded Reload
	buffer_load_dword v16, off, s[36:39], 0 offset:52 ; 4-byte Folded Reload
	;; [unrolled: 1-line block ×3, first 2 shown]
	s_waitcnt vmcnt(2)
	v_add_co_u32_e32 v15, vcc, v15, v23
	s_waitcnt vmcnt(1)
	v_addc_co_u32_e32 v16, vcc, v16, v24, vcc
	s_waitcnt vmcnt(0)
	v_add_co_u32_e32 v44, vcc, v19, v23
	buffer_load_dword v19, off, s[36:39], 0 offset:60 ; 4-byte Folded Reload
	s_waitcnt vmcnt(0)
	v_addc_co_u32_e32 v45, vcc, v19, v24, vcc
	global_load_dwordx2 v[15:16], v[15:16], off
	s_nop 0
	global_load_dwordx2 v[19:20], v[44:45], off
.LBB34_24:                              ;   in Loop: Header=BB34_5 Depth=1
	s_or_b64 exec, exec, s[8:9]
	v_add_co_u32_e32 v44, vcc, 0xffffff88, v33
	s_waitcnt vmcnt(0)
	buffer_store_dword v19, off, s[36:39], 0 offset:80 ; 4-byte Folded Spill
	s_nop 0
	buffer_store_dword v20, off, s[36:39], 0 offset:84 ; 4-byte Folded Spill
	v_addc_co_u32_e32 v45, vcc, -1, v34, vcc
	v_mov_b32_e32 v19, v35
	v_cmp_gt_i64_e32 vcc, s[12:13], v[44:45]
	v_mov_b32_e32 v20, v36
	v_mov_b32_e32 v35, 0
	;; [unrolled: 1-line block ×3, first 2 shown]
	s_and_b64 s[34:35], s[2:3], vcc
	buffer_store_dword v35, off, s[36:39], 0 offset:64 ; 4-byte Folded Spill
	s_nop 0
	buffer_store_dword v36, off, s[36:39], 0 offset:68 ; 4-byte Folded Spill
	s_and_saveexec_b64 s[8:9], s[34:35]
	s_cbranch_execz .LBB34_26
; %bb.25:                               ;   in Loop: Header=BB34_5 Depth=1
	buffer_load_dword v17, off, s[36:39], 0 offset:32 ; 4-byte Folded Reload
	buffer_load_dword v18, off, s[36:39], 0 offset:36 ; 4-byte Folded Reload
	;; [unrolled: 1-line block ×3, first 2 shown]
	s_waitcnt vmcnt(2)
	v_add_co_u32_e32 v17, vcc, v17, v23
	s_waitcnt vmcnt(1)
	v_addc_co_u32_e32 v18, vcc, v18, v24, vcc
	s_waitcnt vmcnt(0)
	v_add_co_u32_e32 v44, vcc, v35, v23
	buffer_load_dword v35, off, s[36:39], 0 offset:44 ; 4-byte Folded Reload
	s_waitcnt vmcnt(0)
	v_addc_co_u32_e32 v45, vcc, v35, v24, vcc
	global_load_dwordx2 v[17:18], v[17:18], off
	s_nop 0
	global_load_dwordx2 v[35:36], v[44:45], off
	s_waitcnt vmcnt(0)
	buffer_store_dword v35, off, s[36:39], 0 offset:64 ; 4-byte Folded Spill
	s_nop 0
	buffer_store_dword v36, off, s[36:39], 0 offset:68 ; 4-byte Folded Spill
.LBB34_26:                              ;   in Loop: Header=BB34_5 Depth=1
	s_or_b64 exec, exec, s[8:9]
	buffer_load_dword v35, off, s[36:39], 0 offset:8 ; 4-byte Folded Reload
	buffer_load_dword v36, off, s[36:39], 0 offset:12 ; 4-byte Folded Reload
	ds_bpermute_b32 v46, v43, v27
	ds_bpermute_b32 v47, v43, v28
	;; [unrolled: 1-line block ×4, first 2 shown]
	s_mov_b64 s[8:9], 0
	s_waitcnt lgkmcnt(2)
	v_add_f64 v[46:47], v[19:20], -v[46:47]
	v_mul_f64 v[46:47], v[3:4], v[46:47]
	s_waitcnt vmcnt(0) lgkmcnt(0)
	v_fma_f64 v[44:45], v[46:47], v[44:45], v[35:36]
	buffer_load_dword v35, off, s[36:39], 0 ; 4-byte Folded Reload
	buffer_load_dword v36, off, s[36:39], 0 offset:4 ; 4-byte Folded Reload
	ds_bpermute_b32 v46, v43, v29 offset:4
	ds_bpermute_b32 v47, v43, v30 offset:4
	s_waitcnt vmcnt(0)
	v_add_f64 v[3:4], v[35:36], v[3:4]
	ds_bpermute_b32 v35, v43, v27 offset:4
	ds_bpermute_b32 v36, v43, v28 offset:4
	s_waitcnt lgkmcnt(0)
	v_add_f64 v[35:36], v[37:38], -v[35:36]
	ds_bpermute_b32 v37, v43, v27 offset:8
	ds_bpermute_b32 v38, v43, v28 offset:8
	v_add_f64 v[3:4], v[5:6], v[3:4]
	s_waitcnt lgkmcnt(0)
	v_add_f64 v[19:20], v[50:51], -v[37:38]
	v_mul_f64 v[35:36], v[5:6], v[35:36]
	ds_bpermute_b32 v5, v43, v29 offset:8
	ds_bpermute_b32 v6, v43, v30 offset:8
	v_add_f64 v[3:4], v[7:8], v[3:4]
	v_mul_f64 v[19:20], v[7:8], v[19:20]
	v_fma_f64 v[35:36], v[35:36], v[46:47], v[44:45]
	ds_bpermute_b32 v7, v43, v29 offset:12
	ds_bpermute_b32 v8, v43, v30 offset:12
	v_add_f64 v[3:4], v[9:10], v[3:4]
	s_waitcnt lgkmcnt(2)
	v_fma_f64 v[5:6], v[19:20], v[5:6], v[35:36]
	ds_bpermute_b32 v19, v43, v27 offset:12
	ds_bpermute_b32 v20, v43, v28 offset:12
	v_add_f64 v[3:4], v[11:12], v[3:4]
	s_waitcnt lgkmcnt(0)
	v_add_f64 v[19:20], v[21:22], -v[19:20]
	v_add_f64 v[3:4], v[13:14], v[3:4]
	v_mul_f64 v[19:20], v[9:10], v[19:20]
	ds_bpermute_b32 v9, v43, v27 offset:16
	ds_bpermute_b32 v10, v43, v28 offset:16
	v_add_f64 v[3:4], v[15:16], v[3:4]
	s_waitcnt lgkmcnt(0)
	v_add_f64 v[9:10], v[48:49], -v[9:10]
	v_fma_f64 v[5:6], v[19:20], v[7:8], v[5:6]
	ds_bpermute_b32 v7, v43, v29 offset:16
	ds_bpermute_b32 v8, v43, v30 offset:16
	;; [unrolled: 1-line block ×4, first 2 shown]
	v_mul_f64 v[9:10], v[11:12], v[9:10]
	s_waitcnt lgkmcnt(2)
	v_fma_f64 v[5:6], v[9:10], v[7:8], v[5:6]
	ds_bpermute_b32 v9, v43, v27 offset:20
	ds_bpermute_b32 v10, v43, v28 offset:20
	;; [unrolled: 1-line block ×4, first 2 shown]
	s_waitcnt lgkmcnt(2)
	v_add_f64 v[0:1], v[0:1], -v[9:10]
	buffer_load_dword v9, off, s[36:39], 0 offset:80 ; 4-byte Folded Reload
	buffer_load_dword v10, off, s[36:39], 0 offset:84 ; 4-byte Folded Reload
	v_mul_f64 v[0:1], v[13:14], v[0:1]
	s_waitcnt lgkmcnt(0)
	v_fma_f64 v[0:1], v[0:1], v[7:8], v[5:6]
	ds_bpermute_b32 v7, v43, v27 offset:24
	ds_bpermute_b32 v8, v43, v28 offset:24
	;; [unrolled: 1-line block ×4, first 2 shown]
	s_waitcnt vmcnt(0) lgkmcnt(2)
	v_add_f64 v[7:8], v[9:10], -v[7:8]
	v_mul_f64 v[7:8], v[15:16], v[7:8]
	s_waitcnt lgkmcnt(0)
	v_fma_f64 v[0:1], v[7:8], v[5:6], v[0:1]
	ds_bpermute_b32 v5, v43, v27 offset:28
	ds_bpermute_b32 v6, v43, v28 offset:28
.LBB34_27:                              ;   in Loop: Header=BB34_5 Depth=1
	s_and_b64 vcc, exec, s[8:9]
	s_cbranch_vccz .LBB34_4
; %bb.28:                               ;   in Loop: Header=BB34_5 Depth=1
	s_load_dword s8, s[24:25], 0x0
	v_mov_b32_e32 v0, 0
	v_mov_b32_e32 v29, 0
	;; [unrolled: 1-line block ×4, first 2 shown]
	s_waitcnt lgkmcnt(0)
	s_cmp_lt_u32 s6, s8
	s_cselect_b32 s8, 12, 18
	s_add_u32 s8, s24, s8
	s_addc_u32 s9, s25, 0
	global_load_ushort v3, v2, s[8:9]
	buffer_load_dword v4, off, s[36:39], 0 offset:156 ; 4-byte Folded Reload
	buffer_load_dword v5, off, s[36:39], 0 offset:72 ; 4-byte Folded Reload
	v_mov_b32_e32 v30, 0
	v_mov_b32_e32 v28, 0
	s_waitcnt vmcnt(0)
	v_mad_u32_u24 v3, v5, v3, v4
	v_and_b32_e32 v3, 63, v3
	v_cmp_gt_u32_e32 vcc, 8, v3
	s_and_saveexec_b64 s[8:9], vcc
	s_cbranch_execz .LBB34_32
; %bb.29:                               ;   in Loop: Header=BB34_5 Depth=1
	v_add_co_u32_e32 v3, vcc, v33, v3
	v_addc_co_u32_e32 v4, vcc, 0, v34, vcc
	v_add_co_u32_e32 v3, vcc, 0xffffff81, v3
	v_addc_co_u32_e32 v4, vcc, -1, v4, vcc
	v_cmp_gt_i64_e32 vcc, s[12:13], v[3:4]
	v_mov_b32_e32 v27, 0
	v_mov_b32_e32 v29, 0
	;; [unrolled: 1-line block ×4, first 2 shown]
	s_and_saveexec_b64 s[34:35], vcc
	s_cbranch_execz .LBB34_31
; %bb.30:                               ;   in Loop: Header=BB34_5 Depth=1
	v_lshlrev_b64 v[3:4], 3, v[3:4]
	v_mov_b32_e32 v6, s23
	v_add_co_u32_e32 v5, vcc, s22, v3
	v_addc_co_u32_e32 v6, vcc, v6, v4, vcc
	v_mov_b32_e32 v7, s21
	v_add_co_u32_e32 v3, vcc, s20, v3
	v_addc_co_u32_e32 v4, vcc, v7, v4, vcc
	global_load_dwordx2 v[27:28], v[3:4], off
	global_load_dwordx2 v[29:30], v[5:6], off
.LBB34_31:                              ;   in Loop: Header=BB34_5 Depth=1
	s_or_b64 exec, exec, s[34:35]
.LBB34_32:                              ;   in Loop: Header=BB34_5 Depth=1
	s_or_b64 exec, exec, s[8:9]
	v_mov_b32_e32 v3, v2
	v_mov_b32_e32 v4, v2
	;; [unrolled: 1-line block ×31, first 2 shown]
	s_and_saveexec_b64 s[8:9], s[2:3]
	s_cbranch_execz .LBB34_34
; %bb.33:                               ;   in Loop: Header=BB34_5 Depth=1
	buffer_load_dword v0, off, s[36:39], 0 offset:16 ; 4-byte Folded Reload
	buffer_load_dword v1, off, s[36:39], 0 offset:20 ; 4-byte Folded Reload
	v_mov_b32_e32 v5, v2
	v_mov_b32_e32 v6, v2
	v_mov_b32_e32 v7, v2
	v_mov_b32_e32 v8, v2
	v_mov_b32_e32 v9, v2
	v_mov_b32_e32 v10, v2
	v_mov_b32_e32 v11, v2
	v_mov_b32_e32 v12, v2
	v_mov_b32_e32 v13, v2
	v_mov_b32_e32 v14, v2
	v_mov_b32_e32 v15, v2
	v_mov_b32_e32 v16, v2
	v_mov_b32_e32 v17, v2
	v_mov_b32_e32 v18, v2
	s_waitcnt vmcnt(1)
	v_add_co_u32_e32 v0, vcc, v0, v23
	s_waitcnt vmcnt(0)
	v_addc_co_u32_e32 v1, vcc, v1, v24, vcc
	global_load_dwordx2 v[3:4], v[0:1], off
	s_nop 0
	buffer_load_dword v0, off, s[36:39], 0 offset:24 ; 4-byte Folded Reload
	buffer_load_dword v1, off, s[36:39], 0 offset:28 ; 4-byte Folded Reload
	s_waitcnt vmcnt(1)
	v_add_co_u32_e32 v0, vcc, v0, v23
	s_waitcnt vmcnt(0)
	v_addc_co_u32_e32 v1, vcc, v1, v24, vcc
	global_load_dwordx2 v[0:1], v[0:1], off
.LBB34_34:                              ;   in Loop: Header=BB34_5 Depth=1
	s_or_b64 exec, exec, s[8:9]
	v_mov_b32_e32 v33, 0
	v_mov_b32_e32 v37, 0
	;; [unrolled: 1-line block ×4, first 2 shown]
	s_and_saveexec_b64 s[8:9], s[2:3]
	s_cbranch_execz .LBB34_36
; %bb.35:                               ;   in Loop: Header=BB34_5 Depth=1
	v_add_co_u32_e32 v5, vcc, v32, v23
	v_addc_co_u32_e32 v6, vcc, v40, v24, vcc
	v_add_co_u32_e32 v19, vcc, v41, v23
	v_addc_co_u32_e32 v20, vcc, v42, v24, vcc
	global_load_dwordx2 v[5:6], v[5:6], off
	s_nop 0
	global_load_dwordx2 v[37:38], v[19:20], off
.LBB34_36:                              ;   in Loop: Header=BB34_5 Depth=1
	s_or_b64 exec, exec, s[8:9]
	s_and_saveexec_b64 s[8:9], s[2:3]
	s_cbranch_execz .LBB34_38
; %bb.37:                               ;   in Loop: Header=BB34_5 Depth=1
	v_add_co_u32_e32 v7, vcc, v39, v23
	v_addc_co_u32_e32 v8, vcc, v25, v24, vcc
	v_add_co_u32_e32 v19, vcc, v26, v23
	v_addc_co_u32_e32 v20, vcc, v31, v24, vcc
	global_load_dwordx2 v[7:8], v[7:8], off
	s_nop 0
	global_load_dwordx2 v[33:34], v[19:20], off
.LBB34_38:                              ;   in Loop: Header=BB34_5 Depth=1
	s_or_b64 exec, exec, s[8:9]
	v_mov_b32_e32 v19, 0
	v_mov_b32_e32 v35, 0
	;; [unrolled: 1-line block ×4, first 2 shown]
	s_and_saveexec_b64 s[8:9], s[2:3]
	s_cbranch_execz .LBB34_40
; %bb.39:                               ;   in Loop: Header=BB34_5 Depth=1
	v_add_co_u32_e32 v9, vcc, v60, v23
	v_addc_co_u32_e32 v10, vcc, v61, v24, vcc
	v_add_co_u32_e32 v21, vcc, v62, v23
	v_addc_co_u32_e32 v22, vcc, v63, v24, vcc
	global_load_dwordx2 v[9:10], v[9:10], off
	s_nop 0
	global_load_dwordx2 v[35:36], v[21:22], off
.LBB34_40:                              ;   in Loop: Header=BB34_5 Depth=1
	s_or_b64 exec, exec, s[8:9]
	s_and_saveexec_b64 s[8:9], s[2:3]
	s_cbranch_execz .LBB34_42
; %bb.41:                               ;   in Loop: Header=BB34_5 Depth=1
	v_add_co_u32_e32 v11, vcc, v56, v23
	v_addc_co_u32_e32 v12, vcc, v57, v24, vcc
	v_add_co_u32_e32 v19, vcc, v58, v23
	v_addc_co_u32_e32 v20, vcc, v59, v24, vcc
	global_load_dwordx2 v[11:12], v[11:12], off
	s_nop 0
	global_load_dwordx2 v[19:20], v[19:20], off
.LBB34_42:                              ;   in Loop: Header=BB34_5 Depth=1
	s_or_b64 exec, exec, s[8:9]
	v_mov_b32_e32 v44, 0
	v_mov_b32_e32 v21, 0
	;; [unrolled: 1-line block ×4, first 2 shown]
	s_and_saveexec_b64 s[8:9], s[2:3]
	s_cbranch_execz .LBB34_44
; %bb.43:                               ;   in Loop: Header=BB34_5 Depth=1
	v_add_co_u32_e32 v13, vcc, v52, v23
	v_addc_co_u32_e32 v14, vcc, v53, v24, vcc
	v_add_co_u32_e32 v21, vcc, v54, v23
	v_addc_co_u32_e32 v22, vcc, v55, v24, vcc
	global_load_dwordx2 v[13:14], v[13:14], off
	s_nop 0
	global_load_dwordx2 v[21:22], v[21:22], off
.LBB34_44:                              ;   in Loop: Header=BB34_5 Depth=1
	s_or_b64 exec, exec, s[8:9]
	s_and_saveexec_b64 s[8:9], s[2:3]
	s_cbranch_execz .LBB34_46
; %bb.45:                               ;   in Loop: Header=BB34_5 Depth=1
	buffer_load_dword v15, off, s[36:39], 0 offset:48 ; 4-byte Folded Reload
	buffer_load_dword v16, off, s[36:39], 0 offset:52 ; 4-byte Folded Reload
	;; [unrolled: 1-line block ×4, first 2 shown]
	s_waitcnt vmcnt(3)
	v_add_co_u32_e32 v15, vcc, v15, v23
	s_waitcnt vmcnt(2)
	v_addc_co_u32_e32 v16, vcc, v16, v24, vcc
	s_waitcnt vmcnt(1)
	v_add_co_u32_e32 v44, vcc, v44, v23
	s_waitcnt vmcnt(0)
	v_addc_co_u32_e32 v45, vcc, v45, v24, vcc
	global_load_dwordx2 v[15:16], v[15:16], off
	s_nop 0
	global_load_dwordx2 v[44:45], v[44:45], off
.LBB34_46:                              ;   in Loop: Header=BB34_5 Depth=1
	s_or_b64 exec, exec, s[8:9]
	s_waitcnt vmcnt(0)
	buffer_store_dword v44, off, s[36:39], 0 offset:80 ; 4-byte Folded Spill
	s_nop 0
	buffer_store_dword v45, off, s[36:39], 0 offset:84 ; 4-byte Folded Spill
	v_mov_b32_e32 v44, 0
	v_mov_b32_e32 v45, 0
	buffer_store_dword v44, off, s[36:39], 0 offset:64 ; 4-byte Folded Spill
	s_nop 0
	buffer_store_dword v45, off, s[36:39], 0 offset:68 ; 4-byte Folded Spill
	s_and_saveexec_b64 s[8:9], s[2:3]
	s_cbranch_execz .LBB34_3
; %bb.47:                               ;   in Loop: Header=BB34_5 Depth=1
	buffer_load_dword v17, off, s[36:39], 0 offset:32 ; 4-byte Folded Reload
	buffer_load_dword v18, off, s[36:39], 0 offset:36 ; 4-byte Folded Reload
	;; [unrolled: 1-line block ×4, first 2 shown]
	s_waitcnt vmcnt(3)
	v_add_co_u32_e32 v17, vcc, v17, v23
	s_waitcnt vmcnt(2)
	v_addc_co_u32_e32 v18, vcc, v18, v24, vcc
	s_waitcnt vmcnt(1)
	v_add_co_u32_e32 v44, vcc, v44, v23
	s_waitcnt vmcnt(0)
	v_addc_co_u32_e32 v45, vcc, v45, v24, vcc
	global_load_dwordx2 v[17:18], v[17:18], off
	s_nop 0
	global_load_dwordx2 v[44:45], v[44:45], off
	s_waitcnt vmcnt(0)
	buffer_store_dword v44, off, s[36:39], 0 offset:64 ; 4-byte Folded Spill
	s_nop 0
	buffer_store_dword v45, off, s[36:39], 0 offset:68 ; 4-byte Folded Spill
	s_branch .LBB34_3
.LBB34_48:
                                        ; implicit-def: $vgpr0_vgpr1
                                        ; kill: killed $vgpr0_vgpr1
                                        ; implicit-def: $vgpr0_vgpr1
                                        ; kill: killed $vgpr0_vgpr1
	s_branch .LBB34_51
.LBB34_49:
	buffer_load_dword v17, off, s[36:39], 0 offset:156 ; 4-byte Folded Reload
.LBB34_50:
	s_cbranch_execnz .LBB34_83
.LBB34_51:
	v_mov_b32_e32 v0, 0
	v_mov_b32_e32 v1, 0
	buffer_store_dword v0, off, s[36:39], 0 ; 4-byte Folded Spill
	s_nop 0
	buffer_store_dword v1, off, s[36:39], 0 offset:4 ; 4-byte Folded Spill
	v_mov_b32_e32 v0, 0
	s_and_b64 vcc, exec, s[0:1]
	v_mov_b32_e32 v1, 0
	buffer_store_dword v0, off, s[36:39], 0 offset:8 ; 4-byte Folded Spill
	s_nop 0
	buffer_store_dword v1, off, s[36:39], 0 offset:12 ; 4-byte Folded Spill
	s_cbranch_vccnz .LBB34_83
; %bb.52:
	buffer_load_dword v7, off, s[36:39], 0 offset:72 ; 4-byte Folded Reload
	s_load_dword s7, s[4:5], 0x44
	s_add_u32 s2, s4, 64
	s_addc_u32 s3, s5, 0
	v_mov_b32_e32 v6, s17
	v_mov_b32_e32 v11, s15
	s_waitcnt lgkmcnt(0)
	s_lshl_b32 s7, s7, 7
	s_waitcnt vmcnt(0)
	v_lshlrev_b32_e32 v0, 3, v7
	v_add_co_u32_e32 v4, vcc, s10, v0
	v_addc_co_u32_e64 v5, s[0:1], 0, 0, vcc
	buffer_store_dword v0, off, s[36:39], 0 offset:192 ; 4-byte Folded Spill
	v_mul_lo_u32 v0, s15, v4
	v_mul_lo_u32 v1, s14, v5
	v_mad_u64_u32 v[2:3], s[0:1], s14, v4, 0
	s_mul_i32 s0, s15, s7
	s_mul_hi_u32 s1, s14, s7
	v_add3_u32 v3, v3, v1, v0
	v_lshlrev_b64 v[0:1], 3, v[2:3]
	s_add_i32 s1, s1, s0
	v_add_co_u32_e32 v8, vcc, s16, v0
	v_addc_co_u32_e32 v6, vcc, v6, v1, vcc
	s_mul_i32 s0, s14, s7
	buffer_store_dword v6, off, s[36:39], 0 offset:20 ; 4-byte Folded Spill
	s_lshl_b64 s[8:9], s[0:1], 3
	v_mov_b32_e32 v6, s19
	v_add_co_u32_e32 v0, vcc, s18, v0
	buffer_store_dword v0, off, s[36:39], 0 offset:24 ; 4-byte Folded Spill
	v_addc_co_u32_e32 v0, vcc, v6, v1, vcc
	s_add_u32 s24, s10, 0x7f
	buffer_store_dword v0, off, s[36:39], 0 offset:28 ; 4-byte Folded Spill
	s_addc_u32 s25, 0, 0
	v_lshlrev_b32_e32 v0, 6, v7
	s_lshl_b64 s[0:1], s[10:11], 3
	v_mov_b32_e32 v1, s1
	v_add_co_u32_e32 v6, vcc, s0, v0
	v_addc_co_u32_e32 v7, vcc, 0, v1, vcc
	buffer_store_dword v8, off, s[36:39], 0 offset:16 ; 4-byte Folded Spill
	v_add_co_u32_e32 v8, vcc, 8, v6
	v_addc_co_u32_e32 v9, vcc, 0, v7, vcc
	v_mov_b32_e32 v0, s16
	v_mul_lo_u32 v12, s14, v9
	v_mov_b32_e32 v9, s18
	v_mov_b32_e32 v1, s17
	v_mov_b32_e32 v10, s19
	v_mad_u64_u32 v[23:24], s[0:1], s14, v8, v[0:1]
	v_mul_lo_u32 v13, s15, v8
	v_mad_u64_u32 v[25:26], s[0:1], s14, v8, v[9:10]
	v_add_co_u32_e32 v8, vcc, 16, v6
	v_addc_co_u32_e32 v14, vcc, 0, v7, vcc
	v_add_co_u32_e32 v2, vcc, s14, v2
	v_addc_co_u32_e32 v3, vcc, v3, v11, vcc
	v_mul_lo_u32 v15, s15, v8
	v_mad_u64_u32 v[27:28], s[0:1], s14, v8, v[0:1]
	v_mad_u64_u32 v[29:30], s[0:1], s14, v8, v[9:10]
	v_add_co_u32_e32 v8, vcc, 24, v6
	v_addc_co_u32_e32 v11, vcc, 0, v7, vcc
	v_add3_u32 v24, v13, v24, v12
	v_add3_u32 v26, v13, v26, v12
	v_mul_lo_u32 v11, s14, v11
	v_mul_lo_u32 v12, s15, v8
	v_mad_u64_u32 v[31:32], s[0:1], s14, v8, v[0:1]
	v_mad_u64_u32 v[33:34], s[0:1], s14, v8, v[9:10]
	v_add_co_u32_e32 v8, vcc, 32, v6
	v_mul_lo_u32 v14, s14, v14
	v_addc_co_u32_e32 v13, vcc, 0, v7, vcc
	v_mul_lo_u32 v16, s15, v8
	v_mad_u64_u32 v[35:36], s[0:1], s14, v8, v[0:1]
	v_mad_u64_u32 v[37:38], s[0:1], s14, v8, v[9:10]
	v_add_co_u32_e32 v8, vcc, 40, v6
	v_add3_u32 v32, v12, v32, v11
	v_add3_u32 v34, v12, v34, v11
	v_addc_co_u32_e32 v11, vcc, 0, v7, vcc
	v_mul_lo_u32 v12, s15, v8
	v_mad_u64_u32 v[39:40], s[0:1], s14, v8, v[0:1]
	v_mad_u64_u32 v[41:42], s[0:1], s14, v8, v[9:10]
	v_add_co_u32_e32 v8, vcc, 48, v6
	v_add3_u32 v28, v15, v28, v14
	v_add3_u32 v30, v15, v30, v14
	v_addc_co_u32_e32 v14, vcc, 0, v7, vcc
	v_add_co_u32_e32 v6, vcc, 56, v6
	v_addc_co_u32_e32 v7, vcc, 0, v7, vcc
	v_mad_u64_u32 v[43:44], s[0:1], s14, v8, v[0:1]
	v_mad_u64_u32 v[47:48], s[0:1], s14, v6, v[0:1]
	v_add_co_u32_e32 v0, vcc, 7, v4
	v_addc_co_u32_e32 v1, vcc, 0, v5, vcc
	v_mul_lo_u32 v15, s15, v8
	v_mad_u64_u32 v[45:46], s[0:1], s14, v8, v[9:10]
	v_mad_u64_u32 v[49:50], s[0:1], s14, v6, v[9:10]
	v_mul_lo_u32 v8, s14, v1
	v_mul_lo_u32 v9, s15, v0
	v_mad_u64_u32 v[0:1], s[0:1], s14, v0, 0
	v_mul_lo_u32 v7, s14, v7
	v_mul_lo_u32 v6, s15, v6
	v_add3_u32 v1, v1, v8, v9
	v_lshlrev_b64 v[0:1], 3, v[0:1]
	v_mov_b32_e32 v8, s19
	v_add3_u32 v48, v6, v48, v7
	v_add3_u32 v50, v6, v50, v7
	v_mov_b32_e32 v6, s17
	v_add_co_u32_e32 v7, vcc, s16, v0
	v_addc_co_u32_e32 v6, vcc, v6, v1, vcc
	buffer_store_dword v6, off, s[36:39], 0 offset:36 ; 4-byte Folded Spill
	v_add_co_u32_e32 v6, vcc, 6, v4
	buffer_store_dword v7, off, s[36:39], 0 offset:32 ; 4-byte Folded Spill
	v_addc_co_u32_e32 v7, vcc, 0, v5, vcc
	v_mul_lo_u32 v9, s14, v7
	v_mul_lo_u32 v10, s15, v6
	v_mad_u64_u32 v[6:7], s[0:1], s14, v6, 0
	v_add_co_u32_e32 v0, vcc, s18, v0
	buffer_store_dword v0, off, s[36:39], 0 offset:40 ; 4-byte Folded Spill
	v_addc_co_u32_e32 v0, vcc, v8, v1, vcc
	v_add3_u32 v7, v7, v9, v10
	buffer_store_dword v0, off, s[36:39], 0 offset:44 ; 4-byte Folded Spill
	v_lshlrev_b64 v[0:1], 3, v[6:7]
	v_mov_b32_e32 v6, s17
	v_add_co_u32_e32 v7, vcc, s16, v0
	v_addc_co_u32_e32 v6, vcc, v6, v1, vcc
	buffer_store_dword v6, off, s[36:39], 0 offset:52 ; 4-byte Folded Spill
	v_add_co_u32_e32 v6, vcc, 5, v4
	buffer_store_dword v7, off, s[36:39], 0 offset:48 ; 4-byte Folded Spill
	v_addc_co_u32_e32 v7, vcc, 0, v5, vcc
	v_mul_lo_u32 v9, s14, v7
	v_mul_lo_u32 v10, s15, v6
	v_mad_u64_u32 v[6:7], s[0:1], s14, v6, 0
	v_add_co_u32_e32 v0, vcc, s18, v0
	buffer_store_dword v0, off, s[36:39], 0 offset:56 ; 4-byte Folded Spill
	v_addc_co_u32_e32 v0, vcc, v8, v1, vcc
	v_add3_u32 v7, v7, v9, v10
	buffer_store_dword v0, off, s[36:39], 0 offset:60 ; 4-byte Folded Spill
	v_lshlrev_b64 v[0:1], 3, v[6:7]
	;; [unrolled: 16-line block ×3, first 2 shown]
	v_mov_b32_e32 v6, s17
	v_add_co_u32_e32 v7, vcc, s16, v0
	v_addc_co_u32_e32 v6, vcc, v6, v1, vcc
	buffer_store_dword v6, off, s[36:39], 0 offset:96 ; 4-byte Folded Spill
	v_mov_b32_e32 v6, s19
	v_add_co_u32_e32 v0, vcc, s18, v0
	buffer_store_dword v0, off, s[36:39], 0 offset:100 ; 4-byte Folded Spill
	v_addc_co_u32_e32 v0, vcc, v6, v1, vcc
	buffer_store_dword v0, off, s[36:39], 0 offset:104 ; 4-byte Folded Spill
	v_add_co_u32_e32 v0, vcc, 3, v4
	v_addc_co_u32_e32 v1, vcc, 0, v5, vcc
	buffer_store_dword v7, off, s[36:39], 0 offset:92 ; 4-byte Folded Spill
	v_mul_lo_u32 v6, s14, v1
	v_mul_lo_u32 v7, s15, v0
	v_mad_u64_u32 v[0:1], s[0:1], s14, v0, 0
	v_mul_lo_u32 v13, s14, v13
	v_mul_lo_u32 v11, s14, v11
	v_add3_u32 v1, v1, v6, v7
	v_lshlrev_b64 v[0:1], 3, v[0:1]
	v_mov_b32_e32 v6, s17
	v_add_co_u32_e32 v7, vcc, s16, v0
	v_addc_co_u32_e32 v6, vcc, v6, v1, vcc
	buffer_store_dword v6, off, s[36:39], 0 offset:112 ; 4-byte Folded Spill
	v_mov_b32_e32 v6, s19
	v_add_co_u32_e32 v0, vcc, s18, v0
	buffer_store_dword v0, off, s[36:39], 0 offset:116 ; 4-byte Folded Spill
	v_addc_co_u32_e32 v0, vcc, v6, v1, vcc
	buffer_store_dword v0, off, s[36:39], 0 offset:120 ; 4-byte Folded Spill
	v_add_co_u32_e32 v0, vcc, 2, v4
	v_addc_co_u32_e32 v1, vcc, 0, v5, vcc
	v_mul_lo_u32 v4, s14, v1
	v_mul_lo_u32 v5, s15, v0
	v_mad_u64_u32 v[0:1], s[0:1], s14, v0, 0
	buffer_store_dword v7, off, s[36:39], 0 offset:108 ; 4-byte Folded Spill
	v_mul_lo_u32 v14, s14, v14
	v_add3_u32 v1, v1, v4, v5
	v_lshlrev_b64 v[0:1], 3, v[0:1]
	v_mov_b32_e32 v4, s17
	v_add_co_u32_e32 v5, vcc, s16, v0
	v_addc_co_u32_e32 v4, vcc, v4, v1, vcc
	buffer_store_dword v4, off, s[36:39], 0 offset:128 ; 4-byte Folded Spill
	v_mov_b32_e32 v4, s19
	v_add_co_u32_e32 v0, vcc, s18, v0
	buffer_store_dword v0, off, s[36:39], 0 offset:132 ; 4-byte Folded Spill
	v_addc_co_u32_e32 v0, vcc, v4, v1, vcc
	buffer_store_dword v0, off, s[36:39], 0 offset:136 ; 4-byte Folded Spill
	v_lshlrev_b64 v[0:1], 3, v[2:3]
	v_mov_b32_e32 v2, s17
	v_add_co_u32_e32 v3, vcc, s16, v0
	v_addc_co_u32_e32 v2, vcc, v2, v1, vcc
	buffer_store_dword v2, off, s[36:39], 0 offset:144 ; 4-byte Folded Spill
	v_mov_b32_e32 v2, s19
	v_add_co_u32_e32 v0, vcc, s18, v0
	buffer_store_dword v0, off, s[36:39], 0 offset:148 ; 4-byte Folded Spill
	v_addc_co_u32_e32 v0, vcc, v2, v1, vcc
	v_mov_b32_e32 v2, 0
	buffer_store_dword v5, off, s[36:39], 0 offset:124 ; 4-byte Folded Spill
	buffer_store_dword v3, off, s[36:39], 0 offset:140 ; 4-byte Folded Spill
	;; [unrolled: 1-line block ×4, first 2 shown]
	v_add_u32_e32 v0, s33, v17
	v_mov_b32_e32 v1, v2
	v_lshlrev_b64 v[51:52], 3, v[0:1]
	v_mbcnt_lo_u32_b32 v0, -1, 0
	v_mbcnt_hi_u32_b32 v0, -1, v0
	v_lshlrev_b32_e32 v0, 2, v0
	v_and_b32_e32 v63, 0x100, v0
	v_mov_b32_e32 v0, 0
	v_mov_b32_e32 v1, 0
	buffer_store_dword v0, off, s[36:39], 0 offset:8 ; 4-byte Folded Spill
	s_nop 0
	buffer_store_dword v1, off, s[36:39], 0 offset:12 ; 4-byte Folded Spill
	v_mov_b32_e32 v0, 0
	v_add3_u32 v36, v16, v36, v13
	v_add3_u32 v38, v16, v38, v13
	;; [unrolled: 1-line block ×6, first 2 shown]
	v_mov_b32_e32 v1, 0
	buffer_store_dword v0, off, s[36:39], 0 ; 4-byte Folded Spill
	s_nop 0
	buffer_store_dword v1, off, s[36:39], 0 offset:4 ; 4-byte Folded Spill
	s_branch .LBB34_56
.LBB34_53:                              ;   in Loop: Header=BB34_56 Depth=1
	s_or_b64 exec, exec, s[16:17]
.LBB34_54:                              ;   in Loop: Header=BB34_56 Depth=1
	s_or_b64 exec, exec, s[0:1]
	buffer_load_dword v0, off, s[36:39], 0 offset:24 ; 4-byte Folded Reload
	buffer_load_dword v1, off, s[36:39], 0 offset:28 ; 4-byte Folded Reload
	s_waitcnt vmcnt(3)
	ds_bpermute_b32 v17, v63, v5
	ds_bpermute_b32 v18, v63, v6
	ds_bpermute_b32 v19, v63, v5 offset:4
	ds_bpermute_b32 v20, v63, v6 offset:4
	s_waitcnt vmcnt(1)
	v_add_co_u32_e32 v0, vcc, v0, v51
	s_waitcnt vmcnt(0)
	v_addc_co_u32_e32 v1, vcc, v1, v52, vcc
	global_load_dwordx2 v[11:12], v[0:1], off
	s_waitcnt vmcnt(0) lgkmcnt(2)
	v_add_f64 v[11:12], v[11:12], -v[17:18]
	buffer_load_dword v0, off, s[36:39], 0 offset:16 ; 4-byte Folded Reload
	buffer_load_dword v1, off, s[36:39], 0 offset:20 ; 4-byte Folded Reload
	ds_bpermute_b32 v17, v63, v3
	ds_bpermute_b32 v18, v63, v4
	s_waitcnt vmcnt(1)
	v_add_co_u32_e32 v0, vcc, v0, v51
	s_waitcnt vmcnt(0)
	v_addc_co_u32_e32 v1, vcc, v1, v52, vcc
	global_load_dwordx2 v[9:10], v[0:1], off
	v_add_co_u32_e32 v0, vcc, v25, v51
	v_addc_co_u32_e32 v1, vcc, v26, v52, vcc
	global_load_dwordx2 v[13:14], v[0:1], off
	v_add_co_u32_e32 v0, vcc, v23, v51
	v_addc_co_u32_e32 v1, vcc, v24, v52, vcc
	v_add_co_u32_e32 v7, vcc, v29, v51
	v_addc_co_u32_e32 v8, vcc, v30, v52, vcc
	global_load_dwordx2 v[0:1], v[0:1], off
	s_nop 0
	global_load_dwordx2 v[15:16], v[7:8], off
	v_add_co_u32_e32 v7, vcc, v27, v51
	v_addc_co_u32_e32 v8, vcc, v28, v52, vcc
	global_load_dwordx2 v[7:8], v[7:8], off
	s_nop 0
	buffer_load_dword v21, off, s[36:39], 0 offset:8 ; 4-byte Folded Reload
	buffer_load_dword v22, off, s[36:39], 0 offset:12 ; 4-byte Folded Reload
	s_waitcnt vmcnt(6)
	v_mul_f64 v[11:12], v[9:10], v[11:12]
	s_waitcnt vmcnt(5) lgkmcnt(2)
	v_add_f64 v[13:14], v[13:14], -v[19:20]
	s_waitcnt vmcnt(4)
	v_mul_f64 v[13:14], v[0:1], v[13:14]
	s_waitcnt vmcnt(0) lgkmcnt(0)
	v_fma_f64 v[11:12], v[11:12], v[17:18], v[21:22]
	v_add_co_u32_e32 v17, vcc, v33, v51
	v_addc_co_u32_e32 v18, vcc, v34, v52, vcc
	global_load_dwordx2 v[17:18], v[17:18], off
	ds_bpermute_b32 v21, v63, v5 offset:8
	ds_bpermute_b32 v22, v63, v6 offset:8
	v_add_co_u32_e32 v19, vcc, v31, v51
	v_addc_co_u32_e32 v20, vcc, v32, v52, vcc
	s_waitcnt lgkmcnt(0)
	v_add_f64 v[15:16], v[15:16], -v[21:22]
	global_load_dwordx2 v[19:20], v[19:20], off
	ds_bpermute_b32 v21, v63, v3 offset:4
	ds_bpermute_b32 v22, v63, v4 offset:4
	s_waitcnt lgkmcnt(0)
	v_fma_f64 v[11:12], v[13:14], v[21:22], v[11:12]
	v_mul_f64 v[15:16], v[7:8], v[15:16]
	ds_bpermute_b32 v13, v63, v3 offset:8
	ds_bpermute_b32 v14, v63, v4 offset:8
	v_add_co_u32_e32 v21, vcc, v37, v51
	v_addc_co_u32_e32 v22, vcc, v38, v52, vcc
	global_load_dwordx2 v[21:22], v[21:22], off
	s_waitcnt lgkmcnt(0)
	v_fma_f64 v[11:12], v[15:16], v[13:14], v[11:12]
	v_add_co_u32_e32 v13, vcc, v41, v51
	v_addc_co_u32_e32 v14, vcc, v42, v52, vcc
	global_load_dwordx2 v[13:14], v[13:14], off
	s_nop 0
	buffer_load_dword v53, off, s[36:39], 0 ; 4-byte Folded Reload
	buffer_load_dword v54, off, s[36:39], 0 offset:4 ; 4-byte Folded Reload
	ds_bpermute_b32 v15, v63, v5 offset:12
	ds_bpermute_b32 v16, v63, v6 offset:12
	s_waitcnt vmcnt(5) lgkmcnt(0)
	v_add_f64 v[15:16], v[17:18], -v[15:16]
	ds_bpermute_b32 v17, v63, v3 offset:12
	ds_bpermute_b32 v18, v63, v4 offset:12
	s_waitcnt vmcnt(4)
	v_mul_f64 v[15:16], v[19:20], v[15:16]
	s_waitcnt lgkmcnt(0)
	v_fma_f64 v[11:12], v[15:16], v[17:18], v[11:12]
	ds_bpermute_b32 v15, v63, v5 offset:16
	ds_bpermute_b32 v16, v63, v6 offset:16
	v_add_co_u32_e32 v17, vcc, v35, v51
	v_addc_co_u32_e32 v18, vcc, v36, v52, vcc
	s_waitcnt vmcnt(3) lgkmcnt(0)
	v_add_f64 v[15:16], v[21:22], -v[15:16]
	v_add_co_u32_e32 v21, vcc, v45, v51
	v_addc_co_u32_e32 v22, vcc, v46, v52, vcc
	global_load_dwordx2 v[17:18], v[17:18], off
	s_nop 0
	global_load_dwordx2 v[21:22], v[21:22], off
	s_waitcnt vmcnt(2)
	v_add_f64 v[9:10], v[53:54], v[9:10]
	ds_bpermute_b32 v53, v63, v5 offset:20
	ds_bpermute_b32 v54, v63, v6 offset:20
	s_waitcnt lgkmcnt(0)
	v_add_f64 v[13:14], v[13:14], -v[53:54]
	v_add_co_u32_e32 v53, vcc, v39, v51
	v_addc_co_u32_e32 v54, vcc, v40, v52, vcc
	global_load_dwordx2 v[53:54], v[53:54], off
	v_add_f64 v[0:1], v[9:10], v[0:1]
	v_add_co_u32_e32 v9, vcc, v43, v51
	v_addc_co_u32_e32 v10, vcc, v44, v52, vcc
	global_load_dwordx2 v[9:10], v[9:10], off
	v_add_f64 v[0:1], v[0:1], v[7:8]
	v_add_co_u32_e32 v7, vcc, v49, v51
	v_addc_co_u32_e32 v8, vcc, v50, v52, vcc
	global_load_dwordx2 v[7:8], v[7:8], off
	v_add_f64 v[0:1], v[0:1], v[19:20]
	ds_bpermute_b32 v19, v63, v5 offset:24
	ds_bpermute_b32 v20, v63, v6 offset:24
	;; [unrolled: 1-line block ×4, first 2 shown]
	s_waitcnt vmcnt(4)
	v_mul_f64 v[15:16], v[17:18], v[15:16]
	s_waitcnt vmcnt(3) lgkmcnt(2)
	v_add_f64 v[19:20], v[21:22], -v[19:20]
	ds_bpermute_b32 v21, v63, v3 offset:16
	ds_bpermute_b32 v22, v63, v4 offset:16
	v_add_f64 v[0:1], v[0:1], v[17:18]
	ds_bpermute_b32 v17, v63, v3 offset:20
	ds_bpermute_b32 v18, v63, v4 offset:20
	s_waitcnt lgkmcnt(2)
	v_fma_f64 v[11:12], v[15:16], v[21:22], v[11:12]
	v_add_co_u32_e32 v15, vcc, v47, v51
	v_addc_co_u32_e32 v16, vcc, v48, v52, vcc
	ds_bpermute_b32 v21, v63, v3 offset:28
	ds_bpermute_b32 v22, v63, v4 offset:28
	s_waitcnt vmcnt(2)
	v_mul_f64 v[13:14], v[53:54], v[13:14]
	v_add_f64 v[0:1], v[0:1], v[53:54]
	s_waitcnt vmcnt(1)
	v_mul_f64 v[19:20], v[9:10], v[19:20]
	s_waitcnt lgkmcnt(2)
	v_fma_f64 v[11:12], v[13:14], v[17:18], v[11:12]
	global_load_dwordx2 v[17:18], v[15:16], off
	ds_bpermute_b32 v13, v63, v3 offset:24
	ds_bpermute_b32 v14, v63, v4 offset:24
	v_add_f64 v[0:1], v[0:1], v[9:10]
	s_waitcnt vmcnt(1)
	v_add_f64 v[5:6], v[7:8], -v[5:6]
	s_waitcnt lgkmcnt(0)
	v_fma_f64 v[3:4], v[19:20], v[13:14], v[11:12]
	s_waitcnt vmcnt(0)
	v_mul_f64 v[5:6], v[17:18], v[5:6]
	v_mul_f64 v[5:6], v[5:6], v[21:22]
.LBB34_55:                              ;   in Loop: Header=BB34_56 Depth=1
	v_add_f64 v[3:4], v[3:4], v[5:6]
	v_add_f64 v[0:1], v[0:1], v[17:18]
	s_add_u32 s10, s10, s7
	s_addc_u32 s11, s11, 0
	s_add_u32 s24, s24, s7
	s_addc_u32 s25, s25, 0
	buffer_store_dword v3, off, s[36:39], 0 offset:8 ; 4-byte Folded Spill
	s_nop 0
	buffer_store_dword v4, off, s[36:39], 0 offset:12 ; 4-byte Folded Spill
	buffer_store_dword v0, off, s[36:39], 0 ; 4-byte Folded Spill
	s_nop 0
	buffer_store_dword v1, off, s[36:39], 0 offset:4 ; 4-byte Folded Spill
	buffer_load_dword v0, off, s[36:39], 0 offset:16 ; 4-byte Folded Reload
	s_nop 0
	buffer_load_dword v1, off, s[36:39], 0 offset:20 ; 4-byte Folded Reload
	s_waitcnt vmcnt(1)
	v_add_co_u32_e32 v0, vcc, s8, v0
	buffer_store_dword v0, off, s[36:39], 0 offset:16 ; 4-byte Folded Spill
	v_mov_b32_e32 v0, s9
	s_waitcnt vmcnt(1)
	v_addc_co_u32_e32 v1, vcc, v1, v0, vcc
	buffer_store_dword v1, off, s[36:39], 0 offset:20 ; 4-byte Folded Spill
	buffer_load_dword v1, off, s[36:39], 0 offset:24 ; 4-byte Folded Reload
	s_waitcnt vmcnt(0)
	v_add_co_u32_e32 v1, vcc, s8, v1
	buffer_store_dword v1, off, s[36:39], 0 offset:24 ; 4-byte Folded Spill
	buffer_load_dword v1, off, s[36:39], 0 offset:28 ; 4-byte Folded Reload
	s_waitcnt vmcnt(0)
	v_addc_co_u32_e32 v1, vcc, v1, v0, vcc
	buffer_store_dword v1, off, s[36:39], 0 offset:28 ; 4-byte Folded Spill
	buffer_load_dword v1, off, s[36:39], 0 offset:32 ; 4-byte Folded Reload
	v_add_co_u32_e32 v23, vcc, s8, v23
	v_addc_co_u32_e32 v24, vcc, v24, v0, vcc
	v_add_co_u32_e32 v27, vcc, s8, v27
	v_addc_co_u32_e32 v28, vcc, v28, v0, vcc
	;; [unrolled: 2-line block ×14, first 2 shown]
	s_waitcnt vmcnt(0)
	v_add_co_u32_e32 v1, vcc, s8, v1
	buffer_store_dword v1, off, s[36:39], 0 offset:32 ; 4-byte Folded Spill
	buffer_load_dword v1, off, s[36:39], 0 offset:36 ; 4-byte Folded Reload
	s_waitcnt vmcnt(0)
	v_addc_co_u32_e32 v1, vcc, v1, v0, vcc
	buffer_store_dword v1, off, s[36:39], 0 offset:36 ; 4-byte Folded Spill
	buffer_load_dword v1, off, s[36:39], 0 offset:40 ; 4-byte Folded Reload
	s_waitcnt vmcnt(0)
	v_add_co_u32_e32 v1, vcc, s8, v1
	buffer_store_dword v1, off, s[36:39], 0 offset:40 ; 4-byte Folded Spill
	buffer_load_dword v1, off, s[36:39], 0 offset:44 ; 4-byte Folded Reload
	s_waitcnt vmcnt(0)
	v_addc_co_u32_e32 v1, vcc, v1, v0, vcc
	buffer_store_dword v1, off, s[36:39], 0 offset:44 ; 4-byte Folded Spill
	buffer_load_dword v1, off, s[36:39], 0 offset:48 ; 4-byte Folded Reload
	;; [unrolled: 8-line block ×13, first 2 shown]
	s_waitcnt vmcnt(0)
	v_add_co_u32_e32 v1, vcc, s8, v1
	buffer_store_dword v1, off, s[36:39], 0 offset:148 ; 4-byte Folded Spill
	buffer_load_dword v1, off, s[36:39], 0 offset:152 ; 4-byte Folded Reload
	s_waitcnt vmcnt(0)
	v_addc_co_u32_e32 v1, vcc, v1, v0, vcc
	buffer_store_dword v1, off, s[36:39], 0 offset:152 ; 4-byte Folded Spill
	v_mov_b32_e32 v0, s12
	v_mov_b32_e32 v1, s13
	v_cmp_ge_i64_e32 vcc, s[10:11], v[0:1]
	s_cbranch_vccnz .LBB34_82
.LBB34_56:                              ; =>This Inner Loop Header: Depth=1
	v_mov_b32_e32 v0, s12
	v_mov_b32_e32 v1, s13
	v_cmp_ge_i64_e32 vcc, s[24:25], v[0:1]
	buffer_load_dword v1, off, s[36:39], 0 offset:192 ; 4-byte Folded Reload
	v_mov_b32_e32 v0, s25
	s_and_b64 vcc, exec, vcc
                                        ; implicit-def: $vgpr17_vgpr18
                                        ; implicit-def: $vgpr5_vgpr6
                                        ; implicit-def: $vgpr3_vgpr4
	s_waitcnt vmcnt(0)
	v_add_co_u32_e64 v61, s[0:1], s24, v1
	v_addc_co_u32_e64 v62, s[0:1], 0, v0, s[0:1]
	s_mov_b64 s[0:1], -1
                                        ; implicit-def: $vgpr0_vgpr1
	s_cbranch_vccz .LBB34_78
; %bb.57:                               ;   in Loop: Header=BB34_56 Depth=1
	v_mov_b32_e32 v0, 0
	v_mov_b32_e32 v1, 0
	s_load_dword s0, s[2:3], 0xc
	buffer_store_dword v0, off, s[36:39], 0 offset:160 ; 4-byte Folded Spill
	s_nop 0
	buffer_store_dword v1, off, s[36:39], 0 offset:164 ; 4-byte Folded Spill
	buffer_load_dword v0, off, s[36:39], 0 offset:156 ; 4-byte Folded Reload
	s_nop 0
	buffer_load_dword v1, off, s[36:39], 0 offset:72 ; 4-byte Folded Reload
	v_mov_b32_e32 v55, 0
	v_mov_b32_e32 v53, 0
	s_waitcnt lgkmcnt(0)
	s_and_b32 s0, s0, 0xffff
	v_mov_b32_e32 v56, 0
	v_mov_b32_e32 v54, 0
	s_waitcnt vmcnt(0)
	v_mad_u32_u24 v0, v1, s0, v0
	v_and_b32_e32 v0, 63, v0
	v_cmp_gt_u32_e32 vcc, 8, v0
	s_and_saveexec_b64 s[0:1], vcc
	s_cbranch_execz .LBB34_61
; %bb.58:                               ;   in Loop: Header=BB34_56 Depth=1
	v_add_co_u32_e32 v0, vcc, v61, v0
	v_addc_co_u32_e32 v1, vcc, 0, v62, vcc
	v_add_co_u32_e32 v0, vcc, 0xffffff81, v0
	v_addc_co_u32_e32 v1, vcc, -1, v1, vcc
	v_cmp_gt_i64_e32 vcc, s[12:13], v[0:1]
	v_mov_b32_e32 v53, 0
	v_mov_b32_e32 v55, 0
	;; [unrolled: 1-line block ×4, first 2 shown]
	s_and_saveexec_b64 s[16:17], vcc
	s_cbranch_execz .LBB34_60
; %bb.59:                               ;   in Loop: Header=BB34_56 Depth=1
	v_lshlrev_b64 v[0:1], 3, v[0:1]
	v_mov_b32_e32 v4, s23
	v_add_co_u32_e32 v3, vcc, s22, v0
	v_addc_co_u32_e32 v4, vcc, v4, v1, vcc
	v_mov_b32_e32 v5, s21
	v_add_co_u32_e32 v0, vcc, s20, v0
	v_addc_co_u32_e32 v1, vcc, v5, v1, vcc
	global_load_dwordx2 v[53:54], v[0:1], off
	global_load_dwordx2 v[55:56], v[3:4], off
.LBB34_60:                              ;   in Loop: Header=BB34_56 Depth=1
	s_or_b64 exec, exec, s[16:17]
.LBB34_61:                              ;   in Loop: Header=BB34_56 Depth=1
	s_or_b64 exec, exec, s[0:1]
	v_add_co_u32_e32 v0, vcc, 0xffffff81, v61
	v_addc_co_u32_e32 v1, vcc, -1, v62, vcc
	v_mov_b32_e32 v3, v2
	v_mov_b32_e32 v4, v2
	;; [unrolled: 1-line block ×15, first 2 shown]
	v_cmp_gt_i64_e32 vcc, s[12:13], v[0:1]
	v_mov_b32_e32 v18, v17
	v_mov_b32_e32 v17, v16
	v_mov_b32_e32 v16, v15
	v_mov_b32_e32 v15, v14
	v_mov_b32_e32 v14, v13
	v_mov_b32_e32 v13, v12
	v_mov_b32_e32 v12, v11
	v_mov_b32_e32 v11, v10
	v_mov_b32_e32 v10, v9
	v_mov_b32_e32 v9, v8
	v_mov_b32_e32 v8, v7
	v_mov_b32_e32 v7, v6
	v_mov_b32_e32 v6, v5
	v_mov_b32_e32 v5, v4
	v_mov_b32_e32 v4, v3
	v_mov_b32_e32 v3, v2
	s_and_saveexec_b64 s[0:1], vcc
	s_cbranch_execz .LBB34_63
; %bb.62:                               ;   in Loop: Header=BB34_56 Depth=1
	buffer_load_dword v0, off, s[36:39], 0 offset:16 ; 4-byte Folded Reload
	buffer_load_dword v1, off, s[36:39], 0 offset:20 ; 4-byte Folded Reload
	v_mov_b32_e32 v5, v2
	v_mov_b32_e32 v6, v2
	;; [unrolled: 1-line block ×14, first 2 shown]
	s_waitcnt vmcnt(1)
	v_add_co_u32_e32 v0, vcc, v0, v51
	s_waitcnt vmcnt(0)
	v_addc_co_u32_e32 v1, vcc, v1, v52, vcc
	global_load_dwordx2 v[3:4], v[0:1], off
	s_nop 0
	buffer_load_dword v0, off, s[36:39], 0 offset:24 ; 4-byte Folded Reload
	buffer_load_dword v1, off, s[36:39], 0 offset:28 ; 4-byte Folded Reload
	s_waitcnt vmcnt(1)
	v_add_co_u32_e32 v0, vcc, v0, v51
	s_waitcnt vmcnt(0)
	v_addc_co_u32_e32 v1, vcc, v1, v52, vcc
	global_load_dwordx2 v[0:1], v[0:1], off
	s_waitcnt vmcnt(0)
	buffer_store_dword v0, off, s[36:39], 0 offset:160 ; 4-byte Folded Spill
	s_nop 0
	buffer_store_dword v1, off, s[36:39], 0 offset:164 ; 4-byte Folded Spill
.LBB34_63:                              ;   in Loop: Header=BB34_56 Depth=1
	s_or_b64 exec, exec, s[0:1]
	v_add_co_u32_e32 v0, vcc, 0xffffff82, v61
	v_addc_co_u32_e32 v1, vcc, -1, v62, vcc
	v_cmp_gt_i64_e32 vcc, s[12:13], v[0:1]
	v_mov_b32_e32 v0, 0
	v_mov_b32_e32 v59, 0
	;; [unrolled: 1-line block ×4, first 2 shown]
	buffer_store_dword v0, off, s[36:39], 0 offset:184 ; 4-byte Folded Spill
	s_nop 0
	buffer_store_dword v1, off, s[36:39], 0 offset:188 ; 4-byte Folded Spill
	s_and_saveexec_b64 s[0:1], vcc
	s_cbranch_execz .LBB34_65
; %bb.64:                               ;   in Loop: Header=BB34_56 Depth=1
	buffer_load_dword v0, off, s[36:39], 0 offset:140 ; 4-byte Folded Reload
	s_waitcnt vmcnt(0)
	v_add_co_u32_e32 v5, vcc, v0, v51
	buffer_load_dword v0, off, s[36:39], 0 offset:144 ; 4-byte Folded Reload
	s_waitcnt vmcnt(0)
	v_addc_co_u32_e32 v6, vcc, v0, v52, vcc
	buffer_load_dword v0, off, s[36:39], 0 offset:148 ; 4-byte Folded Reload
	s_waitcnt vmcnt(0)
	v_add_co_u32_e32 v19, vcc, v0, v51
	buffer_load_dword v0, off, s[36:39], 0 offset:152 ; 4-byte Folded Reload
	s_waitcnt vmcnt(0)
	v_addc_co_u32_e32 v20, vcc, v0, v52, vcc
	global_load_dwordx2 v[5:6], v[5:6], off
	s_nop 0
	global_load_dwordx2 v[59:60], v[19:20], off
.LBB34_65:                              ;   in Loop: Header=BB34_56 Depth=1
	s_or_b64 exec, exec, s[0:1]
	v_add_co_u32_e32 v19, vcc, 0xffffff83, v61
	v_addc_co_u32_e32 v20, vcc, -1, v62, vcc
	v_cmp_gt_i64_e32 vcc, s[12:13], v[19:20]
	s_and_saveexec_b64 s[0:1], vcc
	s_cbranch_execz .LBB34_67
; %bb.66:                               ;   in Loop: Header=BB34_56 Depth=1
	buffer_load_dword v0, off, s[36:39], 0 offset:124 ; 4-byte Folded Reload
	buffer_load_dword v1, off, s[36:39], 0 offset:128 ; 4-byte Folded Reload
	s_waitcnt vmcnt(1)
	v_add_co_u32_e32 v0, vcc, v0, v51
	s_waitcnt vmcnt(0)
	v_addc_co_u32_e32 v1, vcc, v1, v52, vcc
	global_load_dwordx2 v[7:8], v[0:1], off
	s_nop 0
	buffer_load_dword v0, off, s[36:39], 0 offset:132 ; 4-byte Folded Reload
	buffer_load_dword v1, off, s[36:39], 0 offset:136 ; 4-byte Folded Reload
	s_waitcnt vmcnt(1)
	v_add_co_u32_e32 v0, vcc, v0, v51
	s_waitcnt vmcnt(0)
	v_addc_co_u32_e32 v1, vcc, v1, v52, vcc
	global_load_dwordx2 v[0:1], v[0:1], off
	s_waitcnt vmcnt(0)
	buffer_store_dword v0, off, s[36:39], 0 offset:184 ; 4-byte Folded Spill
	s_nop 0
	buffer_store_dword v1, off, s[36:39], 0 offset:188 ; 4-byte Folded Spill
.LBB34_67:                              ;   in Loop: Header=BB34_56 Depth=1
	s_or_b64 exec, exec, s[0:1]
	v_add_co_u32_e32 v19, vcc, 0xffffff84, v61
	v_addc_co_u32_e32 v20, vcc, -1, v62, vcc
	v_cmp_gt_i64_e32 vcc, s[12:13], v[19:20]
	v_mov_b32_e32 v0, 0
	v_mov_b32_e32 v57, 0
	;; [unrolled: 1-line block ×4, first 2 shown]
	buffer_store_dword v0, off, s[36:39], 0 offset:176 ; 4-byte Folded Spill
	s_nop 0
	buffer_store_dword v1, off, s[36:39], 0 offset:180 ; 4-byte Folded Spill
	s_and_saveexec_b64 s[0:1], vcc
	s_cbranch_execz .LBB34_69
; %bb.68:                               ;   in Loop: Header=BB34_56 Depth=1
	buffer_load_dword v0, off, s[36:39], 0 offset:108 ; 4-byte Folded Reload
	s_waitcnt vmcnt(0)
	v_add_co_u32_e32 v9, vcc, v0, v51
	buffer_load_dword v0, off, s[36:39], 0 offset:112 ; 4-byte Folded Reload
	s_waitcnt vmcnt(0)
	v_addc_co_u32_e32 v10, vcc, v0, v52, vcc
	buffer_load_dword v0, off, s[36:39], 0 offset:116 ; 4-byte Folded Reload
	s_waitcnt vmcnt(0)
	v_add_co_u32_e32 v21, vcc, v0, v51
	buffer_load_dword v0, off, s[36:39], 0 offset:120 ; 4-byte Folded Reload
	s_waitcnt vmcnt(0)
	v_addc_co_u32_e32 v22, vcc, v0, v52, vcc
	global_load_dwordx2 v[9:10], v[9:10], off
	s_nop 0
	global_load_dwordx2 v[57:58], v[21:22], off
.LBB34_69:                              ;   in Loop: Header=BB34_56 Depth=1
	s_or_b64 exec, exec, s[0:1]
	v_add_co_u32_e32 v21, vcc, 0xffffff85, v61
	v_addc_co_u32_e32 v22, vcc, -1, v62, vcc
	v_cmp_gt_i64_e32 vcc, s[12:13], v[21:22]
	s_and_saveexec_b64 s[0:1], vcc
	s_cbranch_execz .LBB34_71
; %bb.70:                               ;   in Loop: Header=BB34_56 Depth=1
	buffer_load_dword v0, off, s[36:39], 0 offset:92 ; 4-byte Folded Reload
	s_waitcnt vmcnt(0)
	v_add_co_u32_e32 v11, vcc, v0, v51
	buffer_load_dword v0, off, s[36:39], 0 offset:96 ; 4-byte Folded Reload
	s_waitcnt vmcnt(0)
	v_addc_co_u32_e32 v12, vcc, v0, v52, vcc
	buffer_load_dword v0, off, s[36:39], 0 offset:100 ; 4-byte Folded Reload
	s_waitcnt vmcnt(0)
	v_add_co_u32_e32 v19, vcc, v0, v51
	buffer_load_dword v0, off, s[36:39], 0 offset:104 ; 4-byte Folded Reload
	s_waitcnt vmcnt(0)
	v_addc_co_u32_e32 v20, vcc, v0, v52, vcc
	global_load_dwordx2 v[11:12], v[11:12], off
	s_nop 0
	global_load_dwordx2 v[0:1], v[19:20], off
	s_waitcnt vmcnt(0)
	buffer_store_dword v0, off, s[36:39], 0 offset:176 ; 4-byte Folded Spill
	s_nop 0
	buffer_store_dword v1, off, s[36:39], 0 offset:180 ; 4-byte Folded Spill
.LBB34_71:                              ;   in Loop: Header=BB34_56 Depth=1
	s_or_b64 exec, exec, s[0:1]
	v_add_co_u32_e32 v21, vcc, 0xffffff86, v61
	v_addc_co_u32_e32 v22, vcc, -1, v62, vcc
	v_cmp_gt_i64_e32 vcc, s[12:13], v[21:22]
	v_mov_b32_e32 v0, 0
	v_mov_b32_e32 v21, 0
	;; [unrolled: 1-line block ×4, first 2 shown]
	buffer_store_dword v0, off, s[36:39], 0 offset:168 ; 4-byte Folded Spill
	s_nop 0
	buffer_store_dword v1, off, s[36:39], 0 offset:172 ; 4-byte Folded Spill
	s_and_saveexec_b64 s[0:1], vcc
	s_cbranch_execz .LBB34_73
; %bb.72:                               ;   in Loop: Header=BB34_56 Depth=1
	buffer_load_dword v0, off, s[36:39], 0 offset:64 ; 4-byte Folded Reload
	s_waitcnt vmcnt(0)
	v_add_co_u32_e32 v13, vcc, v0, v51
	buffer_load_dword v0, off, s[36:39], 0 offset:76 ; 4-byte Folded Reload
	s_waitcnt vmcnt(0)
	v_addc_co_u32_e32 v14, vcc, v0, v52, vcc
	buffer_load_dword v0, off, s[36:39], 0 offset:80 ; 4-byte Folded Reload
	s_waitcnt vmcnt(0)
	v_add_co_u32_e32 v21, vcc, v0, v51
	buffer_load_dword v0, off, s[36:39], 0 offset:88 ; 4-byte Folded Reload
	s_waitcnt vmcnt(0)
	v_addc_co_u32_e32 v22, vcc, v0, v52, vcc
	global_load_dwordx2 v[13:14], v[13:14], off
	s_nop 0
	global_load_dwordx2 v[21:22], v[21:22], off
.LBB34_73:                              ;   in Loop: Header=BB34_56 Depth=1
	s_or_b64 exec, exec, s[0:1]
	v_add_co_u32_e32 v19, vcc, 0xffffff87, v61
	v_addc_co_u32_e32 v20, vcc, -1, v62, vcc
	v_cmp_gt_i64_e32 vcc, s[12:13], v[19:20]
	s_and_saveexec_b64 s[0:1], vcc
	s_cbranch_execz .LBB34_75
; %bb.74:                               ;   in Loop: Header=BB34_56 Depth=1
	buffer_load_dword v0, off, s[36:39], 0 offset:48 ; 4-byte Folded Reload
	s_waitcnt vmcnt(0)
	v_add_co_u32_e32 v15, vcc, v0, v51
	buffer_load_dword v0, off, s[36:39], 0 offset:52 ; 4-byte Folded Reload
	s_waitcnt vmcnt(0)
	v_addc_co_u32_e32 v16, vcc, v0, v52, vcc
	buffer_load_dword v0, off, s[36:39], 0 offset:56 ; 4-byte Folded Reload
	s_waitcnt vmcnt(0)
	v_add_co_u32_e32 v19, vcc, v0, v51
	buffer_load_dword v0, off, s[36:39], 0 offset:60 ; 4-byte Folded Reload
	s_waitcnt vmcnt(0)
	v_addc_co_u32_e32 v20, vcc, v0, v52, vcc
	global_load_dwordx2 v[15:16], v[15:16], off
	s_nop 0
	global_load_dwordx2 v[0:1], v[19:20], off
	s_waitcnt vmcnt(0)
	buffer_store_dword v0, off, s[36:39], 0 offset:168 ; 4-byte Folded Spill
	s_nop 0
	buffer_store_dword v1, off, s[36:39], 0 offset:172 ; 4-byte Folded Spill
.LBB34_75:                              ;   in Loop: Header=BB34_56 Depth=1
	s_or_b64 exec, exec, s[0:1]
	v_add_co_u32_e32 v19, vcc, 0xffffff88, v61
	v_addc_co_u32_e32 v20, vcc, -1, v62, vcc
	v_cmp_gt_i64_e32 vcc, s[12:13], v[19:20]
	v_mov_b32_e32 v0, 0
	v_mov_b32_e32 v1, 0
	s_waitcnt vmcnt(0)
	buffer_store_dword v21, off, s[36:39], 0 offset:204 ; 4-byte Folded Spill
	s_nop 0
	buffer_store_dword v22, off, s[36:39], 0 offset:208 ; 4-byte Folded Spill
	s_and_saveexec_b64 s[0:1], vcc
	s_cbranch_execz .LBB34_77
; %bb.76:                               ;   in Loop: Header=BB34_56 Depth=1
	buffer_load_dword v0, off, s[36:39], 0 offset:32 ; 4-byte Folded Reload
	s_waitcnt vmcnt(0)
	v_add_co_u32_e32 v17, vcc, v0, v51
	buffer_load_dword v0, off, s[36:39], 0 offset:36 ; 4-byte Folded Reload
	s_waitcnt vmcnt(0)
	v_addc_co_u32_e32 v18, vcc, v0, v52, vcc
	buffer_load_dword v0, off, s[36:39], 0 offset:40 ; 4-byte Folded Reload
	s_waitcnt vmcnt(0)
	v_add_co_u32_e32 v19, vcc, v0, v51
	buffer_load_dword v0, off, s[36:39], 0 offset:44 ; 4-byte Folded Reload
	s_waitcnt vmcnt(0)
	v_addc_co_u32_e32 v20, vcc, v0, v52, vcc
	global_load_dwordx2 v[17:18], v[17:18], off
	s_nop 0
	global_load_dwordx2 v[0:1], v[19:20], off
.LBB34_77:                              ;   in Loop: Header=BB34_56 Depth=1
	s_or_b64 exec, exec, s[0:1]
	s_waitcnt vmcnt(0)
	buffer_store_dword v0, off, s[36:39], 0 offset:196 ; 4-byte Folded Spill
	s_nop 0
	buffer_store_dword v1, off, s[36:39], 0 offset:200 ; 4-byte Folded Spill
	buffer_load_dword v21, off, s[36:39], 0 offset:160 ; 4-byte Folded Reload
	buffer_load_dword v22, off, s[36:39], 0 offset:164 ; 4-byte Folded Reload
	ds_bpermute_b32 v0, v63, v53
	ds_bpermute_b32 v1, v63, v54
	;; [unrolled: 1-line block ×4, first 2 shown]
	s_mov_b64 s[0:1], 0
	s_waitcnt vmcnt(0) lgkmcnt(2)
	v_add_f64 v[0:1], v[21:22], -v[0:1]
	buffer_load_dword v21, off, s[36:39], 0 offset:8 ; 4-byte Folded Reload
	buffer_load_dword v22, off, s[36:39], 0 offset:12 ; 4-byte Folded Reload
	v_mul_f64 v[0:1], v[3:4], v[0:1]
	s_waitcnt vmcnt(0) lgkmcnt(0)
	v_fma_f64 v[0:1], v[0:1], v[19:20], v[21:22]
	buffer_load_dword v19, off, s[36:39], 0 ; 4-byte Folded Reload
	buffer_load_dword v20, off, s[36:39], 0 offset:4 ; 4-byte Folded Reload
	ds_bpermute_b32 v21, v63, v53 offset:4
	ds_bpermute_b32 v22, v63, v54 offset:4
	s_waitcnt lgkmcnt(0)
	v_add_f64 v[21:22], v[59:60], -v[21:22]
	v_mul_f64 v[21:22], v[5:6], v[21:22]
	s_waitcnt vmcnt(0)
	v_add_f64 v[3:4], v[19:20], v[3:4]
	ds_bpermute_b32 v19, v63, v55 offset:4
	ds_bpermute_b32 v20, v63, v56 offset:4
	s_waitcnt lgkmcnt(0)
	v_fma_f64 v[0:1], v[21:22], v[19:20], v[0:1]
	buffer_load_dword v21, off, s[36:39], 0 offset:184 ; 4-byte Folded Reload
	buffer_load_dword v22, off, s[36:39], 0 offset:188 ; 4-byte Folded Reload
	ds_bpermute_b32 v19, v63, v53 offset:8
	ds_bpermute_b32 v20, v63, v54 offset:8
	v_add_f64 v[3:4], v[5:6], v[3:4]
	ds_bpermute_b32 v5, v63, v55 offset:8
	ds_bpermute_b32 v6, v63, v56 offset:8
	v_add_f64 v[3:4], v[7:8], v[3:4]
	v_add_f64 v[3:4], v[9:10], v[3:4]
	;; [unrolled: 1-line block ×3, first 2 shown]
	s_waitcnt vmcnt(0) lgkmcnt(2)
	v_add_f64 v[19:20], v[21:22], -v[19:20]
	v_mul_f64 v[19:20], v[7:8], v[19:20]
	ds_bpermute_b32 v7, v63, v53 offset:12
	ds_bpermute_b32 v8, v63, v54 offset:12
	s_waitcnt lgkmcnt(0)
	v_add_f64 v[7:8], v[57:58], -v[7:8]
	v_fma_f64 v[0:1], v[19:20], v[5:6], v[0:1]
	ds_bpermute_b32 v5, v63, v55 offset:12
	ds_bpermute_b32 v6, v63, v56 offset:12
	v_mul_f64 v[7:8], v[9:10], v[7:8]
	buffer_load_dword v9, off, s[36:39], 0 offset:176 ; 4-byte Folded Reload
	buffer_load_dword v10, off, s[36:39], 0 offset:180 ; 4-byte Folded Reload
	s_waitcnt lgkmcnt(0)
	v_fma_f64 v[0:1], v[7:8], v[5:6], v[0:1]
	ds_bpermute_b32 v7, v63, v53 offset:16
	ds_bpermute_b32 v8, v63, v54 offset:16
	ds_bpermute_b32 v5, v63, v55 offset:16
	ds_bpermute_b32 v6, v63, v56 offset:16
	s_waitcnt vmcnt(0) lgkmcnt(2)
	v_add_f64 v[7:8], v[9:10], -v[7:8]
	buffer_load_dword v9, off, s[36:39], 0 offset:204 ; 4-byte Folded Reload
	buffer_load_dword v10, off, s[36:39], 0 offset:208 ; 4-byte Folded Reload
	v_mul_f64 v[7:8], v[11:12], v[7:8]
	s_waitcnt lgkmcnt(0)
	v_fma_f64 v[0:1], v[7:8], v[5:6], v[0:1]
	ds_bpermute_b32 v7, v63, v53 offset:20
	ds_bpermute_b32 v8, v63, v54 offset:20
	;; [unrolled: 1-line block ×4, first 2 shown]
	s_waitcnt vmcnt(0) lgkmcnt(2)
	v_add_f64 v[7:8], v[9:10], -v[7:8]
	buffer_load_dword v9, off, s[36:39], 0 offset:168 ; 4-byte Folded Reload
	buffer_load_dword v10, off, s[36:39], 0 offset:172 ; 4-byte Folded Reload
	v_mul_f64 v[7:8], v[13:14], v[7:8]
	s_waitcnt lgkmcnt(0)
	v_fma_f64 v[0:1], v[7:8], v[5:6], v[0:1]
	ds_bpermute_b32 v7, v63, v53 offset:24
	ds_bpermute_b32 v8, v63, v54 offset:24
	v_add_f64 v[5:6], v[13:14], v[3:4]
	ds_bpermute_b32 v3, v63, v55 offset:24
	ds_bpermute_b32 v4, v63, v56 offset:24
	s_waitcnt vmcnt(0) lgkmcnt(2)
	v_add_f64 v[7:8], v[9:10], -v[7:8]
	buffer_load_dword v9, off, s[36:39], 0 offset:196 ; 4-byte Folded Reload
	buffer_load_dword v10, off, s[36:39], 0 offset:200 ; 4-byte Folded Reload
	v_mul_f64 v[7:8], v[15:16], v[7:8]
	s_waitcnt lgkmcnt(0)
	v_fma_f64 v[3:4], v[7:8], v[3:4], v[0:1]
	ds_bpermute_b32 v7, v63, v53 offset:28
	ds_bpermute_b32 v8, v63, v54 offset:28
	v_add_f64 v[0:1], v[15:16], v[5:6]
	ds_bpermute_b32 v5, v63, v55 offset:28
	ds_bpermute_b32 v6, v63, v56 offset:28
	s_waitcnt vmcnt(0) lgkmcnt(2)
	v_add_f64 v[7:8], v[9:10], -v[7:8]
	v_mul_f64 v[7:8], v[17:18], v[7:8]
	s_waitcnt lgkmcnt(0)
	v_mul_f64 v[5:6], v[7:8], v[5:6]
.LBB34_78:                              ;   in Loop: Header=BB34_56 Depth=1
	s_and_b64 vcc, exec, s[0:1]
	s_cbranch_vccz .LBB34_55
; %bb.79:                               ;   in Loop: Header=BB34_56 Depth=1
	s_load_dword s0, s[2:3], 0x0
	v_mov_b32_e32 v3, 0
	v_mov_b32_e32 v4, 0
	s_waitcnt lgkmcnt(0)
	s_cmp_lt_u32 s6, s0
	s_cselect_b32 s0, 12, 18
	s_add_u32 s0, s2, s0
	s_addc_u32 s1, s3, 0
	global_load_ushort v0, v2, s[0:1]
	buffer_load_dword v1, off, s[36:39], 0 offset:156 ; 4-byte Folded Reload
	buffer_load_dword v5, off, s[36:39], 0 offset:72 ; 4-byte Folded Reload
	s_waitcnt vmcnt(0)
	v_mad_u32_u24 v0, v5, v0, v1
	v_and_b32_e32 v0, 63, v0
	v_mov_b32_e32 v5, 0
	v_mov_b32_e32 v6, 0
	v_cmp_gt_u32_e32 vcc, 8, v0
	s_and_saveexec_b64 s[0:1], vcc
	s_cbranch_execz .LBB34_54
; %bb.80:                               ;   in Loop: Header=BB34_56 Depth=1
	v_add_co_u32_e32 v0, vcc, v61, v0
	v_addc_co_u32_e32 v1, vcc, 0, v62, vcc
	v_add_co_u32_e32 v0, vcc, 0xffffff81, v0
	v_addc_co_u32_e32 v1, vcc, -1, v1, vcc
	v_cmp_gt_i64_e32 vcc, s[12:13], v[0:1]
	v_mov_b32_e32 v5, 0
	v_mov_b32_e32 v3, 0
	;; [unrolled: 1-line block ×4, first 2 shown]
	s_and_saveexec_b64 s[16:17], vcc
	s_cbranch_execz .LBB34_53
; %bb.81:                               ;   in Loop: Header=BB34_56 Depth=1
	v_lshlrev_b64 v[0:1], 3, v[0:1]
	v_mov_b32_e32 v4, s23
	v_add_co_u32_e32 v3, vcc, s22, v0
	v_addc_co_u32_e32 v4, vcc, v4, v1, vcc
	v_mov_b32_e32 v5, s21
	v_add_co_u32_e32 v0, vcc, s20, v0
	v_addc_co_u32_e32 v1, vcc, v5, v1, vcc
	global_load_dwordx2 v[5:6], v[0:1], off
	s_nop 0
	global_load_dwordx2 v[3:4], v[3:4], off
	s_branch .LBB34_53
.LBB34_82:
	buffer_load_dword v17, off, s[36:39], 0 offset:156 ; 4-byte Folded Reload
.LBB34_83:
	buffer_load_dword v1, off, s[36:39], 0 offset:72 ; 4-byte Folded Reload
	buffer_load_dword v2, off, s[36:39], 0 offset:8 ; 4-byte Folded Reload
	;; [unrolled: 1-line block ×3, first 2 shown]
	s_movk_i32 s0, 0x41
	s_waitcnt vmcnt(2)
	v_mad_u32_u24 v0, v1, s0, v17
	v_lshl_add_u32 v0, v0, 3, 0
	s_waitcnt vmcnt(0)
	ds_write_b64 v0, v[2:3]
	buffer_load_dword v2, off, s[36:39], 0  ; 4-byte Folded Reload
	buffer_load_dword v3, off, s[36:39], 0 offset:4 ; 4-byte Folded Reload
	s_waitcnt vmcnt(0)
	ds_write_b64 v0, v[2:3] offset:8320
	v_lshrrev_b32_e32 v0, 6, v17
	v_add_u32_e32 v8, v0, v1
	v_cmp_gt_u32_e32 vcc, 64, v8
	s_waitcnt lgkmcnt(0)
	s_barrier
	s_and_saveexec_b64 s[0:1], vcc
	s_cbranch_execz .LBB34_115
; %bb.84:
	s_load_dwordx4 s[8:11], s[4:5], 0x30
	v_and_b32_e32 v0, 63, v17
	v_cmp_gt_u32_e64 s[0:1], 16, v0
	v_mul_u32_u24_e32 v6, 0x41, v0
                                        ; implicit-def: $vgpr0_vgpr1
                                        ; implicit-def: $vgpr2_vgpr3
	s_and_saveexec_b64 s[2:3], s[0:1]
	s_cbranch_execz .LBB34_86
; %bb.85:
	v_add_u32_e32 v0, v8, v6
	v_lshl_add_u32 v0, v0, 3, 0
	ds_read_b64 v[2:3], v0
	ds_read_b64 v[0:1], v0 offset:8320
.LBB34_86:
	s_or_b64 exec, exec, s[2:3]
	v_mbcnt_lo_u32_b32 v4, -1, 0
	v_mbcnt_hi_u32_b32 v13, -1, v4
	v_and_b32_e32 v4, 64, v13
	v_add_u32_e32 v14, 64, v4
	v_xor_b32_e32 v4, 8, v13
	v_cmp_lt_i32_e32 vcc, v4, v14
	v_cndmask_b32_e32 v4, v13, v4, vcc
	v_lshlrev_b32_e32 v7, 2, v4
	s_waitcnt lgkmcnt(0)
	ds_bpermute_b32 v4, v7, v2
	ds_bpermute_b32 v5, v7, v3
	ds_bpermute_b32 v9, v7, v0
	ds_bpermute_b32 v10, v7, v1
	s_mov_b32 s7, 0
	s_lshl_b64 s[4:5], s[6:7], 6
	s_waitcnt lgkmcnt(2)
	v_add_f64 v[2:3], v[2:3], v[4:5]
	v_xor_b32_e32 v4, 4, v13
	s_waitcnt lgkmcnt(0)
	v_add_f64 v[0:1], v[0:1], v[9:10]
	v_cmp_lt_i32_e32 vcc, v4, v14
	v_cndmask_b32_e32 v4, v13, v4, vcc
	v_lshlrev_b32_e32 v9, 2, v4
	s_cmp_lg_u64 s[8:9], 0
	v_cmp_eq_u32_e64 s[2:3], 0, v17
	ds_bpermute_b32 v4, v9, v2
	ds_bpermute_b32 v5, v9, v3
	;; [unrolled: 1-line block ×4, first 2 shown]
	s_cselect_b64 s[12:13], -1, 0
	s_cmp_lg_u64 s[10:11], 0
	s_waitcnt lgkmcnt(2)
	v_add_f64 v[2:3], v[2:3], v[4:5]
	v_xor_b32_e32 v4, 2, v13
	s_waitcnt lgkmcnt(0)
	v_add_f64 v[0:1], v[0:1], v[10:11]
	v_cmp_lt_i32_e32 vcc, v4, v14
	v_cndmask_b32_e32 v4, v13, v4, vcc
	v_lshlrev_b32_e32 v10, 2, v4
	s_cselect_b64 s[6:7], -1, 0
	ds_bpermute_b32 v4, v10, v2
	ds_bpermute_b32 v5, v10, v3
	;; [unrolled: 1-line block ×4, first 2 shown]
	s_waitcnt lgkmcnt(2)
	v_add_f64 v[2:3], v[2:3], v[4:5]
	s_waitcnt lgkmcnt(0)
	v_add_f64 v[4:5], v[0:1], v[11:12]
	v_xor_b32_e32 v0, 1, v13
	v_cmp_lt_i32_e32 vcc, v0, v14
	v_cndmask_b32_e32 v0, v13, v0, vcc
	v_lshlrev_b32_e32 v11, 2, v0
	ds_bpermute_b32 v0, v11, v2
	ds_bpermute_b32 v1, v11, v3
	;; [unrolled: 1-line block ×4, first 2 shown]
	s_waitcnt lgkmcnt(2)
	v_add_f64 v[0:1], v[2:3], v[0:1]
	s_waitcnt lgkmcnt(0)
	v_add_f64 v[2:3], v[4:5], v[12:13]
	v_or_b32_e32 v4, s4, v8
	v_mov_b32_e32 v5, s5
	v_cmp_gt_i64_e32 vcc, s[14:15], v[4:5]
	s_and_b64 s[18:19], s[2:3], vcc
	s_and_saveexec_b64 s[16:17], s[18:19]
	s_cbranch_execz .LBB34_91
; %bb.87:
	v_lshlrev_b64 v[4:5], 3, v[4:5]
	s_andn2_b64 vcc, exec, s[12:13]
	s_cbranch_vccnz .LBB34_89
; %bb.88:
	v_mov_b32_e32 v13, s9
	v_add_co_u32_e32 v12, vcc, s8, v4
	v_addc_co_u32_e32 v13, vcc, v13, v5, vcc
	global_store_dwordx2 v[12:13], v[0:1], off
.LBB34_89:
	s_andn2_b64 vcc, exec, s[6:7]
	s_cbranch_vccnz .LBB34_91
; %bb.90:
	v_mov_b32_e32 v12, s11
	v_add_co_u32_e32 v4, vcc, s10, v4
	v_addc_co_u32_e32 v5, vcc, v12, v5, vcc
	global_store_dwordx2 v[4:5], v[2:3], off
.LBB34_91:
	s_or_b64 exec, exec, s[16:17]
	v_cmp_gt_u32_e32 vcc, 48, v8
	s_and_b64 exec, exec, vcc
	s_cbranch_execz .LBB34_115
; %bb.92:
	s_and_saveexec_b64 s[16:17], s[0:1]
	s_cbranch_execz .LBB34_94
; %bb.93:
	v_add_u32_e32 v0, v8, v6
	v_lshl_add_u32 v2, v0, 3, 0
	ds_read_b64 v[0:1], v2 offset:128
	ds_read_b64 v[2:3], v2 offset:8448
.LBB34_94:
	s_or_b64 exec, exec, s[16:17]
	s_waitcnt lgkmcnt(1)
	ds_bpermute_b32 v4, v7, v0
	ds_bpermute_b32 v5, v7, v1
	s_waitcnt lgkmcnt(2)
	ds_bpermute_b32 v12, v7, v2
	ds_bpermute_b32 v13, v7, v3
	v_add_u32_e32 v14, 16, v8
	s_waitcnt lgkmcnt(2)
	v_add_f64 v[0:1], v[0:1], v[4:5]
	s_waitcnt lgkmcnt(0)
	v_add_f64 v[2:3], v[2:3], v[12:13]
	ds_bpermute_b32 v4, v9, v0
	ds_bpermute_b32 v5, v9, v1
	ds_bpermute_b32 v12, v9, v2
	ds_bpermute_b32 v13, v9, v3
	s_waitcnt lgkmcnt(2)
	v_add_f64 v[0:1], v[0:1], v[4:5]
	s_waitcnt lgkmcnt(0)
	v_add_f64 v[2:3], v[2:3], v[12:13]
	ds_bpermute_b32 v4, v10, v0
	ds_bpermute_b32 v5, v10, v1
	ds_bpermute_b32 v12, v10, v2
	ds_bpermute_b32 v13, v10, v3
	;; [unrolled: 8-line block ×3, first 2 shown]
	s_waitcnt lgkmcnt(2)
	v_add_f64 v[0:1], v[0:1], v[4:5]
	v_mov_b32_e32 v5, s5
	s_waitcnt lgkmcnt(0)
	v_add_f64 v[2:3], v[2:3], v[12:13]
	v_add_co_u32_e32 v4, vcc, s4, v14
	v_addc_co_u32_e32 v5, vcc, 0, v5, vcc
	v_cmp_gt_i64_e32 vcc, s[14:15], v[4:5]
	s_and_b64 s[18:19], s[2:3], vcc
	s_and_saveexec_b64 s[16:17], s[18:19]
	s_cbranch_execz .LBB34_99
; %bb.95:
	s_andn2_b64 vcc, exec, s[12:13]
	s_cbranch_vccnz .LBB34_97
; %bb.96:
	v_mov_b32_e32 v5, s5
	v_add_co_u32_e32 v4, vcc, s4, v8
	v_addc_co_u32_e32 v5, vcc, 0, v5, vcc
	v_lshlrev_b64 v[4:5], 3, v[4:5]
	v_mov_b32_e32 v12, s9
	v_add_co_u32_e32 v4, vcc, s8, v4
	v_addc_co_u32_e32 v5, vcc, v12, v5, vcc
	global_store_dwordx2 v[4:5], v[0:1], off offset:128
.LBB34_97:
	s_andn2_b64 vcc, exec, s[6:7]
	s_cbranch_vccnz .LBB34_99
; %bb.98:
	v_mov_b32_e32 v5, s5
	v_add_co_u32_e32 v4, vcc, s4, v8
	v_addc_co_u32_e32 v5, vcc, 0, v5, vcc
	v_lshlrev_b64 v[4:5], 3, v[4:5]
	v_mov_b32_e32 v12, s11
	v_add_co_u32_e32 v4, vcc, s10, v4
	v_addc_co_u32_e32 v5, vcc, v12, v5, vcc
	global_store_dwordx2 v[4:5], v[2:3], off offset:128
.LBB34_99:
	s_or_b64 exec, exec, s[16:17]
	v_cmp_gt_u32_e32 vcc, 32, v8
	s_and_b64 exec, exec, vcc
	s_cbranch_execz .LBB34_115
; %bb.100:
	s_and_saveexec_b64 s[16:17], s[0:1]
	s_cbranch_execz .LBB34_102
; %bb.101:
	v_add_u32_e32 v0, v8, v6
	v_lshl_add_u32 v2, v0, 3, 0
	ds_read_b64 v[0:1], v2 offset:256
	ds_read_b64 v[2:3], v2 offset:8576
.LBB34_102:
	s_or_b64 exec, exec, s[16:17]
	s_waitcnt lgkmcnt(1)
	ds_bpermute_b32 v4, v7, v0
	ds_bpermute_b32 v5, v7, v1
	s_waitcnt lgkmcnt(2)
	ds_bpermute_b32 v12, v7, v2
	ds_bpermute_b32 v13, v7, v3
	s_waitcnt lgkmcnt(2)
	v_add_f64 v[0:1], v[0:1], v[4:5]
	s_waitcnt lgkmcnt(0)
	v_add_f64 v[2:3], v[2:3], v[12:13]
	ds_bpermute_b32 v4, v9, v0
	ds_bpermute_b32 v5, v9, v1
	ds_bpermute_b32 v12, v9, v2
	ds_bpermute_b32 v13, v9, v3
	s_waitcnt lgkmcnt(2)
	v_add_f64 v[0:1], v[0:1], v[4:5]
	s_waitcnt lgkmcnt(0)
	v_add_f64 v[2:3], v[2:3], v[12:13]
	ds_bpermute_b32 v4, v10, v0
	ds_bpermute_b32 v5, v10, v1
	;; [unrolled: 8-line block ×3, first 2 shown]
	ds_bpermute_b32 v12, v11, v2
	ds_bpermute_b32 v13, v11, v3
	s_waitcnt lgkmcnt(2)
	v_add_f64 v[0:1], v[0:1], v[4:5]
	v_add_u32_e32 v4, 32, v8
	s_waitcnt lgkmcnt(0)
	v_add_f64 v[2:3], v[2:3], v[12:13]
	v_or_b32_e32 v4, s4, v4
	v_mov_b32_e32 v5, s5
	v_cmp_gt_i64_e32 vcc, s[14:15], v[4:5]
	s_and_b64 s[18:19], s[2:3], vcc
	s_and_saveexec_b64 s[16:17], s[18:19]
	s_cbranch_execz .LBB34_107
; %bb.103:
	s_andn2_b64 vcc, exec, s[12:13]
	s_cbranch_vccnz .LBB34_105
; %bb.104:
	v_mov_b32_e32 v5, s5
	v_add_co_u32_e32 v4, vcc, s4, v8
	v_addc_co_u32_e32 v5, vcc, 0, v5, vcc
	v_lshlrev_b64 v[4:5], 3, v[4:5]
	v_mov_b32_e32 v12, s9
	v_add_co_u32_e32 v4, vcc, s8, v4
	v_addc_co_u32_e32 v5, vcc, v12, v5, vcc
	global_store_dwordx2 v[4:5], v[0:1], off offset:256
.LBB34_105:
	s_andn2_b64 vcc, exec, s[6:7]
	s_cbranch_vccnz .LBB34_107
; %bb.106:
	v_mov_b32_e32 v5, s5
	v_add_co_u32_e32 v4, vcc, s4, v8
	v_addc_co_u32_e32 v5, vcc, 0, v5, vcc
	v_lshlrev_b64 v[4:5], 3, v[4:5]
	v_mov_b32_e32 v12, s11
	v_add_co_u32_e32 v4, vcc, s10, v4
	v_addc_co_u32_e32 v5, vcc, v12, v5, vcc
	global_store_dwordx2 v[4:5], v[2:3], off offset:256
.LBB34_107:
	s_or_b64 exec, exec, s[16:17]
	v_cmp_gt_u32_e32 vcc, 16, v8
	s_and_b64 exec, exec, vcc
	s_cbranch_execz .LBB34_115
; %bb.108:
	s_and_saveexec_b64 s[16:17], s[0:1]
	s_cbranch_execz .LBB34_110
; %bb.109:
	v_add_u32_e32 v0, v8, v6
	v_lshl_add_u32 v2, v0, 3, 0
	ds_read_b64 v[0:1], v2 offset:384
	ds_read_b64 v[2:3], v2 offset:8704
.LBB34_110:
	s_or_b64 exec, exec, s[16:17]
	s_waitcnt lgkmcnt(1)
	ds_bpermute_b32 v4, v7, v0
	ds_bpermute_b32 v5, v7, v1
	s_waitcnt lgkmcnt(2)
	ds_bpermute_b32 v6, v7, v2
	ds_bpermute_b32 v7, v7, v3
	s_waitcnt lgkmcnt(2)
	v_add_f64 v[0:1], v[0:1], v[4:5]
	s_waitcnt lgkmcnt(0)
	v_add_f64 v[2:3], v[2:3], v[6:7]
	ds_bpermute_b32 v4, v9, v0
	ds_bpermute_b32 v5, v9, v1
	;; [unrolled: 1-line block ×4, first 2 shown]
	v_add_u32_e32 v9, 48, v8
	v_or_b32_e32 v9, s4, v9
	s_waitcnt lgkmcnt(2)
	v_add_f64 v[0:1], v[0:1], v[4:5]
	s_waitcnt lgkmcnt(0)
	v_add_f64 v[2:3], v[2:3], v[6:7]
	ds_bpermute_b32 v4, v10, v0
	ds_bpermute_b32 v5, v10, v1
	;; [unrolled: 1-line block ×4, first 2 shown]
	v_mov_b32_e32 v10, s5
	v_cmp_gt_i64_e32 vcc, s[14:15], v[9:10]
	s_waitcnt lgkmcnt(2)
	v_add_f64 v[4:5], v[0:1], v[4:5]
	s_and_b64 s[0:1], s[2:3], vcc
	s_waitcnt lgkmcnt(0)
	v_add_f64 v[0:1], v[2:3], v[6:7]
	ds_bpermute_b32 v6, v11, v4
	ds_bpermute_b32 v7, v11, v5
	;; [unrolled: 1-line block ×4, first 2 shown]
	s_and_b64 exec, exec, s[0:1]
	s_cbranch_execz .LBB34_115
; %bb.111:
	s_andn2_b64 vcc, exec, s[12:13]
	s_cbranch_vccnz .LBB34_113
; %bb.112:
	s_waitcnt lgkmcnt(2)
	v_add_f64 v[4:5], v[4:5], v[6:7]
	v_mov_b32_e32 v7, s5
	v_add_co_u32_e32 v6, vcc, s4, v8
	v_addc_co_u32_e32 v7, vcc, 0, v7, vcc
	v_lshlrev_b64 v[6:7], 3, v[6:7]
	v_mov_b32_e32 v9, s9
	v_add_co_u32_e32 v6, vcc, s8, v6
	v_addc_co_u32_e32 v7, vcc, v9, v7, vcc
	global_store_dwordx2 v[6:7], v[4:5], off offset:384
.LBB34_113:
	s_andn2_b64 vcc, exec, s[6:7]
	s_cbranch_vccnz .LBB34_115
; %bb.114:
	s_waitcnt lgkmcnt(0)
	v_add_f64 v[0:1], v[0:1], v[2:3]
	v_mov_b32_e32 v3, s5
	v_add_co_u32_e32 v2, vcc, s4, v8
	v_addc_co_u32_e32 v3, vcc, 0, v3, vcc
	v_lshlrev_b64 v[2:3], 3, v[2:3]
	v_mov_b32_e32 v4, s11
	v_add_co_u32_e32 v2, vcc, s10, v2
	v_addc_co_u32_e32 v3, vcc, v4, v3, vcc
	global_store_dwordx2 v[2:3], v[0:1], off offset:384
.LBB34_115:
	s_endpgm
	.section	.rodata,"a",@progbits
	.p2align	6, 0x0
	.amdhsa_kernel _ZN2at6native12_GLOBAL__N_135GammaBetaBackwardCUDAKernelTemplateIddLj64ELj16ELj128ELb0ELb0ELb0EEEvllPKT_S5_PKT0_S8_PS3_S9_
		.amdhsa_group_segment_fixed_size 0
		.amdhsa_private_segment_fixed_size 216
		.amdhsa_kernarg_size 320
		.amdhsa_user_sgpr_count 6
		.amdhsa_user_sgpr_private_segment_buffer 1
		.amdhsa_user_sgpr_dispatch_ptr 0
		.amdhsa_user_sgpr_queue_ptr 0
		.amdhsa_user_sgpr_kernarg_segment_ptr 1
		.amdhsa_user_sgpr_dispatch_id 0
		.amdhsa_user_sgpr_flat_scratch_init 0
		.amdhsa_user_sgpr_private_segment_size 0
		.amdhsa_uses_dynamic_stack 0
		.amdhsa_system_sgpr_private_segment_wavefront_offset 1
		.amdhsa_system_sgpr_workgroup_id_x 1
		.amdhsa_system_sgpr_workgroup_id_y 1
		.amdhsa_system_sgpr_workgroup_id_z 0
		.amdhsa_system_sgpr_workgroup_info 0
		.amdhsa_system_vgpr_workitem_id 1
		.amdhsa_next_free_vgpr 64
		.amdhsa_next_free_sgpr 40
		.amdhsa_reserve_vcc 1
		.amdhsa_reserve_flat_scratch 0
		.amdhsa_float_round_mode_32 0
		.amdhsa_float_round_mode_16_64 0
		.amdhsa_float_denorm_mode_32 3
		.amdhsa_float_denorm_mode_16_64 3
		.amdhsa_dx10_clamp 1
		.amdhsa_ieee_mode 1
		.amdhsa_fp16_overflow 0
		.amdhsa_exception_fp_ieee_invalid_op 0
		.amdhsa_exception_fp_denorm_src 0
		.amdhsa_exception_fp_ieee_div_zero 0
		.amdhsa_exception_fp_ieee_overflow 0
		.amdhsa_exception_fp_ieee_underflow 0
		.amdhsa_exception_fp_ieee_inexact 0
		.amdhsa_exception_int_div_zero 0
	.end_amdhsa_kernel
	.section	.text._ZN2at6native12_GLOBAL__N_135GammaBetaBackwardCUDAKernelTemplateIddLj64ELj16ELj128ELb0ELb0ELb0EEEvllPKT_S5_PKT0_S8_PS3_S9_,"axG",@progbits,_ZN2at6native12_GLOBAL__N_135GammaBetaBackwardCUDAKernelTemplateIddLj64ELj16ELj128ELb0ELb0ELb0EEEvllPKT_S5_PKT0_S8_PS3_S9_,comdat
.Lfunc_end34:
	.size	_ZN2at6native12_GLOBAL__N_135GammaBetaBackwardCUDAKernelTemplateIddLj64ELj16ELj128ELb0ELb0ELb0EEEvllPKT_S5_PKT0_S8_PS3_S9_, .Lfunc_end34-_ZN2at6native12_GLOBAL__N_135GammaBetaBackwardCUDAKernelTemplateIddLj64ELj16ELj128ELb0ELb0ELb0EEEvllPKT_S5_PKT0_S8_PS3_S9_
                                        ; -- End function
	.set _ZN2at6native12_GLOBAL__N_135GammaBetaBackwardCUDAKernelTemplateIddLj64ELj16ELj128ELb0ELb0ELb0EEEvllPKT_S5_PKT0_S8_PS3_S9_.num_vgpr, 64
	.set _ZN2at6native12_GLOBAL__N_135GammaBetaBackwardCUDAKernelTemplateIddLj64ELj16ELj128ELb0ELb0ELb0EEEvllPKT_S5_PKT0_S8_PS3_S9_.num_agpr, 0
	.set _ZN2at6native12_GLOBAL__N_135GammaBetaBackwardCUDAKernelTemplateIddLj64ELj16ELj128ELb0ELb0ELb0EEEvllPKT_S5_PKT0_S8_PS3_S9_.numbered_sgpr, 40
	.set _ZN2at6native12_GLOBAL__N_135GammaBetaBackwardCUDAKernelTemplateIddLj64ELj16ELj128ELb0ELb0ELb0EEEvllPKT_S5_PKT0_S8_PS3_S9_.num_named_barrier, 0
	.set _ZN2at6native12_GLOBAL__N_135GammaBetaBackwardCUDAKernelTemplateIddLj64ELj16ELj128ELb0ELb0ELb0EEEvllPKT_S5_PKT0_S8_PS3_S9_.private_seg_size, 216
	.set _ZN2at6native12_GLOBAL__N_135GammaBetaBackwardCUDAKernelTemplateIddLj64ELj16ELj128ELb0ELb0ELb0EEEvllPKT_S5_PKT0_S8_PS3_S9_.uses_vcc, 1
	.set _ZN2at6native12_GLOBAL__N_135GammaBetaBackwardCUDAKernelTemplateIddLj64ELj16ELj128ELb0ELb0ELb0EEEvllPKT_S5_PKT0_S8_PS3_S9_.uses_flat_scratch, 0
	.set _ZN2at6native12_GLOBAL__N_135GammaBetaBackwardCUDAKernelTemplateIddLj64ELj16ELj128ELb0ELb0ELb0EEEvllPKT_S5_PKT0_S8_PS3_S9_.has_dyn_sized_stack, 0
	.set _ZN2at6native12_GLOBAL__N_135GammaBetaBackwardCUDAKernelTemplateIddLj64ELj16ELj128ELb0ELb0ELb0EEEvllPKT_S5_PKT0_S8_PS3_S9_.has_recursion, 0
	.set _ZN2at6native12_GLOBAL__N_135GammaBetaBackwardCUDAKernelTemplateIddLj64ELj16ELj128ELb0ELb0ELb0EEEvllPKT_S5_PKT0_S8_PS3_S9_.has_indirect_call, 0
	.section	.AMDGPU.csdata,"",@progbits
; Kernel info:
; codeLenInByte = 12788
; TotalNumSgprs: 44
; NumVgprs: 64
; ScratchSize: 216
; MemoryBound: 0
; FloatMode: 240
; IeeeMode: 1
; LDSByteSize: 0 bytes/workgroup (compile time only)
; SGPRBlocks: 5
; VGPRBlocks: 15
; NumSGPRsForWavesPerEU: 44
; NumVGPRsForWavesPerEU: 64
; Occupancy: 4
; WaveLimiterHint : 0
; COMPUTE_PGM_RSRC2:SCRATCH_EN: 1
; COMPUTE_PGM_RSRC2:USER_SGPR: 6
; COMPUTE_PGM_RSRC2:TRAP_HANDLER: 0
; COMPUTE_PGM_RSRC2:TGID_X_EN: 1
; COMPUTE_PGM_RSRC2:TGID_Y_EN: 1
; COMPUTE_PGM_RSRC2:TGID_Z_EN: 0
; COMPUTE_PGM_RSRC2:TIDIG_COMP_CNT: 1
	.section	.text._ZN2at6native12_GLOBAL__N_135GammaBetaBackwardCUDAKernelTemplateIddLj64ELj16ELj256ELb0ELb1ELb0EEEvllPKT_S5_PKT0_S8_PS3_S9_,"axG",@progbits,_ZN2at6native12_GLOBAL__N_135GammaBetaBackwardCUDAKernelTemplateIddLj64ELj16ELj256ELb0ELb1ELb0EEEvllPKT_S5_PKT0_S8_PS3_S9_,comdat
	.globl	_ZN2at6native12_GLOBAL__N_135GammaBetaBackwardCUDAKernelTemplateIddLj64ELj16ELj256ELb0ELb1ELb0EEEvllPKT_S5_PKT0_S8_PS3_S9_ ; -- Begin function _ZN2at6native12_GLOBAL__N_135GammaBetaBackwardCUDAKernelTemplateIddLj64ELj16ELj256ELb0ELb1ELb0EEEvllPKT_S5_PKT0_S8_PS3_S9_
	.p2align	8
	.type	_ZN2at6native12_GLOBAL__N_135GammaBetaBackwardCUDAKernelTemplateIddLj64ELj16ELj256ELb0ELb1ELb0EEEvllPKT_S5_PKT0_S8_PS3_S9_,@function
_ZN2at6native12_GLOBAL__N_135GammaBetaBackwardCUDAKernelTemplateIddLj64ELj16ELj256ELb0ELb1ELb0EEEvllPKT_S5_PKT0_S8_PS3_S9_: ; @_ZN2at6native12_GLOBAL__N_135GammaBetaBackwardCUDAKernelTemplateIddLj64ELj16ELj256ELb0ELb1ELb0EEEvllPKT_S5_PKT0_S8_PS3_S9_
; %bb.0:
	s_load_dwordx4 s[20:23], s[4:5], 0x0
	s_lshl_b32 s24, s7, 8
	s_mov_b32 s25, 0
	v_mov_b32_e32 v2, s24
	v_mov_b32_e32 v3, s25
	s_waitcnt lgkmcnt(0)
	v_cmp_gt_i64_e32 vcc, s[20:21], v[2:3]
	s_cbranch_vccnz .LBB35_2
; %bb.1:
	s_mov_b64 s[0:1], 0
	s_branch .LBB35_3
.LBB35_2:
	s_mov_b64 s[0:1], -1
.LBB35_3:
	s_load_dwordx4 s[16:19], s[4:5], 0x30
	v_mov_b32_e32 v10, 0
	v_mov_b32_e32 v14, 0
	;; [unrolled: 1-line block ×3, first 2 shown]
	s_andn2_b64 vcc, exec, s[0:1]
	v_mov_b32_e32 v15, 0
	v_mbcnt_lo_u32_b32 v34, -1, 0
	s_cbranch_vccnz .LBB35_10
; %bb.4:
	v_lshlrev_b32_e32 v4, 4, v1
	v_mbcnt_hi_u32_b32 v5, -1, v34
	v_add_co_u32_e32 v7, vcc, s24, v4
	s_load_dword s0, s[4:5], 0x4c
	s_load_dword s7, s[4:5], 0x44
	s_load_dwordx8 s[8:15], s[4:5], 0x10
	v_lshlrev_b32_e32 v5, 2, v5
	v_addc_co_u32_e64 v8, s[2:3], 0, 0, vcc
	v_and_b32_e32 v35, 0x100, v5
	v_mul_lo_u32 v9, s23, v7
	v_mul_lo_u32 v10, s22, v8
	v_mad_u64_u32 v[4:5], s[2:3], s22, v7, 0
	s_waitcnt lgkmcnt(0)
	s_and_b32 s0, s0, 0xffff
	v_mad_u32_u24 v2, v1, s0, v0
	v_and_b32_e32 v6, 63, v2
	v_mov_b32_e32 v3, 0
	v_lshl_add_u32 v2, s6, 6, v0
	v_add3_u32 v5, v5, v10, v9
	v_lshlrev_b64 v[4:5], 3, v[4:5]
	v_lshlrev_b64 v[2:3], 3, v[2:3]
	s_lshl_b32 s4, s7, 8
	v_add_co_u32_e32 v44, vcc, v4, v2
	v_addc_co_u32_e32 v45, vcc, v5, v3, vcc
	v_add_co_u32_e32 v2, vcc, v7, v6
	v_addc_co_u32_e32 v3, vcc, 0, v8, vcc
	s_mul_i32 s2, s23, s4
	s_mul_hi_u32 s3, s22, s4
	s_mov_b32 s5, 0
	s_add_i32 s3, s3, s2
	s_mul_i32 s2, s22, s4
	v_lshlrev_b64 v[4:5], 3, v[2:3]
	v_mov_b32_e32 v14, 0
	v_mov_b32_e32 v10, 0
	v_cmp_gt_u32_e64 s[0:1], 16, v6
	v_or_b32_e32 v36, 4, v35
	v_or_b32_e32 v37, 8, v35
	v_or_b32_e32 v38, 12, v35
	v_or_b32_e32 v39, 16, v35
	v_or_b32_e32 v40, 20, v35
	v_or_b32_e32 v41, 24, v35
	v_or_b32_e32 v42, 28, v35
	v_or_b32_e32 v43, 32, v35
	v_or_b32_e32 v46, 36, v35
	v_or_b32_e32 v47, 40, v35
	v_or_b32_e32 v48, 44, v35
	v_or_b32_e32 v49, 48, v35
	s_lshl_b64 s[26:27], s[4:5], 3
	s_lshl_b64 s[28:29], s[2:3], 3
	;; [unrolled: 1-line block ×3, first 2 shown]
	v_or_b32_e32 v50, 52, v35
	v_or_b32_e32 v51, 56, v35
	v_mov_b32_e32 v15, 0
	v_mov_b32_e32 v11, 0
	v_or_b32_e32 v52, 60, v35
	s_branch .LBB35_7
.LBB35_5:                               ;   in Loop: Header=BB35_7 Depth=1
	s_or_b64 exec, exec, s[30:31]
.LBB35_6:                               ;   in Loop: Header=BB35_7 Depth=1
	s_or_b64 exec, exec, s[2:3]
	v_mov_b32_e32 v12, s11
	v_add_co_u32_e32 v16, vcc, s10, v44
	v_addc_co_u32_e32 v17, vcc, v12, v45, vcc
	global_load_dwordx2 v[26:27], v[16:17], off
	v_mov_b32_e32 v12, s9
	v_add_co_u32_e32 v18, vcc, s8, v44
	v_addc_co_u32_e32 v19, vcc, v12, v45, vcc
	v_mov_b32_e32 v53, s23
	v_add_co_u32_e32 v16, vcc, s22, v16
	v_addc_co_u32_e32 v17, vcc, v17, v53, vcc
	global_load_dwordx2 v[12:13], v[18:19], off
	global_load_dwordx2 v[28:29], v[16:17], off
	v_add_co_u32_e32 v18, vcc, s22, v18
	v_addc_co_u32_e32 v19, vcc, v19, v53, vcc
	v_add_co_u32_e32 v20, vcc, s22, v16
	v_addc_co_u32_e32 v21, vcc, v17, v53, vcc
	global_load_dwordx2 v[30:31], v[20:21], off
	global_load_dwordx2 v[16:17], v[18:19], off
	v_add_co_u32_e32 v22, vcc, s22, v18
	v_addc_co_u32_e32 v23, vcc, v19, v53, vcc
	global_load_dwordx2 v[18:19], v[22:23], off
	v_add_co_u32_e32 v20, vcc, s22, v20
	v_addc_co_u32_e32 v21, vcc, v21, v53, vcc
	global_load_dwordx2 v[24:25], v[20:21], off
	v_add_co_u32_e32 v22, vcc, s22, v22
	v_addc_co_u32_e32 v23, vcc, v23, v53, vcc
	v_add_co_u32_e32 v32, vcc, s22, v20
	v_addc_co_u32_e32 v33, vcc, v21, v53, vcc
	global_load_dwordx2 v[54:55], v[32:33], off
	global_load_dwordx2 v[20:21], v[22:23], off
	v_add_co_u32_e32 v56, vcc, s22, v22
	v_addc_co_u32_e32 v57, vcc, v23, v53, vcc
	global_load_dwordx2 v[22:23], v[56:57], off
	s_waitcnt vmcnt(11)
	ds_bpermute_b32 v58, v35, v8
	ds_bpermute_b32 v59, v35, v9
	s_waitcnt vmcnt(10)
	ds_bpermute_b32 v60, v35, v6
	ds_bpermute_b32 v61, v35, v7
	v_add_co_u32_e32 v32, vcc, s22, v32
	v_addc_co_u32_e32 v33, vcc, v33, v53, vcc
	s_add_u32 s24, s24, s4
	s_addc_u32 s25, s25, 0
	v_add_co_u32_e64 v44, s[2:3], s28, v44
	s_waitcnt vmcnt(9) lgkmcnt(2)
	v_add_f64 v[26:27], v[26:27], -v[58:59]
	ds_bpermute_b32 v58, v36, v8
	ds_bpermute_b32 v59, v36, v9
	s_waitcnt vmcnt(8)
	v_add_f64 v[10:11], v[10:11], v[12:13]
	v_mul_f64 v[26:27], v[12:13], v[26:27]
	s_waitcnt vmcnt(7) lgkmcnt(0)
	v_add_f64 v[28:29], v[28:29], -v[58:59]
	ds_bpermute_b32 v58, v37, v8
	ds_bpermute_b32 v59, v37, v9
	v_fma_f64 v[14:15], v[26:27], v[60:61], v[14:15]
	s_waitcnt vmcnt(5)
	v_mul_f64 v[28:29], v[16:17], v[28:29]
	s_waitcnt lgkmcnt(0)
	v_add_f64 v[30:31], v[30:31], -v[58:59]
	ds_bpermute_b32 v26, v36, v6
	ds_bpermute_b32 v27, v36, v7
	;; [unrolled: 1-line block ×6, first 2 shown]
	s_waitcnt lgkmcnt(4)
	v_fma_f64 v[26:27], v[28:29], v[26:27], v[14:15]
	v_add_co_u32_e32 v28, vcc, s22, v56
	s_waitcnt vmcnt(4)
	v_mul_f64 v[30:31], v[18:19], v[30:31]
	v_addc_co_u32_e32 v29, vcc, v57, v53, vcc
	global_load_dwordx2 v[56:57], v[32:33], off
	v_add_co_u32_e32 v32, vcc, s22, v32
	v_addc_co_u32_e32 v33, vcc, v33, v53, vcc
	global_load_dwordx2 v[14:15], v[28:29], off
	s_waitcnt lgkmcnt(2)
	v_fma_f64 v[30:31], v[30:31], v[60:61], v[26:27]
	global_load_dwordx2 v[60:61], v[32:33], off
	v_add_co_u32_e32 v28, vcc, s22, v28
	v_addc_co_u32_e32 v29, vcc, v29, v53, vcc
	global_load_dwordx2 v[26:27], v[28:29], off
	s_waitcnt vmcnt(7) lgkmcnt(0)
	v_add_f64 v[24:25], v[24:25], -v[58:59]
	ds_bpermute_b32 v58, v39, v8
	ds_bpermute_b32 v59, v39, v9
	v_add_co_u32_e32 v32, vcc, s22, v32
	v_addc_co_u32_e32 v33, vcc, v33, v53, vcc
	s_waitcnt vmcnt(6) lgkmcnt(0)
	v_add_f64 v[54:55], v[54:55], -v[58:59]
	s_waitcnt vmcnt(5)
	v_mul_f64 v[24:25], v[20:21], v[24:25]
	ds_bpermute_b32 v58, v38, v6
	ds_bpermute_b32 v59, v38, v7
	v_add_co_u32_e32 v28, vcc, s22, v28
	v_addc_co_u32_e32 v29, vcc, v29, v53, vcc
	s_waitcnt vmcnt(4)
	v_mul_f64 v[54:55], v[22:23], v[54:55]
	s_waitcnt lgkmcnt(0)
	v_fma_f64 v[24:25], v[24:25], v[58:59], v[30:31]
	global_load_dwordx2 v[30:31], v[32:33], off
	ds_bpermute_b32 v58, v39, v6
	ds_bpermute_b32 v59, v39, v7
	v_add_co_u32_e32 v32, vcc, s22, v32
	v_addc_co_u32_e32 v33, vcc, v33, v53, vcc
	s_waitcnt lgkmcnt(0)
	v_fma_f64 v[54:55], v[54:55], v[58:59], v[24:25]
	global_load_dwordx2 v[24:25], v[28:29], off
	ds_bpermute_b32 v58, v40, v8
	ds_bpermute_b32 v59, v40, v9
	v_add_f64 v[10:11], v[10:11], v[16:17]
	ds_bpermute_b32 v16, v46, v6
	ds_bpermute_b32 v17, v46, v7
	v_add_f64 v[10:11], v[10:11], v[18:19]
	v_add_f64 v[10:11], v[10:11], v[20:21]
	;; [unrolled: 1-line block ×3, first 2 shown]
	s_waitcnt vmcnt(5) lgkmcnt(2)
	v_add_f64 v[56:57], v[56:57], -v[58:59]
	ds_bpermute_b32 v58, v41, v8
	ds_bpermute_b32 v59, v41, v9
	s_waitcnt vmcnt(4)
	v_add_f64 v[10:11], v[10:11], v[14:15]
	s_waitcnt vmcnt(3) lgkmcnt(0)
	v_add_f64 v[58:59], v[60:61], -v[58:59]
	v_mul_f64 v[56:57], v[14:15], v[56:57]
	ds_bpermute_b32 v60, v40, v6
	ds_bpermute_b32 v61, v40, v7
	s_waitcnt vmcnt(2)
	v_add_f64 v[10:11], v[10:11], v[26:27]
	v_mul_f64 v[58:59], v[26:27], v[58:59]
	s_waitcnt lgkmcnt(0)
	v_fma_f64 v[54:55], v[56:57], v[60:61], v[54:55]
	global_load_dwordx2 v[60:61], v[32:33], off
	ds_bpermute_b32 v56, v41, v6
	ds_bpermute_b32 v57, v41, v7
	s_waitcnt lgkmcnt(0)
	v_fma_f64 v[54:55], v[58:59], v[56:57], v[54:55]
	v_add_co_u32_e32 v58, vcc, s22, v28
	v_addc_co_u32_e32 v59, vcc, v29, v53, vcc
	global_load_dwordx2 v[28:29], v[58:59], off
	ds_bpermute_b32 v56, v42, v8
	ds_bpermute_b32 v57, v42, v9
	s_waitcnt vmcnt(3) lgkmcnt(0)
	v_add_f64 v[30:31], v[30:31], -v[56:57]
	v_add_co_u32_e32 v56, vcc, s22, v32
	v_addc_co_u32_e32 v57, vcc, v33, v53, vcc
	ds_bpermute_b32 v32, v42, v6
	ds_bpermute_b32 v33, v42, v7
	s_waitcnt vmcnt(2)
	v_add_f64 v[10:11], v[10:11], v[24:25]
	v_mul_f64 v[30:31], v[24:25], v[30:31]
	ds_bpermute_b32 v24, v48, v8
	ds_bpermute_b32 v25, v48, v9
	s_waitcnt lgkmcnt(2)
	v_fma_f64 v[30:31], v[30:31], v[32:33], v[54:55]
	global_load_dwordx2 v[54:55], v[56:57], off
	ds_bpermute_b32 v32, v43, v8
	ds_bpermute_b32 v33, v43, v9
	s_waitcnt vmcnt(2) lgkmcnt(0)
	v_add_f64 v[32:33], v[60:61], -v[32:33]
	ds_bpermute_b32 v60, v43, v6
	ds_bpermute_b32 v61, v43, v7
	s_waitcnt vmcnt(1)
	v_mul_f64 v[32:33], v[28:29], v[32:33]
	v_add_f64 v[10:11], v[10:11], v[28:29]
	ds_bpermute_b32 v28, v47, v6
	ds_bpermute_b32 v29, v47, v7
	s_waitcnt lgkmcnt(2)
	v_fma_f64 v[60:61], v[32:33], v[60:61], v[30:31]
	v_add_co_u32_e32 v32, vcc, s22, v58
	v_addc_co_u32_e32 v33, vcc, v59, v53, vcc
	global_load_dwordx2 v[30:31], v[32:33], off
	ds_bpermute_b32 v58, v46, v8
	ds_bpermute_b32 v59, v46, v9
	v_add_co_u32_e32 v56, vcc, s22, v56
	v_addc_co_u32_e32 v57, vcc, v57, v53, vcc
	v_add_co_u32_e32 v18, vcc, s22, v32
	v_addc_co_u32_e32 v19, vcc, v33, v53, vcc
	s_waitcnt vmcnt(1) lgkmcnt(0)
	v_add_f64 v[54:55], v[54:55], -v[58:59]
	global_load_dwordx2 v[58:59], v[56:57], off
	v_add_co_u32_e32 v20, vcc, s22, v18
	v_addc_co_u32_e32 v21, vcc, v19, v53, vcc
	v_add_co_u32_e32 v32, vcc, s22, v56
	v_addc_co_u32_e32 v33, vcc, v57, v53, vcc
	;; [unrolled: 2-line block ×3, first 2 shown]
	s_waitcnt vmcnt(1)
	v_mul_f64 v[12:13], v[30:31], v[54:55]
	v_add_co_u32_e32 v54, vcc, s22, v32
	v_addc_co_u32_e32 v55, vcc, v33, v53, vcc
	v_add_co_u32_e32 v14, vcc, s22, v22
	v_addc_co_u32_e32 v15, vcc, v23, v53, vcc
	v_fma_f64 v[12:13], v[12:13], v[16:17], v[60:61]
	ds_bpermute_b32 v16, v47, v8
	ds_bpermute_b32 v17, v47, v9
	v_add_co_u32_e32 v56, vcc, s22, v54
	v_addc_co_u32_e32 v57, vcc, v55, v53, vcc
	v_add_co_u32_e32 v26, vcc, s22, v56
	v_addc_co_u32_e32 v27, vcc, v57, v53, vcc
	s_waitcnt vmcnt(0) lgkmcnt(0)
	v_add_f64 v[16:17], v[58:59], -v[16:17]
	v_add_co_u32_e32 v58, vcc, s22, v14
	v_addc_co_u32_e32 v59, vcc, v15, v53, vcc
	v_add_co_u32_e32 v60, vcc, s22, v26
	v_addc_co_u32_e32 v61, vcc, v27, v53, vcc
	;; [unrolled: 2-line block ×3, first 2 shown]
	global_load_dwordx2 v[18:19], v[18:19], off
	s_nop 0
	global_load_dwordx2 v[32:33], v[32:33], off
	s_nop 0
	;; [unrolled: 2-line block ×10, first 2 shown]
	global_load_dwordx2 v[61:62], v[62:63], off
	v_add_f64 v[10:11], v[10:11], v[30:31]
	ds_bpermute_b32 v30, v50, v8
	ds_bpermute_b32 v31, v50, v9
	v_add_co_u32_e32 v4, vcc, s26, v4
	s_waitcnt vmcnt(10)
	v_mul_f64 v[16:17], v[18:19], v[16:17]
	s_waitcnt vmcnt(9)
	v_add_f64 v[24:25], v[32:33], -v[24:25]
	ds_bpermute_b32 v32, v49, v8
	ds_bpermute_b32 v33, v49, v9
	v_add_f64 v[10:11], v[10:11], v[18:19]
	ds_bpermute_b32 v18, v49, v6
	ds_bpermute_b32 v19, v49, v7
	v_fma_f64 v[12:13], v[16:17], v[28:29], v[12:13]
	s_waitcnt vmcnt(8)
	v_mul_f64 v[16:17], v[20:21], v[24:25]
	s_waitcnt vmcnt(7) lgkmcnt(2)
	v_add_f64 v[24:25], v[53:54], -v[32:33]
	ds_bpermute_b32 v28, v48, v6
	ds_bpermute_b32 v29, v48, v7
	v_add_f64 v[10:11], v[10:11], v[20:21]
	ds_bpermute_b32 v20, v50, v6
	ds_bpermute_b32 v21, v50, v7
	s_waitcnt lgkmcnt(2)
	v_fma_f64 v[12:13], v[16:17], v[28:29], v[12:13]
	s_waitcnt vmcnt(6)
	v_mul_f64 v[16:17], v[22:23], v[24:25]
	s_waitcnt vmcnt(5)
	v_add_f64 v[24:25], v[55:56], -v[30:31]
	ds_bpermute_b32 v28, v51, v8
	ds_bpermute_b32 v29, v51, v9
	v_add_f64 v[10:11], v[10:11], v[22:23]
	ds_bpermute_b32 v8, v52, v8
	ds_bpermute_b32 v9, v52, v9
	v_fma_f64 v[12:13], v[16:17], v[18:19], v[12:13]
	s_waitcnt vmcnt(4)
	v_mul_f64 v[16:17], v[14:15], v[24:25]
	s_waitcnt vmcnt(3) lgkmcnt(2)
	v_add_f64 v[18:19], v[26:27], -v[28:29]
	s_waitcnt vmcnt(1) lgkmcnt(0)
	v_add_f64 v[8:9], v[59:60], -v[8:9]
	v_add_f64 v[10:11], v[10:11], v[14:15]
	v_fma_f64 v[12:13], v[16:17], v[20:21], v[12:13]
	v_mul_f64 v[16:17], v[57:58], v[18:19]
	ds_bpermute_b32 v18, v51, v6
	ds_bpermute_b32 v19, v51, v7
	s_waitcnt vmcnt(0)
	v_mul_f64 v[8:9], v[61:62], v[8:9]
	v_add_f64 v[10:11], v[10:11], v[57:58]
	ds_bpermute_b32 v6, v52, v6
	ds_bpermute_b32 v7, v52, v7
	s_waitcnt lgkmcnt(2)
	v_fma_f64 v[12:13], v[16:17], v[18:19], v[12:13]
	v_add_f64 v[10:11], v[10:11], v[61:62]
	s_waitcnt lgkmcnt(0)
	v_fma_f64 v[14:15], v[8:9], v[6:7], v[12:13]
	v_mov_b32_e32 v6, s27
	v_addc_co_u32_e32 v5, vcc, v5, v6, vcc
	v_add_co_u32_e32 v2, vcc, s4, v2
	v_mov_b32_e32 v6, s20
	v_addc_co_u32_e32 v3, vcc, 0, v3, vcc
	v_mov_b32_e32 v7, s21
	v_cmp_lt_i64_e32 vcc, s[24:25], v[6:7]
	v_mov_b32_e32 v8, s29
	v_addc_co_u32_e64 v45, s[2:3], v45, v8, s[2:3]
	s_cbranch_vccz .LBB35_10
.LBB35_7:                               ; =>This Inner Loop Header: Depth=1
	v_mov_b32_e32 v6, 0
	v_mov_b32_e32 v8, 0
	v_mov_b32_e32 v7, 0
	v_mov_b32_e32 v9, 0
	s_and_saveexec_b64 s[2:3], s[0:1]
	s_cbranch_execz .LBB35_6
; %bb.8:                                ;   in Loop: Header=BB35_7 Depth=1
	v_cmp_gt_i64_e32 vcc, s[20:21], v[2:3]
	v_mov_b32_e32 v8, 0
	v_mov_b32_e32 v6, 0
	;; [unrolled: 1-line block ×4, first 2 shown]
	s_and_saveexec_b64 s[30:31], vcc
	s_cbranch_execz .LBB35_5
; %bb.9:                                ;   in Loop: Header=BB35_7 Depth=1
	v_mov_b32_e32 v7, s15
	v_add_co_u32_e32 v6, vcc, s14, v4
	v_addc_co_u32_e32 v7, vcc, v7, v5, vcc
	v_mov_b32_e32 v9, s13
	v_add_co_u32_e32 v8, vcc, s12, v4
	v_addc_co_u32_e32 v9, vcc, v9, v5, vcc
	global_load_dwordx2 v[8:9], v[8:9], off
	s_nop 0
	global_load_dwordx2 v[6:7], v[6:7], off
	s_branch .LBB35_5
.LBB35_10:
	s_movk_i32 s0, 0x41
	v_mad_u32_u24 v2, v1, s0, v0
	v_lshl_add_u32 v2, v2, 3, 0
	ds_write_b64 v2, v[14:15]
	ds_write_b64 v2, v[10:11] offset:8320
	v_lshrrev_b32_e32 v2, 6, v0
	v_add_u32_e32 v8, v2, v1
	v_cmp_gt_u32_e32 vcc, 64, v8
	s_waitcnt lgkmcnt(0)
	s_barrier
	s_and_saveexec_b64 s[0:1], vcc
	s_cbranch_execz .LBB35_42
; %bb.11:
	v_and_b32_e32 v1, 63, v0
	v_cmp_gt_u32_e64 s[0:1], 16, v1
	v_mul_u32_u24_e32 v7, 0x41, v1
                                        ; implicit-def: $vgpr1_vgpr2
                                        ; implicit-def: $vgpr3_vgpr4
	s_and_saveexec_b64 s[2:3], s[0:1]
	s_cbranch_execz .LBB35_13
; %bb.12:
	v_add_u32_e32 v1, v8, v7
	v_lshl_add_u32 v1, v1, 3, 0
	ds_read_b64 v[3:4], v1
	ds_read_b64 v[1:2], v1 offset:8320
.LBB35_13:
	s_or_b64 exec, exec, s[2:3]
	v_mbcnt_hi_u32_b32 v14, -1, v34
	v_and_b32_e32 v5, 64, v14
	v_add_u32_e32 v15, 64, v5
	v_xor_b32_e32 v5, 8, v14
	v_cmp_lt_i32_e32 vcc, v5, v15
	v_cndmask_b32_e32 v5, v14, v5, vcc
	v_lshlrev_b32_e32 v9, 2, v5
	s_waitcnt lgkmcnt(1)
	ds_bpermute_b32 v5, v9, v3
	ds_bpermute_b32 v6, v9, v4
	s_waitcnt lgkmcnt(2)
	ds_bpermute_b32 v10, v9, v1
	ds_bpermute_b32 v11, v9, v2
	s_mov_b32 s7, 0
	s_lshl_b64 s[4:5], s[6:7], 6
	s_waitcnt lgkmcnt(2)
	v_add_f64 v[3:4], v[3:4], v[5:6]
	v_xor_b32_e32 v5, 4, v14
	s_waitcnt lgkmcnt(0)
	v_add_f64 v[1:2], v[1:2], v[10:11]
	v_cmp_lt_i32_e32 vcc, v5, v15
	v_cndmask_b32_e32 v5, v14, v5, vcc
	v_lshlrev_b32_e32 v10, 2, v5
	s_cmp_lg_u64 s[16:17], 0
	s_cselect_b64 s[8:9], -1, 0
	ds_bpermute_b32 v5, v10, v3
	ds_bpermute_b32 v6, v10, v4
	;; [unrolled: 1-line block ×4, first 2 shown]
	s_cmp_lg_u64 s[18:19], 0
	v_cmp_eq_u32_e64 s[2:3], 0, v0
	s_waitcnt lgkmcnt(2)
	v_add_f64 v[3:4], v[3:4], v[5:6]
	v_xor_b32_e32 v5, 2, v14
	s_waitcnt lgkmcnt(0)
	v_add_f64 v[1:2], v[1:2], v[11:12]
	v_cmp_lt_i32_e32 vcc, v5, v15
	v_cndmask_b32_e32 v5, v14, v5, vcc
	v_lshlrev_b32_e32 v11, 2, v5
	s_cselect_b64 s[6:7], -1, 0
	ds_bpermute_b32 v5, v11, v3
	ds_bpermute_b32 v6, v11, v4
	;; [unrolled: 1-line block ×4, first 2 shown]
	s_waitcnt lgkmcnt(2)
	v_add_f64 v[3:4], v[3:4], v[5:6]
	s_waitcnt lgkmcnt(0)
	v_add_f64 v[5:6], v[1:2], v[12:13]
	v_xor_b32_e32 v1, 1, v14
	v_cmp_lt_i32_e32 vcc, v1, v15
	v_cndmask_b32_e32 v1, v14, v1, vcc
	v_lshlrev_b32_e32 v12, 2, v1
	ds_bpermute_b32 v1, v12, v3
	ds_bpermute_b32 v2, v12, v4
	;; [unrolled: 1-line block ×4, first 2 shown]
	s_waitcnt lgkmcnt(2)
	v_add_f64 v[1:2], v[3:4], v[1:2]
	s_waitcnt lgkmcnt(0)
	v_add_f64 v[3:4], v[5:6], v[13:14]
	s_and_saveexec_b64 s[10:11], s[2:3]
	s_cbranch_execz .LBB35_18
; %bb.14:
	v_mov_b32_e32 v6, s5
	v_or_b32_e32 v5, s4, v8
	v_lshlrev_b64 v[5:6], 3, v[5:6]
	s_andn2_b64 vcc, exec, s[8:9]
	s_cbranch_vccnz .LBB35_16
; %bb.15:
	v_mov_b32_e32 v0, s17
	v_add_co_u32_e32 v13, vcc, s16, v5
	v_addc_co_u32_e32 v14, vcc, v0, v6, vcc
	global_store_dwordx2 v[13:14], v[1:2], off
.LBB35_16:
	s_andn2_b64 vcc, exec, s[6:7]
	s_cbranch_vccnz .LBB35_18
; %bb.17:
	v_mov_b32_e32 v0, s19
	v_add_co_u32_e32 v5, vcc, s18, v5
	v_addc_co_u32_e32 v6, vcc, v0, v6, vcc
	global_store_dwordx2 v[5:6], v[3:4], off
.LBB35_18:
	s_or_b64 exec, exec, s[10:11]
	v_cmp_gt_u32_e32 vcc, 48, v8
	s_and_b64 exec, exec, vcc
	s_cbranch_execz .LBB35_42
; %bb.19:
	s_and_saveexec_b64 s[10:11], s[0:1]
	s_cbranch_execz .LBB35_21
; %bb.20:
	v_add_u32_e32 v0, v8, v7
	v_lshl_add_u32 v0, v0, 3, 0
	ds_read_b64 v[1:2], v0 offset:128
	ds_read_b64 v[3:4], v0 offset:8448
.LBB35_21:
	s_or_b64 exec, exec, s[10:11]
	s_waitcnt lgkmcnt(1)
	ds_bpermute_b32 v5, v9, v1
	ds_bpermute_b32 v6, v9, v2
	s_waitcnt lgkmcnt(2)
	ds_bpermute_b32 v13, v9, v3
	ds_bpermute_b32 v14, v9, v4
	s_waitcnt lgkmcnt(2)
	v_add_f64 v[0:1], v[1:2], v[5:6]
	s_waitcnt lgkmcnt(0)
	v_add_f64 v[2:3], v[3:4], v[13:14]
	ds_bpermute_b32 v4, v10, v0
	ds_bpermute_b32 v5, v10, v1
	ds_bpermute_b32 v13, v10, v2
	ds_bpermute_b32 v14, v10, v3
	s_waitcnt lgkmcnt(2)
	v_add_f64 v[0:1], v[0:1], v[4:5]
	s_waitcnt lgkmcnt(0)
	v_add_f64 v[2:3], v[2:3], v[13:14]
	ds_bpermute_b32 v4, v11, v0
	ds_bpermute_b32 v5, v11, v1
	;; [unrolled: 8-line block ×3, first 2 shown]
	ds_bpermute_b32 v13, v12, v2
	ds_bpermute_b32 v14, v12, v3
	s_waitcnt lgkmcnt(2)
	v_add_f64 v[0:1], v[0:1], v[4:5]
	s_waitcnt lgkmcnt(0)
	v_add_f64 v[2:3], v[2:3], v[13:14]
	s_and_saveexec_b64 s[10:11], s[2:3]
	s_cbranch_execz .LBB35_26
; %bb.22:
	s_andn2_b64 vcc, exec, s[8:9]
	s_cbranch_vccnz .LBB35_24
; %bb.23:
	v_mov_b32_e32 v5, s5
	v_add_co_u32_e32 v4, vcc, s4, v8
	v_addc_co_u32_e32 v5, vcc, 0, v5, vcc
	v_lshlrev_b64 v[4:5], 3, v[4:5]
	v_mov_b32_e32 v6, s17
	v_add_co_u32_e32 v4, vcc, s16, v4
	v_addc_co_u32_e32 v5, vcc, v6, v5, vcc
	global_store_dwordx2 v[4:5], v[0:1], off offset:128
.LBB35_24:
	s_andn2_b64 vcc, exec, s[6:7]
	s_cbranch_vccnz .LBB35_26
; %bb.25:
	v_mov_b32_e32 v5, s5
	v_add_co_u32_e32 v4, vcc, s4, v8
	v_addc_co_u32_e32 v5, vcc, 0, v5, vcc
	v_lshlrev_b64 v[4:5], 3, v[4:5]
	v_mov_b32_e32 v6, s19
	v_add_co_u32_e32 v4, vcc, s18, v4
	v_addc_co_u32_e32 v5, vcc, v6, v5, vcc
	global_store_dwordx2 v[4:5], v[2:3], off offset:128
.LBB35_26:
	s_or_b64 exec, exec, s[10:11]
	v_cmp_gt_u32_e32 vcc, 32, v8
	s_and_b64 exec, exec, vcc
	s_cbranch_execz .LBB35_42
; %bb.27:
	s_and_saveexec_b64 s[10:11], s[0:1]
	s_cbranch_execz .LBB35_29
; %bb.28:
	v_add_u32_e32 v0, v8, v7
	v_lshl_add_u32 v2, v0, 3, 0
	ds_read_b64 v[0:1], v2 offset:256
	ds_read_b64 v[2:3], v2 offset:8576
.LBB35_29:
	s_or_b64 exec, exec, s[10:11]
	s_waitcnt lgkmcnt(1)
	ds_bpermute_b32 v4, v9, v0
	ds_bpermute_b32 v5, v9, v1
	s_waitcnt lgkmcnt(2)
	ds_bpermute_b32 v13, v9, v2
	ds_bpermute_b32 v14, v9, v3
	s_waitcnt lgkmcnt(2)
	v_add_f64 v[0:1], v[0:1], v[4:5]
	s_waitcnt lgkmcnt(0)
	v_add_f64 v[2:3], v[2:3], v[13:14]
	ds_bpermute_b32 v4, v10, v0
	ds_bpermute_b32 v5, v10, v1
	ds_bpermute_b32 v13, v10, v2
	ds_bpermute_b32 v14, v10, v3
	s_waitcnt lgkmcnt(2)
	v_add_f64 v[0:1], v[0:1], v[4:5]
	s_waitcnt lgkmcnt(0)
	v_add_f64 v[2:3], v[2:3], v[13:14]
	ds_bpermute_b32 v4, v11, v0
	ds_bpermute_b32 v5, v11, v1
	;; [unrolled: 8-line block ×3, first 2 shown]
	ds_bpermute_b32 v13, v12, v2
	ds_bpermute_b32 v14, v12, v3
	s_waitcnt lgkmcnt(2)
	v_add_f64 v[0:1], v[0:1], v[4:5]
	s_waitcnt lgkmcnt(0)
	v_add_f64 v[2:3], v[2:3], v[13:14]
	s_and_saveexec_b64 s[10:11], s[2:3]
	s_cbranch_execz .LBB35_34
; %bb.30:
	s_andn2_b64 vcc, exec, s[8:9]
	s_cbranch_vccnz .LBB35_32
; %bb.31:
	v_mov_b32_e32 v5, s5
	v_add_co_u32_e32 v4, vcc, s4, v8
	v_addc_co_u32_e32 v5, vcc, 0, v5, vcc
	v_lshlrev_b64 v[4:5], 3, v[4:5]
	v_mov_b32_e32 v6, s17
	v_add_co_u32_e32 v4, vcc, s16, v4
	v_addc_co_u32_e32 v5, vcc, v6, v5, vcc
	global_store_dwordx2 v[4:5], v[0:1], off offset:256
.LBB35_32:
	s_andn2_b64 vcc, exec, s[6:7]
	s_cbranch_vccnz .LBB35_34
; %bb.33:
	v_mov_b32_e32 v5, s5
	v_add_co_u32_e32 v4, vcc, s4, v8
	v_addc_co_u32_e32 v5, vcc, 0, v5, vcc
	v_lshlrev_b64 v[4:5], 3, v[4:5]
	v_mov_b32_e32 v6, s19
	v_add_co_u32_e32 v4, vcc, s18, v4
	v_addc_co_u32_e32 v5, vcc, v6, v5, vcc
	global_store_dwordx2 v[4:5], v[2:3], off offset:256
.LBB35_34:
	s_or_b64 exec, exec, s[10:11]
	v_cmp_gt_u32_e32 vcc, 16, v8
	s_and_b64 exec, exec, vcc
	s_cbranch_execz .LBB35_42
; %bb.35:
	s_and_saveexec_b64 s[10:11], s[0:1]
	s_cbranch_execz .LBB35_37
; %bb.36:
	v_add_u32_e32 v0, v8, v7
	v_lshl_add_u32 v2, v0, 3, 0
	ds_read_b64 v[0:1], v2 offset:384
	ds_read_b64 v[2:3], v2 offset:8704
.LBB35_37:
	s_or_b64 exec, exec, s[10:11]
	s_waitcnt lgkmcnt(1)
	ds_bpermute_b32 v4, v9, v0
	ds_bpermute_b32 v5, v9, v1
	s_waitcnt lgkmcnt(2)
	ds_bpermute_b32 v6, v9, v2
	ds_bpermute_b32 v7, v9, v3
	s_waitcnt lgkmcnt(2)
	v_add_f64 v[0:1], v[0:1], v[4:5]
	s_waitcnt lgkmcnt(0)
	v_add_f64 v[2:3], v[2:3], v[6:7]
	ds_bpermute_b32 v4, v10, v0
	ds_bpermute_b32 v5, v10, v1
	ds_bpermute_b32 v6, v10, v2
	ds_bpermute_b32 v7, v10, v3
	s_waitcnt lgkmcnt(2)
	v_add_f64 v[0:1], v[0:1], v[4:5]
	s_waitcnt lgkmcnt(0)
	v_add_f64 v[2:3], v[2:3], v[6:7]
	ds_bpermute_b32 v4, v11, v0
	ds_bpermute_b32 v5, v11, v1
	;; [unrolled: 8-line block ×3, first 2 shown]
	ds_bpermute_b32 v2, v12, v0
	ds_bpermute_b32 v3, v12, v1
	s_and_b64 exec, exec, s[2:3]
	s_cbranch_execz .LBB35_42
; %bb.38:
	s_andn2_b64 vcc, exec, s[8:9]
	s_cbranch_vccnz .LBB35_40
; %bb.39:
	s_waitcnt lgkmcnt(2)
	v_add_f64 v[4:5], v[4:5], v[6:7]
	v_mov_b32_e32 v7, s5
	v_add_co_u32_e32 v6, vcc, s4, v8
	v_addc_co_u32_e32 v7, vcc, 0, v7, vcc
	v_lshlrev_b64 v[6:7], 3, v[6:7]
	v_mov_b32_e32 v9, s17
	v_add_co_u32_e32 v6, vcc, s16, v6
	v_addc_co_u32_e32 v7, vcc, v9, v7, vcc
	global_store_dwordx2 v[6:7], v[4:5], off offset:384
.LBB35_40:
	s_andn2_b64 vcc, exec, s[6:7]
	s_cbranch_vccnz .LBB35_42
; %bb.41:
	s_waitcnt lgkmcnt(0)
	v_add_f64 v[0:1], v[0:1], v[2:3]
	v_mov_b32_e32 v3, s5
	v_add_co_u32_e32 v2, vcc, s4, v8
	v_addc_co_u32_e32 v3, vcc, 0, v3, vcc
	v_lshlrev_b64 v[2:3], 3, v[2:3]
	v_mov_b32_e32 v4, s19
	v_add_co_u32_e32 v2, vcc, s18, v2
	v_addc_co_u32_e32 v3, vcc, v4, v3, vcc
	global_store_dwordx2 v[2:3], v[0:1], off offset:384
.LBB35_42:
	s_endpgm
	.section	.rodata,"a",@progbits
	.p2align	6, 0x0
	.amdhsa_kernel _ZN2at6native12_GLOBAL__N_135GammaBetaBackwardCUDAKernelTemplateIddLj64ELj16ELj256ELb0ELb1ELb0EEEvllPKT_S5_PKT0_S8_PS3_S9_
		.amdhsa_group_segment_fixed_size 0
		.amdhsa_private_segment_fixed_size 0
		.amdhsa_kernarg_size 320
		.amdhsa_user_sgpr_count 6
		.amdhsa_user_sgpr_private_segment_buffer 1
		.amdhsa_user_sgpr_dispatch_ptr 0
		.amdhsa_user_sgpr_queue_ptr 0
		.amdhsa_user_sgpr_kernarg_segment_ptr 1
		.amdhsa_user_sgpr_dispatch_id 0
		.amdhsa_user_sgpr_flat_scratch_init 0
		.amdhsa_user_sgpr_private_segment_size 0
		.amdhsa_uses_dynamic_stack 0
		.amdhsa_system_sgpr_private_segment_wavefront_offset 0
		.amdhsa_system_sgpr_workgroup_id_x 1
		.amdhsa_system_sgpr_workgroup_id_y 1
		.amdhsa_system_sgpr_workgroup_id_z 0
		.amdhsa_system_sgpr_workgroup_info 0
		.amdhsa_system_vgpr_workitem_id 1
		.amdhsa_next_free_vgpr 64
		.amdhsa_next_free_sgpr 32
		.amdhsa_reserve_vcc 1
		.amdhsa_reserve_flat_scratch 0
		.amdhsa_float_round_mode_32 0
		.amdhsa_float_round_mode_16_64 0
		.amdhsa_float_denorm_mode_32 3
		.amdhsa_float_denorm_mode_16_64 3
		.amdhsa_dx10_clamp 1
		.amdhsa_ieee_mode 1
		.amdhsa_fp16_overflow 0
		.amdhsa_exception_fp_ieee_invalid_op 0
		.amdhsa_exception_fp_denorm_src 0
		.amdhsa_exception_fp_ieee_div_zero 0
		.amdhsa_exception_fp_ieee_overflow 0
		.amdhsa_exception_fp_ieee_underflow 0
		.amdhsa_exception_fp_ieee_inexact 0
		.amdhsa_exception_int_div_zero 0
	.end_amdhsa_kernel
	.section	.text._ZN2at6native12_GLOBAL__N_135GammaBetaBackwardCUDAKernelTemplateIddLj64ELj16ELj256ELb0ELb1ELb0EEEvllPKT_S5_PKT0_S8_PS3_S9_,"axG",@progbits,_ZN2at6native12_GLOBAL__N_135GammaBetaBackwardCUDAKernelTemplateIddLj64ELj16ELj256ELb0ELb1ELb0EEEvllPKT_S5_PKT0_S8_PS3_S9_,comdat
.Lfunc_end35:
	.size	_ZN2at6native12_GLOBAL__N_135GammaBetaBackwardCUDAKernelTemplateIddLj64ELj16ELj256ELb0ELb1ELb0EEEvllPKT_S5_PKT0_S8_PS3_S9_, .Lfunc_end35-_ZN2at6native12_GLOBAL__N_135GammaBetaBackwardCUDAKernelTemplateIddLj64ELj16ELj256ELb0ELb1ELb0EEEvllPKT_S5_PKT0_S8_PS3_S9_
                                        ; -- End function
	.set _ZN2at6native12_GLOBAL__N_135GammaBetaBackwardCUDAKernelTemplateIddLj64ELj16ELj256ELb0ELb1ELb0EEEvllPKT_S5_PKT0_S8_PS3_S9_.num_vgpr, 64
	.set _ZN2at6native12_GLOBAL__N_135GammaBetaBackwardCUDAKernelTemplateIddLj64ELj16ELj256ELb0ELb1ELb0EEEvllPKT_S5_PKT0_S8_PS3_S9_.num_agpr, 0
	.set _ZN2at6native12_GLOBAL__N_135GammaBetaBackwardCUDAKernelTemplateIddLj64ELj16ELj256ELb0ELb1ELb0EEEvllPKT_S5_PKT0_S8_PS3_S9_.numbered_sgpr, 32
	.set _ZN2at6native12_GLOBAL__N_135GammaBetaBackwardCUDAKernelTemplateIddLj64ELj16ELj256ELb0ELb1ELb0EEEvllPKT_S5_PKT0_S8_PS3_S9_.num_named_barrier, 0
	.set _ZN2at6native12_GLOBAL__N_135GammaBetaBackwardCUDAKernelTemplateIddLj64ELj16ELj256ELb0ELb1ELb0EEEvllPKT_S5_PKT0_S8_PS3_S9_.private_seg_size, 0
	.set _ZN2at6native12_GLOBAL__N_135GammaBetaBackwardCUDAKernelTemplateIddLj64ELj16ELj256ELb0ELb1ELb0EEEvllPKT_S5_PKT0_S8_PS3_S9_.uses_vcc, 1
	.set _ZN2at6native12_GLOBAL__N_135GammaBetaBackwardCUDAKernelTemplateIddLj64ELj16ELj256ELb0ELb1ELb0EEEvllPKT_S5_PKT0_S8_PS3_S9_.uses_flat_scratch, 0
	.set _ZN2at6native12_GLOBAL__N_135GammaBetaBackwardCUDAKernelTemplateIddLj64ELj16ELj256ELb0ELb1ELb0EEEvllPKT_S5_PKT0_S8_PS3_S9_.has_dyn_sized_stack, 0
	.set _ZN2at6native12_GLOBAL__N_135GammaBetaBackwardCUDAKernelTemplateIddLj64ELj16ELj256ELb0ELb1ELb0EEEvllPKT_S5_PKT0_S8_PS3_S9_.has_recursion, 0
	.set _ZN2at6native12_GLOBAL__N_135GammaBetaBackwardCUDAKernelTemplateIddLj64ELj16ELj256ELb0ELb1ELb0EEEvllPKT_S5_PKT0_S8_PS3_S9_.has_indirect_call, 0
	.section	.AMDGPU.csdata,"",@progbits
; Kernel info:
; codeLenInByte = 4044
; TotalNumSgprs: 36
; NumVgprs: 64
; ScratchSize: 0
; MemoryBound: 0
; FloatMode: 240
; IeeeMode: 1
; LDSByteSize: 0 bytes/workgroup (compile time only)
; SGPRBlocks: 4
; VGPRBlocks: 15
; NumSGPRsForWavesPerEU: 36
; NumVGPRsForWavesPerEU: 64
; Occupancy: 4
; WaveLimiterHint : 0
; COMPUTE_PGM_RSRC2:SCRATCH_EN: 0
; COMPUTE_PGM_RSRC2:USER_SGPR: 6
; COMPUTE_PGM_RSRC2:TRAP_HANDLER: 0
; COMPUTE_PGM_RSRC2:TGID_X_EN: 1
; COMPUTE_PGM_RSRC2:TGID_Y_EN: 1
; COMPUTE_PGM_RSRC2:TGID_Z_EN: 0
; COMPUTE_PGM_RSRC2:TIDIG_COMP_CNT: 1
	.section	.text._ZN2at6native12_GLOBAL__N_135GammaBetaBackwardCUDAKernelTemplateIddLj64ELj16ELj256ELb0ELb0ELb0EEEvllPKT_S5_PKT0_S8_PS3_S9_,"axG",@progbits,_ZN2at6native12_GLOBAL__N_135GammaBetaBackwardCUDAKernelTemplateIddLj64ELj16ELj256ELb0ELb0ELb0EEEvllPKT_S5_PKT0_S8_PS3_S9_,comdat
	.globl	_ZN2at6native12_GLOBAL__N_135GammaBetaBackwardCUDAKernelTemplateIddLj64ELj16ELj256ELb0ELb0ELb0EEEvllPKT_S5_PKT0_S8_PS3_S9_ ; -- Begin function _ZN2at6native12_GLOBAL__N_135GammaBetaBackwardCUDAKernelTemplateIddLj64ELj16ELj256ELb0ELb0ELb0EEEvllPKT_S5_PKT0_S8_PS3_S9_
	.p2align	8
	.type	_ZN2at6native12_GLOBAL__N_135GammaBetaBackwardCUDAKernelTemplateIddLj64ELj16ELj256ELb0ELb0ELb0EEEvllPKT_S5_PKT0_S8_PS3_S9_,@function
_ZN2at6native12_GLOBAL__N_135GammaBetaBackwardCUDAKernelTemplateIddLj64ELj16ELj256ELb0ELb0ELb0EEEvllPKT_S5_PKT0_S8_PS3_S9_: ; @_ZN2at6native12_GLOBAL__N_135GammaBetaBackwardCUDAKernelTemplateIddLj64ELj16ELj256ELb0ELb0ELb0EEEvllPKT_S5_PKT0_S8_PS3_S9_
; %bb.0:
	s_mov_b64 s[38:39], s[2:3]
	s_mov_b64 s[36:37], s[0:1]
	s_add_u32 s36, s36, s8
	s_addc_u32 s37, s37, 0
	buffer_store_dword v1, off, s[36:39], 0 offset:336 ; 4-byte Folded Spill
	s_load_dwordx8 s[12:19], s[4:5], 0x0
	s_load_dwordx4 s[20:23], s[4:5], 0x20
	s_lshl_b32 s33, s6, 6
	s_or_b32 s0, s33, 63
	v_mov_b32_e32 v15, v0
	v_mov_b32_e32 v0, s0
	;; [unrolled: 1-line block ×3, first 2 shown]
	s_lshl_b32 s10, s7, 8
	s_mov_b32 s11, 0
	s_waitcnt lgkmcnt(0)
	v_cmp_le_i64_e32 vcc, s[14:15], v[0:1]
	v_mov_b32_e32 v0, s10
	v_mov_b32_e32 v1, s11
	v_cmp_gt_i64_e64 s[0:1], s[12:13], v[0:1]
	v_cndmask_b32_e64 v0, 0, 1, s[0:1]
	v_cmp_ne_u32_e64 s[0:1], 1, v0
	s_cbranch_vccz .LBB36_81
; %bb.1:
	v_mov_b32_e32 v22, 0
	v_mov_b32_e32 v35, 0
	;; [unrolled: 1-line block ×3, first 2 shown]
	s_and_b64 vcc, exec, s[0:1]
	v_mov_b32_e32 v36, 0
	s_cbranch_vccnz .LBB36_83
; %bb.2:
	buffer_load_dword v0, off, s[36:39], 0 offset:336 ; 4-byte Folded Reload
	v_mov_b32_e32 v6, s17
	v_mov_b32_e32 v8, s19
	s_load_dword s7, s[4:5], 0x44
	s_add_u32 s24, s4, 64
	buffer_store_dword v15, off, s[36:39], 0 offset:444 ; 4-byte Folded Spill
	s_addc_u32 s25, s5, 0
	s_mov_b64 s[30:31], s[10:11]
	s_waitcnt lgkmcnt(0)
	s_lshl_b32 s7, s7, 8
	s_mul_i32 s8, s15, s7
	s_mul_hi_u32 s9, s14, s7
	s_add_i32 s9, s9, s8
	s_mul_i32 s8, s14, s7
	s_lshl_b64 s[26:27], s[8:9], 3
	s_add_u32 s28, s10, 0xff
	s_addc_u32 s29, 0, 0
	s_waitcnt vmcnt(1)
	v_lshlrev_b32_e32 v0, 4, v0
	v_add_co_u32_e32 v2, vcc, s10, v0
	v_addc_co_u32_e64 v3, s[2:3], 0, 0, vcc
	buffer_store_dword v0, off, s[36:39], 0 offset:404 ; 4-byte Folded Spill
	v_mul_lo_u32 v4, s15, v2
	v_mul_lo_u32 v5, s14, v3
	v_mad_u64_u32 v[0:1], s[2:3], s14, v2, 0
	v_add3_u32 v1, v1, v5, v4
	v_lshlrev_b64 v[4:5], 3, v[0:1]
	v_add_co_u32_e32 v7, vcc, s16, v4
	v_addc_co_u32_e32 v6, vcc, v6, v5, vcc
	buffer_store_dword v6, off, s[36:39], 0 offset:12 ; 4-byte Folded Spill
	v_add_co_u32_e32 v6, vcc, 15, v2
	buffer_store_dword v7, off, s[36:39], 0 offset:8 ; 4-byte Folded Spill
	v_addc_co_u32_e32 v7, vcc, 0, v3, vcc
	v_mul_lo_u32 v9, s15, v6
	v_mul_lo_u32 v10, s14, v7
	v_mad_u64_u32 v[6:7], s[2:3], s14, v6, 0
	v_add_co_u32_e32 v4, vcc, s18, v4
	buffer_store_dword v4, off, s[36:39], 0 offset:16 ; 4-byte Folded Spill
	v_addc_co_u32_e32 v4, vcc, v8, v5, vcc
	v_add3_u32 v7, v7, v10, v9
	buffer_store_dword v4, off, s[36:39], 0 offset:20 ; 4-byte Folded Spill
	v_lshlrev_b64 v[4:5], 3, v[6:7]
	v_mov_b32_e32 v6, s17
	v_add_co_u32_e32 v7, vcc, s16, v4
	v_addc_co_u32_e32 v6, vcc, v6, v5, vcc
	buffer_store_dword v6, off, s[36:39], 0 offset:36 ; 4-byte Folded Spill
	v_add_co_u32_e32 v6, vcc, 14, v2
	buffer_store_dword v7, off, s[36:39], 0 offset:28 ; 4-byte Folded Spill
	v_addc_co_u32_e32 v7, vcc, 0, v3, vcc
	v_mul_lo_u32 v9, s15, v6
	v_mul_lo_u32 v10, s14, v7
	v_mad_u64_u32 v[6:7], s[2:3], s14, v6, 0
	v_add_co_u32_e32 v4, vcc, s18, v4
	buffer_store_dword v4, off, s[36:39], 0 offset:44 ; 4-byte Folded Spill
	v_addc_co_u32_e32 v4, vcc, v8, v5, vcc
	v_add3_u32 v7, v7, v10, v9
	buffer_store_dword v4, off, s[36:39], 0 offset:52 ; 4-byte Folded Spill
	v_lshlrev_b64 v[4:5], 3, v[6:7]
	v_mov_b32_e32 v6, s17
	;; [unrolled: 16-line block ×11, first 2 shown]
	v_add_co_u32_e32 v7, vcc, s16, v4
	v_addc_co_u32_e32 v6, vcc, v6, v5, vcc
	buffer_store_dword v6, off, s[36:39], 0 offset:260 ; 4-byte Folded Spill
	v_mov_b32_e32 v6, s19
	v_add_co_u32_e32 v4, vcc, s18, v4
	buffer_store_dword v4, off, s[36:39], 0 offset:264 ; 4-byte Folded Spill
	v_addc_co_u32_e32 v4, vcc, v6, v5, vcc
	buffer_store_dword v4, off, s[36:39], 0 offset:268 ; 4-byte Folded Spill
	v_add_co_u32_e32 v4, vcc, 4, v2
	v_addc_co_u32_e32 v5, vcc, 0, v3, vcc
	buffer_store_dword v7, off, s[36:39], 0 offset:256 ; 4-byte Folded Spill
	v_mul_lo_u32 v6, s15, v4
	v_mul_lo_u32 v7, s14, v5
	v_mad_u64_u32 v[4:5], s[2:3], s14, v4, 0
	v_add_co_u32_e32 v0, vcc, s14, v0
	v_add3_u32 v5, v5, v7, v6
	v_lshlrev_b64 v[4:5], 3, v[4:5]
	v_mov_b32_e32 v6, s15
	v_addc_co_u32_e32 v1, vcc, v1, v6, vcc
	v_mov_b32_e32 v6, s17
	v_add_co_u32_e32 v7, vcc, s16, v4
	v_addc_co_u32_e32 v6, vcc, v6, v5, vcc
	buffer_store_dword v6, off, s[36:39], 0 offset:276 ; 4-byte Folded Spill
	v_mov_b32_e32 v6, s19
	v_add_co_u32_e32 v4, vcc, s18, v4
	buffer_store_dword v4, off, s[36:39], 0 offset:280 ; 4-byte Folded Spill
	v_addc_co_u32_e32 v4, vcc, v6, v5, vcc
	buffer_store_dword v4, off, s[36:39], 0 offset:284 ; 4-byte Folded Spill
	v_add_co_u32_e32 v4, vcc, 3, v2
	v_addc_co_u32_e32 v5, vcc, 0, v3, vcc
	buffer_store_dword v7, off, s[36:39], 0 offset:272 ; 4-byte Folded Spill
	v_mul_lo_u32 v6, s14, v5
	v_mul_lo_u32 v7, s15, v4
	v_mad_u64_u32 v[4:5], s[2:3], s14, v4, 0
	v_lshlrev_b64 v[0:1], 3, v[0:1]
	v_add3_u32 v5, v5, v6, v7
	v_lshlrev_b64 v[4:5], 3, v[4:5]
	v_mov_b32_e32 v6, s17
	v_add_co_u32_e32 v7, vcc, s16, v4
	v_addc_co_u32_e32 v6, vcc, v6, v5, vcc
	buffer_store_dword v6, off, s[36:39], 0 offset:292 ; 4-byte Folded Spill
	v_mov_b32_e32 v6, s19
	v_add_co_u32_e32 v4, vcc, s18, v4
	buffer_store_dword v4, off, s[36:39], 0 offset:296 ; 4-byte Folded Spill
	v_addc_co_u32_e32 v4, vcc, v6, v5, vcc
	v_add_co_u32_e32 v2, vcc, 2, v2
	v_addc_co_u32_e32 v3, vcc, 0, v3, vcc
	buffer_store_dword v4, off, s[36:39], 0 offset:300 ; 4-byte Folded Spill
	v_mul_lo_u32 v4, s14, v3
	v_mul_lo_u32 v5, s15, v2
	v_mad_u64_u32 v[2:3], s[2:3], s14, v2, 0
	buffer_store_dword v7, off, s[36:39], 0 offset:288 ; 4-byte Folded Spill
	v_add3_u32 v3, v3, v4, v5
	v_lshlrev_b64 v[2:3], 3, v[2:3]
	v_mov_b32_e32 v4, s17
	v_add_co_u32_e32 v5, vcc, s16, v2
	v_addc_co_u32_e32 v4, vcc, v4, v3, vcc
	buffer_store_dword v4, off, s[36:39], 0 offset:308 ; 4-byte Folded Spill
	v_mov_b32_e32 v4, s19
	v_add_co_u32_e32 v2, vcc, s18, v2
	buffer_store_dword v2, off, s[36:39], 0 offset:312 ; 4-byte Folded Spill
	v_addc_co_u32_e32 v2, vcc, v4, v3, vcc
	buffer_store_dword v2, off, s[36:39], 0 offset:316 ; 4-byte Folded Spill
	v_mov_b32_e32 v2, s17
	v_add_co_u32_e32 v3, vcc, s16, v0
	v_addc_co_u32_e32 v2, vcc, v2, v1, vcc
	buffer_store_dword v2, off, s[36:39], 0 offset:324 ; 4-byte Folded Spill
	v_mov_b32_e32 v2, s19
	v_add_co_u32_e32 v0, vcc, s18, v0
	buffer_store_dword v0, off, s[36:39], 0 offset:328 ; 4-byte Folded Spill
	v_addc_co_u32_e32 v0, vcc, v2, v1, vcc
	buffer_store_dword v0, off, s[36:39], 0 offset:332 ; 4-byte Folded Spill
	v_mbcnt_lo_u32_b32 v0, -1, 0
	buffer_store_dword v3, off, s[36:39], 0 offset:320 ; 4-byte Folded Spill
	v_mov_b32_e32 v3, 0
	v_mbcnt_hi_u32_b32 v0, -1, v0
	v_lshlrev_b32_e32 v0, 2, v0
	v_mov_b32_e32 v1, v3
	buffer_store_dword v5, off, s[36:39], 0 offset:304 ; 4-byte Folded Spill
	v_and_b32_e32 v48, 0x100, v0
	buffer_store_dword v0, off, s[36:39], 0 offset:408 ; 4-byte Folded Spill
	s_nop 0
	buffer_store_dword v1, off, s[36:39], 0 offset:412 ; 4-byte Folded Spill
	v_mov_b32_e32 v0, 0
	v_mov_b32_e32 v1, 0
	v_add_u32_e32 v2, s33, v15
	buffer_store_dword v0, off, s[36:39], 0 offset:340 ; 4-byte Folded Spill
	s_nop 0
	buffer_store_dword v1, off, s[36:39], 0 offset:344 ; 4-byte Folded Spill
	v_cmp_gt_i64_e64 s[2:3], s[14:15], v[2:3]
	v_lshlrev_b64 v[2:3], 3, v[2:3]
	v_mov_b32_e32 v0, 0
	v_mov_b32_e32 v1, 0
	buffer_store_dword v0, off, s[36:39], 0 ; 4-byte Folded Spill
	s_nop 0
	buffer_store_dword v1, off, s[36:39], 0 offset:4 ; 4-byte Folded Spill
.LBB36_3:                               ; =>This Inner Loop Header: Depth=1
	v_mov_b32_e32 v0, s12
	v_mov_b32_e32 v1, s13
	v_cmp_ge_i64_e32 vcc, s[28:29], v[0:1]
	buffer_load_dword v1, off, s[36:39], 0 offset:404 ; 4-byte Folded Reload
	v_mov_b32_e32 v0, s29
	s_and_b64 vcc, exec, vcc
                                        ; implicit-def: $vgpr10_vgpr11
                                        ; implicit-def: $vgpr12_vgpr13
                                        ; implicit-def: $vgpr4
                                        ; implicit-def: $vgpr14_vgpr15
                                        ; implicit-def: $vgpr16_vgpr17
	s_waitcnt vmcnt(0)
	v_add_co_u32_e64 v49, s[8:9], s28, v1
	v_addc_co_u32_e64 v40, s[8:9], 0, v0, s[8:9]
	s_mov_b64 s[8:9], -1
                                        ; implicit-def: $vgpr0_vgpr1
	s_cbranch_vccz .LBB36_41
; %bb.4:                                ;   in Loop: Header=BB36_3 Depth=1
	s_load_dword s8, s[24:25], 0xc
	buffer_load_dword v0, off, s[36:39], 0 offset:444 ; 4-byte Folded Reload
	buffer_load_dword v1, off, s[36:39], 0 offset:336 ; 4-byte Folded Reload
	v_mov_b32_e32 v36, 0
	v_mov_b32_e32 v8, 0
	;; [unrolled: 1-line block ×3, first 2 shown]
	s_waitcnt lgkmcnt(0)
	s_and_b32 s8, s8, 0xffff
	v_mov_b32_e32 v37, 0
	v_mov_b32_e32 v9, 0
	v_mov_b32_e32 v7, 0
	s_waitcnt vmcnt(0)
	v_mad_u32_u24 v0, v1, s8, v0
	v_and_b32_e32 v0, 63, v0
	v_cmp_gt_u32_e32 vcc, 16, v0
	s_and_saveexec_b64 s[8:9], vcc
	s_cbranch_execz .LBB36_8
; %bb.5:                                ;   in Loop: Header=BB36_3 Depth=1
	v_add_co_u32_e32 v0, vcc, v49, v0
	v_addc_co_u32_e32 v1, vcc, 0, v40, vcc
	v_add_co_u32_e32 v0, vcc, 0xffffff01, v0
	v_addc_co_u32_e32 v1, vcc, -1, v1, vcc
	v_cmp_gt_i64_e32 vcc, s[12:13], v[0:1]
	v_mov_b32_e32 v6, 0
	v_mov_b32_e32 v8, 0
	;; [unrolled: 1-line block ×4, first 2 shown]
	s_and_saveexec_b64 s[34:35], vcc
	s_cbranch_execz .LBB36_7
; %bb.6:                                ;   in Loop: Header=BB36_3 Depth=1
	v_lshlrev_b64 v[0:1], 3, v[0:1]
	v_mov_b32_e32 v5, s23
	v_add_co_u32_e32 v4, vcc, s22, v0
	v_addc_co_u32_e32 v5, vcc, v5, v1, vcc
	v_mov_b32_e32 v6, s21
	v_add_co_u32_e32 v0, vcc, s20, v0
	v_addc_co_u32_e32 v1, vcc, v6, v1, vcc
	global_load_dwordx2 v[6:7], v[0:1], off
	global_load_dwordx2 v[8:9], v[4:5], off
.LBB36_7:                               ;   in Loop: Header=BB36_3 Depth=1
	s_or_b64 exec, exec, s[34:35]
.LBB36_8:                               ;   in Loop: Header=BB36_3 Depth=1
	s_or_b64 exec, exec, s[8:9]
	v_add_co_u32_e32 v0, vcc, 0xffffff01, v49
	v_addc_co_u32_e32 v1, vcc, -1, v40, vcc
	v_cmp_gt_i64_e32 vcc, s[12:13], v[0:1]
	v_mov_b32_e32 v46, 0
	v_mov_b32_e32 v47, 0
	s_and_b64 s[34:35], s[2:3], vcc
	s_and_saveexec_b64 s[8:9], s[34:35]
	s_cbranch_execz .LBB36_10
; %bb.9:                                ;   in Loop: Header=BB36_3 Depth=1
	buffer_load_dword v0, off, s[36:39], 0 offset:8 ; 4-byte Folded Reload
	buffer_load_dword v1, off, s[36:39], 0 offset:12 ; 4-byte Folded Reload
	s_waitcnt vmcnt(1)
	v_add_co_u32_e32 v0, vcc, v0, v2
	s_waitcnt vmcnt(0)
	v_addc_co_u32_e32 v1, vcc, v1, v3, vcc
	global_load_dwordx2 v[36:37], v[0:1], off
	s_nop 0
	buffer_load_dword v0, off, s[36:39], 0 offset:16 ; 4-byte Folded Reload
	buffer_load_dword v1, off, s[36:39], 0 offset:20 ; 4-byte Folded Reload
	s_waitcnt vmcnt(1)
	v_add_co_u32_e32 v0, vcc, v0, v2
	s_waitcnt vmcnt(0)
	v_addc_co_u32_e32 v1, vcc, v1, v3, vcc
	global_load_dwordx2 v[46:47], v[0:1], off
.LBB36_10:                              ;   in Loop: Header=BB36_3 Depth=1
	s_or_b64 exec, exec, s[8:9]
	v_add_co_u32_e32 v0, vcc, 0xffffff02, v49
	v_addc_co_u32_e32 v1, vcc, -1, v40, vcc
	v_cmp_gt_i64_e32 vcc, s[12:13], v[0:1]
	v_mov_b32_e32 v14, 0
	v_mov_b32_e32 v16, 0
	;; [unrolled: 1-line block ×6, first 2 shown]
	s_and_b64 s[34:35], s[2:3], vcc
	s_and_saveexec_b64 s[8:9], s[34:35]
	s_cbranch_execz .LBB36_12
; %bb.11:                               ;   in Loop: Header=BB36_3 Depth=1
	buffer_load_dword v0, off, s[36:39], 0 offset:320 ; 4-byte Folded Reload
	buffer_load_dword v1, off, s[36:39], 0 offset:324 ; 4-byte Folded Reload
	s_waitcnt vmcnt(1)
	v_add_co_u32_e32 v0, vcc, v0, v2
	s_waitcnt vmcnt(0)
	v_addc_co_u32_e32 v1, vcc, v1, v3, vcc
	global_load_dwordx2 v[16:17], v[0:1], off
	s_nop 0
	buffer_load_dword v0, off, s[36:39], 0 offset:328 ; 4-byte Folded Reload
	buffer_load_dword v1, off, s[36:39], 0 offset:332 ; 4-byte Folded Reload
	s_waitcnt vmcnt(1)
	v_add_co_u32_e32 v0, vcc, v0, v2
	s_waitcnt vmcnt(0)
	v_addc_co_u32_e32 v1, vcc, v1, v3, vcc
	global_load_dwordx2 v[52:53], v[0:1], off
.LBB36_12:                              ;   in Loop: Header=BB36_3 Depth=1
	s_or_b64 exec, exec, s[8:9]
	v_add_co_u32_e32 v0, vcc, 0xffffff03, v49
	v_addc_co_u32_e32 v1, vcc, -1, v40, vcc
	v_cmp_gt_i64_e32 vcc, s[12:13], v[0:1]
	v_mov_b32_e32 v56, 0
	v_mov_b32_e32 v57, 0
	s_and_b64 s[34:35], s[2:3], vcc
	s_and_saveexec_b64 s[8:9], s[34:35]
	s_cbranch_execz .LBB36_14
; %bb.13:                               ;   in Loop: Header=BB36_3 Depth=1
	buffer_load_dword v0, off, s[36:39], 0 offset:304 ; 4-byte Folded Reload
	buffer_load_dword v1, off, s[36:39], 0 offset:308 ; 4-byte Folded Reload
	s_waitcnt vmcnt(1)
	v_add_co_u32_e32 v0, vcc, v0, v2
	s_waitcnt vmcnt(0)
	v_addc_co_u32_e32 v1, vcc, v1, v3, vcc
	global_load_dwordx2 v[14:15], v[0:1], off
	s_nop 0
	buffer_load_dword v0, off, s[36:39], 0 offset:312 ; 4-byte Folded Reload
	buffer_load_dword v1, off, s[36:39], 0 offset:316 ; 4-byte Folded Reload
	s_waitcnt vmcnt(1)
	v_add_co_u32_e32 v0, vcc, v0, v2
	s_waitcnt vmcnt(0)
	v_addc_co_u32_e32 v1, vcc, v1, v3, vcc
	global_load_dwordx2 v[56:57], v[0:1], off
.LBB36_14:                              ;   in Loop: Header=BB36_3 Depth=1
	s_or_b64 exec, exec, s[8:9]
	v_add_co_u32_e32 v0, vcc, 0xffffff04, v49
	v_addc_co_u32_e32 v1, vcc, -1, v40, vcc
	v_cmp_gt_i64_e32 vcc, s[12:13], v[0:1]
	v_mov_b32_e32 v22, 0
	v_mov_b32_e32 v28, 0
	;; [unrolled: 1-line block ×6, first 2 shown]
	s_and_b64 s[34:35], s[2:3], vcc
	s_and_saveexec_b64 s[8:9], s[34:35]
	s_cbranch_execz .LBB36_16
; %bb.15:                               ;   in Loop: Header=BB36_3 Depth=1
	buffer_load_dword v0, off, s[36:39], 0 offset:288 ; 4-byte Folded Reload
	buffer_load_dword v1, off, s[36:39], 0 offset:292 ; 4-byte Folded Reload
	s_waitcnt vmcnt(1)
	v_add_co_u32_e32 v0, vcc, v0, v2
	s_waitcnt vmcnt(0)
	v_addc_co_u32_e32 v1, vcc, v1, v3, vcc
	global_load_dwordx2 v[28:29], v[0:1], off
	s_nop 0
	buffer_load_dword v0, off, s[36:39], 0 offset:296 ; 4-byte Folded Reload
	buffer_load_dword v1, off, s[36:39], 0 offset:300 ; 4-byte Folded Reload
	s_waitcnt vmcnt(1)
	v_add_co_u32_e32 v0, vcc, v0, v2
	s_waitcnt vmcnt(0)
	v_addc_co_u32_e32 v1, vcc, v1, v3, vcc
	global_load_dwordx2 v[58:59], v[0:1], off
.LBB36_16:                              ;   in Loop: Header=BB36_3 Depth=1
	s_or_b64 exec, exec, s[8:9]
	v_add_co_u32_e32 v0, vcc, 0xffffff05, v49
	v_addc_co_u32_e32 v1, vcc, -1, v40, vcc
	v_cmp_gt_i64_e32 vcc, s[12:13], v[0:1]
	v_mov_b32_e32 v18, 0
	v_mov_b32_e32 v19, 0
	s_and_b64 s[34:35], s[2:3], vcc
	s_and_saveexec_b64 s[8:9], s[34:35]
	s_cbranch_execz .LBB36_18
; %bb.17:                               ;   in Loop: Header=BB36_3 Depth=1
	buffer_load_dword v0, off, s[36:39], 0 offset:272 ; 4-byte Folded Reload
	buffer_load_dword v1, off, s[36:39], 0 offset:276 ; 4-byte Folded Reload
	s_waitcnt vmcnt(1)
	v_add_co_u32_e32 v0, vcc, v0, v2
	s_waitcnt vmcnt(0)
	v_addc_co_u32_e32 v1, vcc, v1, v3, vcc
	global_load_dwordx2 v[22:23], v[0:1], off
	s_nop 0
	buffer_load_dword v0, off, s[36:39], 0 offset:280 ; 4-byte Folded Reload
	buffer_load_dword v1, off, s[36:39], 0 offset:284 ; 4-byte Folded Reload
	s_waitcnt vmcnt(1)
	v_add_co_u32_e32 v0, vcc, v0, v2
	s_waitcnt vmcnt(0)
	v_addc_co_u32_e32 v1, vcc, v1, v3, vcc
	global_load_dwordx2 v[18:19], v[0:1], off
.LBB36_18:                              ;   in Loop: Header=BB36_3 Depth=1
	s_or_b64 exec, exec, s[8:9]
	v_add_co_u32_e32 v0, vcc, 0xffffff06, v49
	v_addc_co_u32_e32 v1, vcc, -1, v40, vcc
	v_cmp_gt_i64_e32 vcc, s[12:13], v[0:1]
	v_mov_b32_e32 v0, 0
	v_mov_b32_e32 v1, 0
	buffer_store_dword v0, off, s[36:39], 0 offset:348 ; 4-byte Folded Spill
	s_nop 0
	buffer_store_dword v1, off, s[36:39], 0 offset:352 ; 4-byte Folded Spill
	v_mov_b32_e32 v32, 0
	v_mov_b32_e32 v0, 0
	;; [unrolled: 1-line block ×4, first 2 shown]
	s_and_b64 s[34:35], s[2:3], vcc
	buffer_store_dword v0, off, s[36:39], 0 offset:364 ; 4-byte Folded Spill
	s_nop 0
	buffer_store_dword v1, off, s[36:39], 0 offset:368 ; 4-byte Folded Spill
	s_and_saveexec_b64 s[8:9], s[34:35]
	s_cbranch_execz .LBB36_20
; %bb.19:                               ;   in Loop: Header=BB36_3 Depth=1
	buffer_load_dword v0, off, s[36:39], 0 offset:256 ; 4-byte Folded Reload
	buffer_load_dword v1, off, s[36:39], 0 offset:260 ; 4-byte Folded Reload
	s_waitcnt vmcnt(1)
	v_add_co_u32_e32 v0, vcc, v0, v2
	s_waitcnt vmcnt(0)
	v_addc_co_u32_e32 v1, vcc, v1, v3, vcc
	global_load_dwordx2 v[32:33], v[0:1], off
	s_nop 0
	buffer_load_dword v0, off, s[36:39], 0 offset:264 ; 4-byte Folded Reload
	buffer_load_dword v1, off, s[36:39], 0 offset:268 ; 4-byte Folded Reload
	s_waitcnt vmcnt(1)
	v_add_co_u32_e32 v0, vcc, v0, v2
	s_waitcnt vmcnt(0)
	v_addc_co_u32_e32 v1, vcc, v1, v3, vcc
	global_load_dwordx2 v[0:1], v[0:1], off
	s_waitcnt vmcnt(0)
	buffer_store_dword v0, off, s[36:39], 0 offset:364 ; 4-byte Folded Spill
	s_nop 0
	buffer_store_dword v1, off, s[36:39], 0 offset:368 ; 4-byte Folded Spill
.LBB36_20:                              ;   in Loop: Header=BB36_3 Depth=1
	s_or_b64 exec, exec, s[8:9]
	v_add_co_u32_e32 v0, vcc, 0xffffff07, v49
	v_addc_co_u32_e32 v1, vcc, -1, v40, vcc
	v_cmp_gt_i64_e32 vcc, s[12:13], v[0:1]
	v_mov_b32_e32 v0, 0
	v_mov_b32_e32 v1, 0
	s_and_b64 s[34:35], s[2:3], vcc
	buffer_store_dword v0, off, s[36:39], 0 offset:372 ; 4-byte Folded Spill
	s_nop 0
	buffer_store_dword v1, off, s[36:39], 0 offset:376 ; 4-byte Folded Spill
	s_and_saveexec_b64 s[8:9], s[34:35]
	s_cbranch_execz .LBB36_22
; %bb.21:                               ;   in Loop: Header=BB36_3 Depth=1
	buffer_load_dword v0, off, s[36:39], 0 offset:240 ; 4-byte Folded Reload
	buffer_load_dword v1, off, s[36:39], 0 offset:244 ; 4-byte Folded Reload
	s_waitcnt vmcnt(1)
	v_add_co_u32_e32 v0, vcc, v0, v2
	s_waitcnt vmcnt(0)
	v_addc_co_u32_e32 v1, vcc, v1, v3, vcc
	global_load_dwordx2 v[0:1], v[0:1], off
	s_waitcnt vmcnt(0)
	buffer_store_dword v0, off, s[36:39], 0 offset:348 ; 4-byte Folded Spill
	s_nop 0
	buffer_store_dword v1, off, s[36:39], 0 offset:352 ; 4-byte Folded Spill
	buffer_load_dword v0, off, s[36:39], 0 offset:248 ; 4-byte Folded Reload
	s_nop 0
	buffer_load_dword v1, off, s[36:39], 0 offset:252 ; 4-byte Folded Reload
	s_waitcnt vmcnt(1)
	v_add_co_u32_e32 v0, vcc, v0, v2
	s_waitcnt vmcnt(0)
	v_addc_co_u32_e32 v1, vcc, v1, v3, vcc
	global_load_dwordx2 v[0:1], v[0:1], off
	s_waitcnt vmcnt(0)
	buffer_store_dword v0, off, s[36:39], 0 offset:372 ; 4-byte Folded Spill
	s_nop 0
	buffer_store_dword v1, off, s[36:39], 0 offset:376 ; 4-byte Folded Spill
.LBB36_22:                              ;   in Loop: Header=BB36_3 Depth=1
	s_or_b64 exec, exec, s[8:9]
	v_add_co_u32_e32 v0, vcc, 0xffffff08, v49
	v_addc_co_u32_e32 v1, vcc, -1, v40, vcc
	v_cmp_gt_i64_e32 vcc, s[12:13], v[0:1]
	v_mov_b32_e32 v26, 0
	v_mov_b32_e32 v34, 0
	;; [unrolled: 1-line block ×6, first 2 shown]
	s_and_b64 s[34:35], s[2:3], vcc
	buffer_store_dword v0, off, s[36:39], 0 offset:380 ; 4-byte Folded Spill
	s_nop 0
	buffer_store_dword v1, off, s[36:39], 0 offset:384 ; 4-byte Folded Spill
	s_and_saveexec_b64 s[8:9], s[34:35]
	s_cbranch_execz .LBB36_24
; %bb.23:                               ;   in Loop: Header=BB36_3 Depth=1
	buffer_load_dword v0, off, s[36:39], 0 offset:224 ; 4-byte Folded Reload
	buffer_load_dword v1, off, s[36:39], 0 offset:228 ; 4-byte Folded Reload
	s_waitcnt vmcnt(1)
	v_add_co_u32_e32 v0, vcc, v0, v2
	s_waitcnt vmcnt(0)
	v_addc_co_u32_e32 v1, vcc, v1, v3, vcc
	global_load_dwordx2 v[34:35], v[0:1], off
	s_nop 0
	buffer_load_dword v0, off, s[36:39], 0 offset:232 ; 4-byte Folded Reload
	buffer_load_dword v1, off, s[36:39], 0 offset:236 ; 4-byte Folded Reload
	s_waitcnt vmcnt(1)
	v_add_co_u32_e32 v0, vcc, v0, v2
	s_waitcnt vmcnt(0)
	v_addc_co_u32_e32 v1, vcc, v1, v3, vcc
	global_load_dwordx2 v[0:1], v[0:1], off
	s_waitcnt vmcnt(0)
	buffer_store_dword v0, off, s[36:39], 0 offset:380 ; 4-byte Folded Spill
	s_nop 0
	buffer_store_dword v1, off, s[36:39], 0 offset:384 ; 4-byte Folded Spill
.LBB36_24:                              ;   in Loop: Header=BB36_3 Depth=1
	s_or_b64 exec, exec, s[8:9]
	v_add_co_u32_e32 v0, vcc, 0xffffff09, v49
	v_addc_co_u32_e32 v1, vcc, -1, v40, vcc
	v_cmp_gt_i64_e32 vcc, s[12:13], v[0:1]
	v_mov_b32_e32 v0, 0
	v_mov_b32_e32 v1, 0
	s_and_b64 s[34:35], s[2:3], vcc
	buffer_store_dword v0, off, s[36:39], 0 offset:356 ; 4-byte Folded Spill
	s_nop 0
	buffer_store_dword v1, off, s[36:39], 0 offset:360 ; 4-byte Folded Spill
	s_and_saveexec_b64 s[8:9], s[34:35]
	s_cbranch_execz .LBB36_26
; %bb.25:                               ;   in Loop: Header=BB36_3 Depth=1
	buffer_load_dword v0, off, s[36:39], 0 offset:208 ; 4-byte Folded Reload
	buffer_load_dword v1, off, s[36:39], 0 offset:212 ; 4-byte Folded Reload
	s_waitcnt vmcnt(1)
	v_add_co_u32_e32 v0, vcc, v0, v2
	s_waitcnt vmcnt(0)
	v_addc_co_u32_e32 v1, vcc, v1, v3, vcc
	global_load_dwordx2 v[26:27], v[0:1], off
	s_nop 0
	buffer_load_dword v0, off, s[36:39], 0 offset:216 ; 4-byte Folded Reload
	buffer_load_dword v1, off, s[36:39], 0 offset:220 ; 4-byte Folded Reload
	s_waitcnt vmcnt(1)
	v_add_co_u32_e32 v0, vcc, v0, v2
	s_waitcnt vmcnt(0)
	v_addc_co_u32_e32 v1, vcc, v1, v3, vcc
	global_load_dwordx2 v[0:1], v[0:1], off
	s_waitcnt vmcnt(0)
	buffer_store_dword v0, off, s[36:39], 0 offset:356 ; 4-byte Folded Spill
	s_nop 0
	buffer_store_dword v1, off, s[36:39], 0 offset:360 ; 4-byte Folded Spill
.LBB36_26:                              ;   in Loop: Header=BB36_3 Depth=1
	s_or_b64 exec, exec, s[8:9]
	v_add_co_u32_e32 v0, vcc, 0xffffff0a, v49
	v_addc_co_u32_e32 v1, vcc, -1, v40, vcc
	v_cmp_gt_i64_e32 vcc, s[12:13], v[0:1]
	v_mov_b32_e32 v38, 0
	v_mov_b32_e32 v42, 0
	;; [unrolled: 1-line block ×6, first 2 shown]
	s_and_b64 s[34:35], s[2:3], vcc
	buffer_store_dword v0, off, s[36:39], 0 offset:388 ; 4-byte Folded Spill
	s_nop 0
	buffer_store_dword v1, off, s[36:39], 0 offset:392 ; 4-byte Folded Spill
	s_and_saveexec_b64 s[8:9], s[34:35]
	s_cbranch_execz .LBB36_28
; %bb.27:                               ;   in Loop: Header=BB36_3 Depth=1
	buffer_load_dword v0, off, s[36:39], 0 offset:192 ; 4-byte Folded Reload
	buffer_load_dword v1, off, s[36:39], 0 offset:196 ; 4-byte Folded Reload
	s_waitcnt vmcnt(1)
	v_add_co_u32_e32 v0, vcc, v0, v2
	s_waitcnt vmcnt(0)
	v_addc_co_u32_e32 v1, vcc, v1, v3, vcc
	global_load_dwordx2 v[42:43], v[0:1], off
	s_nop 0
	buffer_load_dword v0, off, s[36:39], 0 offset:200 ; 4-byte Folded Reload
	buffer_load_dword v1, off, s[36:39], 0 offset:204 ; 4-byte Folded Reload
	s_waitcnt vmcnt(1)
	v_add_co_u32_e32 v0, vcc, v0, v2
	s_waitcnt vmcnt(0)
	v_addc_co_u32_e32 v1, vcc, v1, v3, vcc
	global_load_dwordx2 v[0:1], v[0:1], off
	s_waitcnt vmcnt(0)
	buffer_store_dword v0, off, s[36:39], 0 offset:388 ; 4-byte Folded Spill
	s_nop 0
	buffer_store_dword v1, off, s[36:39], 0 offset:392 ; 4-byte Folded Spill
.LBB36_28:                              ;   in Loop: Header=BB36_3 Depth=1
	s_or_b64 exec, exec, s[8:9]
	v_add_co_u32_e32 v0, vcc, 0xffffff0b, v49
	v_addc_co_u32_e32 v1, vcc, -1, v40, vcc
	v_cmp_gt_i64_e32 vcc, s[12:13], v[0:1]
	v_mov_b32_e32 v0, 0
	v_mov_b32_e32 v1, 0
	s_and_b64 s[34:35], s[2:3], vcc
	buffer_store_dword v0, off, s[36:39], 0 offset:396 ; 4-byte Folded Spill
	s_nop 0
	buffer_store_dword v1, off, s[36:39], 0 offset:400 ; 4-byte Folded Spill
	s_and_saveexec_b64 s[8:9], s[34:35]
	s_cbranch_execz .LBB36_30
; %bb.29:                               ;   in Loop: Header=BB36_3 Depth=1
	buffer_load_dword v0, off, s[36:39], 0 offset:176 ; 4-byte Folded Reload
	buffer_load_dword v1, off, s[36:39], 0 offset:180 ; 4-byte Folded Reload
	s_waitcnt vmcnt(1)
	v_add_co_u32_e32 v0, vcc, v0, v2
	s_waitcnt vmcnt(0)
	v_addc_co_u32_e32 v1, vcc, v1, v3, vcc
	global_load_dwordx2 v[38:39], v[0:1], off
	s_nop 0
	buffer_load_dword v0, off, s[36:39], 0 offset:184 ; 4-byte Folded Reload
	buffer_load_dword v1, off, s[36:39], 0 offset:188 ; 4-byte Folded Reload
	s_waitcnt vmcnt(1)
	v_add_co_u32_e32 v0, vcc, v0, v2
	s_waitcnt vmcnt(0)
	v_addc_co_u32_e32 v1, vcc, v1, v3, vcc
	global_load_dwordx2 v[0:1], v[0:1], off
	s_waitcnt vmcnt(0)
	buffer_store_dword v0, off, s[36:39], 0 offset:396 ; 4-byte Folded Spill
	s_nop 0
	buffer_store_dword v1, off, s[36:39], 0 offset:400 ; 4-byte Folded Spill
.LBB36_30:                              ;   in Loop: Header=BB36_3 Depth=1
	s_or_b64 exec, exec, s[8:9]
	v_add_co_u32_e32 v0, vcc, 0xffffff0c, v49
	v_addc_co_u32_e32 v1, vcc, -1, v40, vcc
	v_cmp_gt_i64_e32 vcc, s[12:13], v[0:1]
	v_mov_b32_e32 v44, 0
	v_mov_b32_e32 v50, 0
	;; [unrolled: 1-line block ×6, first 2 shown]
	s_and_b64 s[34:35], s[2:3], vcc
	s_and_saveexec_b64 s[8:9], s[34:35]
	s_cbranch_execz .LBB36_32
; %bb.31:                               ;   in Loop: Header=BB36_3 Depth=1
	buffer_load_dword v0, off, s[36:39], 0 offset:156 ; 4-byte Folded Reload
	buffer_load_dword v1, off, s[36:39], 0 offset:164 ; 4-byte Folded Reload
	s_waitcnt vmcnt(1)
	v_add_co_u32_e32 v0, vcc, v0, v2
	s_waitcnt vmcnt(0)
	v_addc_co_u32_e32 v1, vcc, v1, v3, vcc
	global_load_dwordx2 v[50:51], v[0:1], off
	s_nop 0
	buffer_load_dword v0, off, s[36:39], 0 offset:168 ; 4-byte Folded Reload
	buffer_load_dword v1, off, s[36:39], 0 offset:172 ; 4-byte Folded Reload
	s_waitcnt vmcnt(1)
	v_add_co_u32_e32 v0, vcc, v0, v2
	s_waitcnt vmcnt(0)
	v_addc_co_u32_e32 v1, vcc, v1, v3, vcc
	global_load_dwordx2 v[60:61], v[0:1], off
.LBB36_32:                              ;   in Loop: Header=BB36_3 Depth=1
	s_or_b64 exec, exec, s[8:9]
	v_add_co_u32_e32 v0, vcc, 0xffffff0d, v49
	v_addc_co_u32_e32 v1, vcc, -1, v40, vcc
	v_cmp_gt_i64_e32 vcc, s[12:13], v[0:1]
	v_mov_b32_e32 v20, 0
	v_mov_b32_e32 v21, 0
	s_and_b64 s[34:35], s[2:3], vcc
	s_and_saveexec_b64 s[8:9], s[34:35]
	s_cbranch_execz .LBB36_34
; %bb.33:                               ;   in Loop: Header=BB36_3 Depth=1
	buffer_load_dword v0, off, s[36:39], 0 offset:124 ; 4-byte Folded Reload
	buffer_load_dword v1, off, s[36:39], 0 offset:132 ; 4-byte Folded Reload
	s_waitcnt vmcnt(1)
	v_add_co_u32_e32 v0, vcc, v0, v2
	s_waitcnt vmcnt(0)
	v_addc_co_u32_e32 v1, vcc, v1, v3, vcc
	global_load_dwordx2 v[44:45], v[0:1], off
	s_nop 0
	buffer_load_dword v0, off, s[36:39], 0 offset:140 ; 4-byte Folded Reload
	buffer_load_dword v1, off, s[36:39], 0 offset:148 ; 4-byte Folded Reload
	s_waitcnt vmcnt(1)
	v_add_co_u32_e32 v0, vcc, v0, v2
	s_waitcnt vmcnt(0)
	v_addc_co_u32_e32 v1, vcc, v1, v3, vcc
	global_load_dwordx2 v[20:21], v[0:1], off
.LBB36_34:                              ;   in Loop: Header=BB36_3 Depth=1
	s_or_b64 exec, exec, s[8:9]
	v_add_co_u32_e32 v0, vcc, 0xffffff0e, v49
	v_addc_co_u32_e32 v1, vcc, -1, v40, vcc
	v_cmp_gt_i64_e32 vcc, s[12:13], v[0:1]
	v_mov_b32_e32 v62, 0
	v_mov_b32_e32 v0, 0
	;; [unrolled: 1-line block ×6, first 2 shown]
	s_and_b64 s[34:35], s[2:3], vcc
	s_and_saveexec_b64 s[8:9], s[34:35]
	s_cbranch_execz .LBB36_36
; %bb.35:                               ;   in Loop: Header=BB36_3 Depth=1
	buffer_load_dword v0, off, s[36:39], 0 offset:92 ; 4-byte Folded Reload
	buffer_load_dword v1, off, s[36:39], 0 offset:100 ; 4-byte Folded Reload
	;; [unrolled: 1-line block ×3, first 2 shown]
	s_waitcnt vmcnt(2)
	v_add_co_u32_e32 v0, vcc, v0, v2
	s_waitcnt vmcnt(1)
	v_addc_co_u32_e32 v1, vcc, v1, v3, vcc
	s_waitcnt vmcnt(0)
	v_add_co_u32_e32 v10, vcc, v4, v2
	buffer_load_dword v4, off, s[36:39], 0 offset:116 ; 4-byte Folded Reload
	s_waitcnt vmcnt(0)
	v_addc_co_u32_e32 v11, vcc, v4, v3, vcc
	global_load_dwordx2 v[0:1], v[0:1], off
	s_nop 0
	global_load_dwordx2 v[24:25], v[10:11], off
.LBB36_36:                              ;   in Loop: Header=BB36_3 Depth=1
	s_or_b64 exec, exec, s[8:9]
	v_add_co_u32_e32 v10, vcc, 0xffffff0f, v49
	v_addc_co_u32_e32 v11, vcc, -1, v40, vcc
	v_cmp_gt_i64_e32 vcc, s[12:13], v[10:11]
	v_mov_b32_e32 v30, 0
	v_mov_b32_e32 v31, 0
	s_and_b64 s[34:35], s[2:3], vcc
	s_and_saveexec_b64 s[8:9], s[34:35]
	s_cbranch_execz .LBB36_38
; %bb.37:                               ;   in Loop: Header=BB36_3 Depth=1
	buffer_load_dword v4, off, s[36:39], 0 offset:60 ; 4-byte Folded Reload
	s_waitcnt vmcnt(0)
	v_add_co_u32_e32 v10, vcc, v4, v2
	buffer_load_dword v4, off, s[36:39], 0 offset:68 ; 4-byte Folded Reload
	s_waitcnt vmcnt(0)
	v_addc_co_u32_e32 v11, vcc, v4, v3, vcc
	buffer_load_dword v4, off, s[36:39], 0 offset:76 ; 4-byte Folded Reload
	global_load_dwordx2 v[62:63], v[10:11], off
	s_waitcnt vmcnt(1)
	v_add_co_u32_e32 v10, vcc, v4, v2
	buffer_load_dword v4, off, s[36:39], 0 offset:84 ; 4-byte Folded Reload
	s_waitcnt vmcnt(0)
	v_addc_co_u32_e32 v11, vcc, v4, v3, vcc
	global_load_dwordx2 v[30:31], v[10:11], off
.LBB36_38:                              ;   in Loop: Header=BB36_3 Depth=1
	s_or_b64 exec, exec, s[8:9]
	v_add_co_u32_e32 v10, vcc, 0xffffff10, v49
	v_addc_co_u32_e32 v11, vcc, -1, v40, vcc
	v_cmp_gt_i64_e32 vcc, s[12:13], v[10:11]
	v_mov_b32_e32 v10, 0
	v_mov_b32_e32 v12, 0
	;; [unrolled: 1-line block ×4, first 2 shown]
	s_and_b64 s[34:35], s[2:3], vcc
	s_and_saveexec_b64 s[8:9], s[34:35]
	s_cbranch_execz .LBB36_40
; %bb.39:                               ;   in Loop: Header=BB36_3 Depth=1
	buffer_load_dword v4, off, s[36:39], 0 offset:28 ; 4-byte Folded Reload
	s_waitcnt vmcnt(0)
	v_add_co_u32_e32 v10, vcc, v4, v2
	buffer_load_dword v4, off, s[36:39], 0 offset:36 ; 4-byte Folded Reload
	s_waitcnt vmcnt(0)
	v_addc_co_u32_e32 v11, vcc, v4, v3, vcc
	buffer_load_dword v4, off, s[36:39], 0 offset:44 ; 4-byte Folded Reload
	s_waitcnt vmcnt(0)
	v_add_co_u32_e32 v12, vcc, v4, v2
	buffer_load_dword v4, off, s[36:39], 0 offset:52 ; 4-byte Folded Reload
	s_waitcnt vmcnt(0)
	v_addc_co_u32_e32 v13, vcc, v4, v3, vcc
	global_load_dwordx2 v[10:11], v[10:11], off
	s_nop 0
	global_load_dwordx2 v[12:13], v[12:13], off
.LBB36_40:                              ;   in Loop: Header=BB36_3 Depth=1
	s_or_b64 exec, exec, s[8:9]
	s_waitcnt vmcnt(15)
	ds_bpermute_b32 v4, v48, v6
	ds_bpermute_b32 v5, v48, v7
	v_mov_b32_e32 v55, v37
	v_mov_b32_e32 v54, v36
	s_mov_b64 s[8:9], 0
	s_waitcnt vmcnt(14) lgkmcnt(0)
	v_add_f64 v[4:5], v[46:47], -v[4:5]
	ds_bpermute_b32 v46, v48, v6 offset:4
	ds_bpermute_b32 v47, v48, v7 offset:4
	s_waitcnt lgkmcnt(0)
	v_add_f64 v[46:47], v[52:53], -v[46:47]
	buffer_load_dword v52, off, s[36:39], 0 offset:340 ; 4-byte Folded Reload
	buffer_load_dword v53, off, s[36:39], 0 offset:344 ; 4-byte Folded Reload
	v_mul_f64 v[4:5], v[36:37], v[4:5]
	ds_bpermute_b32 v36, v48, v8
	ds_bpermute_b32 v37, v48, v9
	s_waitcnt vmcnt(0) lgkmcnt(0)
	v_fma_f64 v[4:5], v[4:5], v[36:37], v[52:53]
	v_mul_f64 v[36:37], v[16:17], v[46:47]
	ds_bpermute_b32 v46, v48, v8 offset:4
	ds_bpermute_b32 v47, v48, v9 offset:4
	s_waitcnt lgkmcnt(0)
	v_fma_f64 v[4:5], v[36:37], v[46:47], v[4:5]
	ds_bpermute_b32 v36, v48, v6 offset:8
	ds_bpermute_b32 v37, v48, v7 offset:8
	;; [unrolled: 1-line block ×4, first 2 shown]
	s_waitcnt lgkmcnt(2)
	v_add_f64 v[36:37], v[56:57], -v[36:37]
	v_mul_f64 v[36:37], v[14:15], v[36:37]
	s_waitcnt lgkmcnt(0)
	v_fma_f64 v[4:5], v[36:37], v[46:47], v[4:5]
	ds_bpermute_b32 v36, v48, v6 offset:12
	ds_bpermute_b32 v37, v48, v7 offset:12
	;; [unrolled: 1-line block ×4, first 2 shown]
	s_waitcnt lgkmcnt(2)
	v_add_f64 v[36:37], v[58:59], -v[36:37]
	v_mul_f64 v[36:37], v[28:29], v[36:37]
	s_waitcnt lgkmcnt(0)
	v_fma_f64 v[4:5], v[36:37], v[46:47], v[4:5]
	buffer_load_dword v36, off, s[36:39], 0 ; 4-byte Folded Reload
	buffer_load_dword v37, off, s[36:39], 0 offset:4 ; 4-byte Folded Reload
	ds_bpermute_b32 v46, v48, v8 offset:16
	ds_bpermute_b32 v47, v48, v9 offset:16
	s_waitcnt vmcnt(0)
	v_add_f64 v[36:37], v[36:37], v[54:55]
	v_add_f64 v[16:17], v[36:37], v[16:17]
	ds_bpermute_b32 v36, v48, v6 offset:16
	ds_bpermute_b32 v37, v48, v7 offset:16
	s_waitcnt lgkmcnt(0)
	v_add_f64 v[36:37], v[18:19], -v[36:37]
	buffer_load_dword v18, off, s[36:39], 0 offset:364 ; 4-byte Folded Reload
	buffer_load_dword v19, off, s[36:39], 0 offset:368 ; 4-byte Folded Reload
	v_add_f64 v[14:15], v[16:17], v[14:15]
	ds_bpermute_b32 v16, v48, v6 offset:20
	ds_bpermute_b32 v17, v48, v7 offset:20
	v_mul_f64 v[36:37], v[22:23], v[36:37]
	v_add_f64 v[14:15], v[14:15], v[28:29]
	ds_bpermute_b32 v28, v48, v6 offset:24
	ds_bpermute_b32 v29, v48, v7 offset:24
	v_fma_f64 v[4:5], v[36:37], v[46:47], v[4:5]
	ds_bpermute_b32 v36, v48, v8 offset:20
	v_add_f64 v[14:15], v[14:15], v[22:23]
	ds_bpermute_b32 v22, v48, v6 offset:28
	ds_bpermute_b32 v23, v48, v7 offset:28
	;; [unrolled: 1-line block ×5, first 2 shown]
	v_add_f64 v[14:15], v[14:15], v[32:33]
	s_waitcnt vmcnt(0) lgkmcnt(8)
	v_add_f64 v[16:17], v[18:19], -v[16:17]
	buffer_load_dword v18, off, s[36:39], 0 offset:372 ; 4-byte Folded Reload
	buffer_load_dword v19, off, s[36:39], 0 offset:376 ; 4-byte Folded Reload
	v_mul_f64 v[16:17], v[32:33], v[16:17]
	ds_bpermute_b32 v32, v48, v6 offset:36
	ds_bpermute_b32 v33, v48, v7 offset:36
	s_waitcnt lgkmcnt(4)
	v_fma_f64 v[4:5], v[16:17], v[36:37], v[4:5]
	ds_bpermute_b32 v16, v48, v8 offset:24
	ds_bpermute_b32 v17, v48, v9 offset:24
	s_waitcnt vmcnt(0)
	v_add_f64 v[28:29], v[18:19], -v[28:29]
	buffer_load_dword v18, off, s[36:39], 0 offset:380 ; 4-byte Folded Reload
	buffer_load_dword v19, off, s[36:39], 0 offset:384 ; 4-byte Folded Reload
	s_waitcnt vmcnt(0)
	v_add_f64 v[22:23], v[18:19], -v[22:23]
	buffer_load_dword v18, off, s[36:39], 0 offset:348 ; 4-byte Folded Reload
	buffer_load_dword v19, off, s[36:39], 0 offset:352 ; 4-byte Folded Reload
	;; [unrolled: 1-line block ×4, first 2 shown]
	v_mul_f64 v[22:23], v[34:35], v[22:23]
	s_waitcnt vmcnt(2)
	v_mul_f64 v[28:29], v[18:19], v[28:29]
	v_add_f64 v[14:15], v[14:15], v[18:19]
	s_waitcnt vmcnt(0) lgkmcnt(4)
	v_add_f64 v[36:37], v[36:37], -v[46:47]
	ds_bpermute_b32 v18, v48, v6 offset:40
	ds_bpermute_b32 v19, v48, v7 offset:40
	s_waitcnt lgkmcnt(2)
	v_fma_f64 v[4:5], v[28:29], v[16:17], v[4:5]
	buffer_load_dword v28, off, s[36:39], 0 offset:388 ; 4-byte Folded Reload
	buffer_load_dword v29, off, s[36:39], 0 offset:392 ; 4-byte Folded Reload
	v_add_f64 v[14:15], v[14:15], v[34:35]
	buffer_load_dword v34, off, s[36:39], 0 offset:396 ; 4-byte Folded Reload
	buffer_load_dword v35, off, s[36:39], 0 offset:400 ; 4-byte Folded Reload
	ds_bpermute_b32 v16, v48, v8 offset:28
	ds_bpermute_b32 v17, v48, v9 offset:28
	s_waitcnt lgkmcnt(0)
	v_fma_f64 v[4:5], v[22:23], v[16:17], v[4:5]
	ds_bpermute_b32 v16, v48, v8 offset:32
	ds_bpermute_b32 v17, v48, v9 offset:32
	v_add_f64 v[14:15], v[14:15], v[26:27]
	ds_bpermute_b32 v22, v48, v6 offset:44
	ds_bpermute_b32 v23, v48, v7 offset:44
	s_waitcnt lgkmcnt(0)
	v_add_f64 v[22:23], v[60:61], -v[22:23]
	v_add_f64 v[14:15], v[14:15], v[42:43]
	v_mul_f64 v[22:23], v[50:51], v[22:23]
	v_add_f64 v[14:15], v[14:15], v[38:39]
	v_add_f64 v[14:15], v[14:15], v[50:51]
	;; [unrolled: 1-line block ×3, first 2 shown]
	s_waitcnt vmcnt(2)
	v_add_f64 v[28:29], v[28:29], -v[32:33]
	v_mul_f64 v[32:33], v[26:27], v[36:37]
	s_waitcnt vmcnt(0)
	v_add_f64 v[18:19], v[34:35], -v[18:19]
	ds_bpermute_b32 v26, v48, v6 offset:48
	ds_bpermute_b32 v27, v48, v7 offset:48
	v_mul_f64 v[28:29], v[42:43], v[28:29]
	v_fma_f64 v[4:5], v[32:33], v[16:17], v[4:5]
	ds_bpermute_b32 v16, v48, v8 offset:36
	ds_bpermute_b32 v17, v48, v9 offset:36
	v_mul_f64 v[18:19], v[38:39], v[18:19]
	s_waitcnt lgkmcnt(2)
	v_add_f64 v[20:21], v[20:21], -v[26:27]
	s_waitcnt lgkmcnt(0)
	v_fma_f64 v[4:5], v[28:29], v[16:17], v[4:5]
	ds_bpermute_b32 v16, v48, v8 offset:40
	ds_bpermute_b32 v17, v48, v9 offset:40
	;; [unrolled: 1-line block ×4, first 2 shown]
	v_mul_f64 v[20:21], v[44:45], v[20:21]
	s_waitcnt lgkmcnt(2)
	v_fma_f64 v[4:5], v[18:19], v[16:17], v[4:5]
	ds_bpermute_b32 v16, v48, v8 offset:44
	ds_bpermute_b32 v17, v48, v9 offset:44
	s_waitcnt lgkmcnt(2)
	v_add_f64 v[24:25], v[24:25], -v[28:29]
	ds_bpermute_b32 v18, v48, v6 offset:56
	ds_bpermute_b32 v19, v48, v7 offset:56
	s_waitcnt lgkmcnt(2)
	v_fma_f64 v[4:5], v[22:23], v[16:17], v[4:5]
	ds_bpermute_b32 v16, v48, v8 offset:48
	ds_bpermute_b32 v17, v48, v9 offset:48
	s_waitcnt lgkmcnt(2)
	v_add_f64 v[18:19], v[30:31], -v[18:19]
	v_mul_f64 v[22:23], v[0:1], v[24:25]
	v_add_f64 v[0:1], v[14:15], v[0:1]
	s_waitcnt lgkmcnt(0)
	v_fma_f64 v[4:5], v[20:21], v[16:17], v[4:5]
	ds_bpermute_b32 v16, v48, v8 offset:52
	ds_bpermute_b32 v17, v48, v9 offset:52
	v_mul_f64 v[18:19], v[62:63], v[18:19]
	v_add_f64 v[14:15], v[0:1], v[62:63]
	ds_bpermute_b32 v0, v48, v8 offset:60
	ds_bpermute_b32 v1, v48, v9 offset:60
	s_waitcnt lgkmcnt(2)
	v_fma_f64 v[4:5], v[22:23], v[16:17], v[4:5]
	ds_bpermute_b32 v16, v48, v8 offset:56
	ds_bpermute_b32 v17, v48, v9 offset:56
	s_waitcnt lgkmcnt(0)
	v_fma_f64 v[16:17], v[18:19], v[16:17], v[4:5]
	ds_bpermute_b32 v4, v48, v6 offset:60
	ds_bpermute_b32 v5, v48, v7 offset:60
.LBB36_41:                              ;   in Loop: Header=BB36_3 Depth=1
	s_and_b64 vcc, exec, s[8:9]
	s_cbranch_vccz .LBB36_79
; %bb.42:                               ;   in Loop: Header=BB36_3 Depth=1
	s_load_dword s8, s[24:25], 0x0
	buffer_load_dword v0, off, s[36:39], 0 offset:408 ; 4-byte Folded Reload
	buffer_load_dword v1, off, s[36:39], 0 offset:412 ; 4-byte Folded Reload
	v_mov_b32_e32 v8, 0
	v_mov_b32_e32 v6, 0
	v_mov_b32_e32 v9, 0
	s_waitcnt lgkmcnt(0)
	s_cmp_lt_u32 s6, s8
	s_cselect_b32 s8, 12, 18
	s_add_u32 s8, s24, s8
	s_addc_u32 s9, s25, 0
	v_mov_b32_e32 v7, 0
	s_waitcnt vmcnt(0)
	global_load_ushort v0, v1, s[8:9]
	s_nop 0
	buffer_load_dword v1, off, s[36:39], 0 offset:444 ; 4-byte Folded Reload
	buffer_load_dword v4, off, s[36:39], 0 offset:336 ; 4-byte Folded Reload
	s_waitcnt vmcnt(0)
	v_mad_u32_u24 v0, v4, v0, v1
	v_and_b32_e32 v0, 63, v0
	v_mov_b32_e32 v4, 0
	v_mov_b32_e32 v5, 0
	v_cmp_gt_u32_e32 vcc, 16, v0
	s_and_saveexec_b64 s[8:9], vcc
	s_cbranch_execz .LBB36_46
; %bb.43:                               ;   in Loop: Header=BB36_3 Depth=1
	v_add_co_u32_e32 v0, vcc, v49, v0
	v_addc_co_u32_e32 v1, vcc, 0, v40, vcc
	v_add_co_u32_e32 v0, vcc, 0xffffff01, v0
	v_addc_co_u32_e32 v1, vcc, -1, v1, vcc
	v_cmp_gt_i64_e32 vcc, s[12:13], v[0:1]
	v_mov_b32_e32 v4, 0
	v_mov_b32_e32 v6, 0
	;; [unrolled: 1-line block ×4, first 2 shown]
	s_and_saveexec_b64 s[34:35], vcc
	s_cbranch_execz .LBB36_45
; %bb.44:                               ;   in Loop: Header=BB36_3 Depth=1
	v_lshlrev_b64 v[0:1], 3, v[0:1]
	v_mov_b32_e32 v4, s23
	v_add_co_u32_e32 v6, vcc, s22, v0
	v_addc_co_u32_e32 v7, vcc, v4, v1, vcc
	v_mov_b32_e32 v4, s21
	v_add_co_u32_e32 v0, vcc, s20, v0
	v_addc_co_u32_e32 v1, vcc, v4, v1, vcc
	global_load_dwordx2 v[4:5], v[0:1], off
	s_nop 0
	global_load_dwordx2 v[6:7], v[6:7], off
.LBB36_45:                              ;   in Loop: Header=BB36_3 Depth=1
	s_or_b64 exec, exec, s[34:35]
.LBB36_46:                              ;   in Loop: Header=BB36_3 Depth=1
	s_or_b64 exec, exec, s[8:9]
	v_mov_b32_e32 v42, 0
	v_mov_b32_e32 v43, 0
	s_and_saveexec_b64 s[8:9], s[2:3]
	s_cbranch_execz .LBB36_48
; %bb.47:                               ;   in Loop: Header=BB36_3 Depth=1
	buffer_load_dword v0, off, s[36:39], 0 offset:8 ; 4-byte Folded Reload
	buffer_load_dword v1, off, s[36:39], 0 offset:12 ; 4-byte Folded Reload
	s_waitcnt vmcnt(1)
	v_add_co_u32_e32 v0, vcc, v0, v2
	s_waitcnt vmcnt(0)
	v_addc_co_u32_e32 v1, vcc, v1, v3, vcc
	global_load_dwordx2 v[8:9], v[0:1], off
	s_nop 0
	buffer_load_dword v0, off, s[36:39], 0 offset:16 ; 4-byte Folded Reload
	buffer_load_dword v1, off, s[36:39], 0 offset:20 ; 4-byte Folded Reload
	s_waitcnt vmcnt(1)
	v_add_co_u32_e32 v0, vcc, v0, v2
	s_waitcnt vmcnt(0)
	v_addc_co_u32_e32 v1, vcc, v1, v3, vcc
	global_load_dwordx2 v[42:43], v[0:1], off
.LBB36_48:                              ;   in Loop: Header=BB36_3 Depth=1
	s_or_b64 exec, exec, s[8:9]
	v_mov_b32_e32 v24, 0
	v_mov_b32_e32 v28, 0
	;; [unrolled: 1-line block ×6, first 2 shown]
	s_and_saveexec_b64 s[8:9], s[2:3]
	s_cbranch_execz .LBB36_50
; %bb.49:                               ;   in Loop: Header=BB36_3 Depth=1
	buffer_load_dword v0, off, s[36:39], 0 offset:320 ; 4-byte Folded Reload
	buffer_load_dword v1, off, s[36:39], 0 offset:324 ; 4-byte Folded Reload
	s_waitcnt vmcnt(1)
	v_add_co_u32_e32 v0, vcc, v0, v2
	s_waitcnt vmcnt(0)
	v_addc_co_u32_e32 v1, vcc, v1, v3, vcc
	global_load_dwordx2 v[28:29], v[0:1], off
	s_nop 0
	buffer_load_dword v0, off, s[36:39], 0 offset:328 ; 4-byte Folded Reload
	buffer_load_dword v1, off, s[36:39], 0 offset:332 ; 4-byte Folded Reload
	s_waitcnt vmcnt(1)
	v_add_co_u32_e32 v0, vcc, v0, v2
	s_waitcnt vmcnt(0)
	v_addc_co_u32_e32 v1, vcc, v1, v3, vcc
	global_load_dwordx2 v[54:55], v[0:1], off
.LBB36_50:                              ;   in Loop: Header=BB36_3 Depth=1
	s_or_b64 exec, exec, s[8:9]
	v_mov_b32_e32 v58, 0
	v_mov_b32_e32 v59, 0
	s_and_saveexec_b64 s[8:9], s[2:3]
	s_cbranch_execz .LBB36_52
; %bb.51:                               ;   in Loop: Header=BB36_3 Depth=1
	buffer_load_dword v0, off, s[36:39], 0 offset:304 ; 4-byte Folded Reload
	buffer_load_dword v1, off, s[36:39], 0 offset:308 ; 4-byte Folded Reload
	s_waitcnt vmcnt(1)
	v_add_co_u32_e32 v0, vcc, v0, v2
	s_waitcnt vmcnt(0)
	v_addc_co_u32_e32 v1, vcc, v1, v3, vcc
	global_load_dwordx2 v[24:25], v[0:1], off
	s_nop 0
	buffer_load_dword v0, off, s[36:39], 0 offset:312 ; 4-byte Folded Reload
	buffer_load_dword v1, off, s[36:39], 0 offset:316 ; 4-byte Folded Reload
	s_waitcnt vmcnt(1)
	v_add_co_u32_e32 v0, vcc, v0, v2
	s_waitcnt vmcnt(0)
	v_addc_co_u32_e32 v1, vcc, v1, v3, vcc
	global_load_dwordx2 v[58:59], v[0:1], off
.LBB36_52:                              ;   in Loop: Header=BB36_3 Depth=1
	s_or_b64 exec, exec, s[8:9]
	v_mov_b32_e32 v20, 0
	v_mov_b32_e32 v32, 0
	;; [unrolled: 1-line block ×6, first 2 shown]
	s_and_saveexec_b64 s[8:9], s[2:3]
	s_cbranch_execz .LBB36_54
; %bb.53:                               ;   in Loop: Header=BB36_3 Depth=1
	buffer_load_dword v0, off, s[36:39], 0 offset:288 ; 4-byte Folded Reload
	buffer_load_dword v1, off, s[36:39], 0 offset:292 ; 4-byte Folded Reload
	s_waitcnt vmcnt(1)
	v_add_co_u32_e32 v0, vcc, v0, v2
	s_waitcnt vmcnt(0)
	v_addc_co_u32_e32 v1, vcc, v1, v3, vcc
	global_load_dwordx2 v[32:33], v[0:1], off
	s_nop 0
	buffer_load_dword v0, off, s[36:39], 0 offset:296 ; 4-byte Folded Reload
	buffer_load_dword v1, off, s[36:39], 0 offset:300 ; 4-byte Folded Reload
	s_waitcnt vmcnt(1)
	v_add_co_u32_e32 v0, vcc, v0, v2
	s_waitcnt vmcnt(0)
	v_addc_co_u32_e32 v1, vcc, v1, v3, vcc
	global_load_dwordx2 v[38:39], v[0:1], off
.LBB36_54:                              ;   in Loop: Header=BB36_3 Depth=1
	s_or_b64 exec, exec, s[8:9]
	v_mov_b32_e32 v0, 0
	v_mov_b32_e32 v1, 0
	buffer_store_dword v0, off, s[36:39], 0 offset:388 ; 4-byte Folded Spill
	s_nop 0
	buffer_store_dword v1, off, s[36:39], 0 offset:392 ; 4-byte Folded Spill
	s_and_saveexec_b64 s[8:9], s[2:3]
	s_cbranch_execz .LBB36_56
; %bb.55:                               ;   in Loop: Header=BB36_3 Depth=1
	buffer_load_dword v0, off, s[36:39], 0 offset:272 ; 4-byte Folded Reload
	buffer_load_dword v1, off, s[36:39], 0 offset:276 ; 4-byte Folded Reload
	s_waitcnt vmcnt(1)
	v_add_co_u32_e32 v0, vcc, v0, v2
	s_waitcnt vmcnt(0)
	v_addc_co_u32_e32 v1, vcc, v1, v3, vcc
	global_load_dwordx2 v[20:21], v[0:1], off
	s_nop 0
	buffer_load_dword v0, off, s[36:39], 0 offset:280 ; 4-byte Folded Reload
	buffer_load_dword v1, off, s[36:39], 0 offset:284 ; 4-byte Folded Reload
	s_waitcnt vmcnt(1)
	v_add_co_u32_e32 v0, vcc, v0, v2
	s_waitcnt vmcnt(0)
	v_addc_co_u32_e32 v1, vcc, v1, v3, vcc
	global_load_dwordx2 v[0:1], v[0:1], off
	s_waitcnt vmcnt(0)
	buffer_store_dword v0, off, s[36:39], 0 offset:388 ; 4-byte Folded Spill
	s_nop 0
	buffer_store_dword v1, off, s[36:39], 0 offset:392 ; 4-byte Folded Spill
.LBB36_56:                              ;   in Loop: Header=BB36_3 Depth=1
	s_or_b64 exec, exec, s[8:9]
	v_mov_b32_e32 v14, 0
	v_mov_b32_e32 v18, 0
	;; [unrolled: 1-line block ×6, first 2 shown]
	buffer_store_dword v0, off, s[36:39], 0 offset:372 ; 4-byte Folded Spill
	s_nop 0
	buffer_store_dword v1, off, s[36:39], 0 offset:376 ; 4-byte Folded Spill
	s_and_saveexec_b64 s[8:9], s[2:3]
	s_cbranch_execz .LBB36_58
; %bb.57:                               ;   in Loop: Header=BB36_3 Depth=1
	buffer_load_dword v0, off, s[36:39], 0 offset:256 ; 4-byte Folded Reload
	buffer_load_dword v1, off, s[36:39], 0 offset:260 ; 4-byte Folded Reload
	s_waitcnt vmcnt(1)
	v_add_co_u32_e32 v0, vcc, v0, v2
	s_waitcnt vmcnt(0)
	v_addc_co_u32_e32 v1, vcc, v1, v3, vcc
	global_load_dwordx2 v[18:19], v[0:1], off
	s_nop 0
	buffer_load_dword v0, off, s[36:39], 0 offset:264 ; 4-byte Folded Reload
	buffer_load_dword v1, off, s[36:39], 0 offset:268 ; 4-byte Folded Reload
	s_waitcnt vmcnt(1)
	v_add_co_u32_e32 v0, vcc, v0, v2
	s_waitcnt vmcnt(0)
	v_addc_co_u32_e32 v1, vcc, v1, v3, vcc
	global_load_dwordx2 v[0:1], v[0:1], off
	s_waitcnt vmcnt(0)
	buffer_store_dword v0, off, s[36:39], 0 offset:372 ; 4-byte Folded Spill
	s_nop 0
	buffer_store_dword v1, off, s[36:39], 0 offset:376 ; 4-byte Folded Spill
.LBB36_58:                              ;   in Loop: Header=BB36_3 Depth=1
	s_or_b64 exec, exec, s[8:9]
	v_mov_b32_e32 v0, 0
	v_mov_b32_e32 v1, 0
	buffer_store_dword v0, off, s[36:39], 0 offset:356 ; 4-byte Folded Spill
	s_nop 0
	buffer_store_dword v1, off, s[36:39], 0 offset:360 ; 4-byte Folded Spill
	s_and_saveexec_b64 s[8:9], s[2:3]
	s_cbranch_execz .LBB36_60
; %bb.59:                               ;   in Loop: Header=BB36_3 Depth=1
	buffer_load_dword v0, off, s[36:39], 0 offset:240 ; 4-byte Folded Reload
	buffer_load_dword v1, off, s[36:39], 0 offset:244 ; 4-byte Folded Reload
	s_waitcnt vmcnt(1)
	v_add_co_u32_e32 v0, vcc, v0, v2
	s_waitcnt vmcnt(0)
	v_addc_co_u32_e32 v1, vcc, v1, v3, vcc
	global_load_dwordx2 v[14:15], v[0:1], off
	s_nop 0
	buffer_load_dword v0, off, s[36:39], 0 offset:248 ; 4-byte Folded Reload
	buffer_load_dword v1, off, s[36:39], 0 offset:252 ; 4-byte Folded Reload
	s_waitcnt vmcnt(1)
	v_add_co_u32_e32 v0, vcc, v0, v2
	s_waitcnt vmcnt(0)
	v_addc_co_u32_e32 v1, vcc, v1, v3, vcc
	global_load_dwordx2 v[0:1], v[0:1], off
	s_waitcnt vmcnt(0)
	buffer_store_dword v0, off, s[36:39], 0 offset:356 ; 4-byte Folded Spill
	s_nop 0
	buffer_store_dword v1, off, s[36:39], 0 offset:360 ; 4-byte Folded Spill
.LBB36_60:                              ;   in Loop: Header=BB36_3 Depth=1
	s_or_b64 exec, exec, s[8:9]
	v_mov_b32_e32 v16, 0
	v_mov_b32_e32 v26, 0
	;; [unrolled: 1-line block ×6, first 2 shown]
	s_and_saveexec_b64 s[8:9], s[2:3]
	s_cbranch_execz .LBB36_62
; %bb.61:                               ;   in Loop: Header=BB36_3 Depth=1
	buffer_load_dword v0, off, s[36:39], 0 offset:224 ; 4-byte Folded Reload
	buffer_load_dword v1, off, s[36:39], 0 offset:228 ; 4-byte Folded Reload
	s_waitcnt vmcnt(1)
	v_add_co_u32_e32 v0, vcc, v0, v2
	s_waitcnt vmcnt(0)
	v_addc_co_u32_e32 v1, vcc, v1, v3, vcc
	global_load_dwordx2 v[26:27], v[0:1], off
	s_nop 0
	buffer_load_dword v0, off, s[36:39], 0 offset:232 ; 4-byte Folded Reload
	buffer_load_dword v1, off, s[36:39], 0 offset:236 ; 4-byte Folded Reload
	s_waitcnt vmcnt(1)
	v_add_co_u32_e32 v0, vcc, v0, v2
	s_waitcnt vmcnt(0)
	v_addc_co_u32_e32 v1, vcc, v1, v3, vcc
	global_load_dwordx2 v[56:57], v[0:1], off
.LBB36_62:                              ;   in Loop: Header=BB36_3 Depth=1
	s_or_b64 exec, exec, s[8:9]
	v_mov_b32_e32 v60, 0
	v_mov_b32_e32 v61, 0
	s_and_saveexec_b64 s[8:9], s[2:3]
	s_cbranch_execz .LBB36_64
; %bb.63:                               ;   in Loop: Header=BB36_3 Depth=1
	buffer_load_dword v0, off, s[36:39], 0 offset:208 ; 4-byte Folded Reload
	buffer_load_dword v1, off, s[36:39], 0 offset:212 ; 4-byte Folded Reload
	s_waitcnt vmcnt(1)
	v_add_co_u32_e32 v0, vcc, v0, v2
	s_waitcnt vmcnt(0)
	v_addc_co_u32_e32 v1, vcc, v1, v3, vcc
	global_load_dwordx2 v[16:17], v[0:1], off
	s_nop 0
	buffer_load_dword v0, off, s[36:39], 0 offset:216 ; 4-byte Folded Reload
	buffer_load_dword v1, off, s[36:39], 0 offset:220 ; 4-byte Folded Reload
	s_waitcnt vmcnt(1)
	v_add_co_u32_e32 v0, vcc, v0, v2
	s_waitcnt vmcnt(0)
	v_addc_co_u32_e32 v1, vcc, v1, v3, vcc
	global_load_dwordx2 v[60:61], v[0:1], off
.LBB36_64:                              ;   in Loop: Header=BB36_3 Depth=1
	s_or_b64 exec, exec, s[8:9]
	v_mov_b32_e32 v22, 0
	v_mov_b32_e32 v30, 0
	;; [unrolled: 1-line block ×6, first 2 shown]
	s_and_saveexec_b64 s[8:9], s[2:3]
	s_cbranch_execz .LBB36_66
; %bb.65:                               ;   in Loop: Header=BB36_3 Depth=1
	buffer_load_dword v0, off, s[36:39], 0 offset:192 ; 4-byte Folded Reload
	buffer_load_dword v1, off, s[36:39], 0 offset:196 ; 4-byte Folded Reload
	s_waitcnt vmcnt(1)
	v_add_co_u32_e32 v0, vcc, v0, v2
	s_waitcnt vmcnt(0)
	v_addc_co_u32_e32 v1, vcc, v1, v3, vcc
	global_load_dwordx2 v[30:31], v[0:1], off
	s_nop 0
	buffer_load_dword v0, off, s[36:39], 0 offset:200 ; 4-byte Folded Reload
	buffer_load_dword v1, off, s[36:39], 0 offset:204 ; 4-byte Folded Reload
	s_waitcnt vmcnt(1)
	v_add_co_u32_e32 v0, vcc, v0, v2
	s_waitcnt vmcnt(0)
	v_addc_co_u32_e32 v1, vcc, v1, v3, vcc
	global_load_dwordx2 v[62:63], v[0:1], off
.LBB36_66:                              ;   in Loop: Header=BB36_3 Depth=1
	s_or_b64 exec, exec, s[8:9]
	v_mov_b32_e32 v0, 0
	v_mov_b32_e32 v1, 0
	buffer_store_dword v0, off, s[36:39], 0 offset:348 ; 4-byte Folded Spill
	s_nop 0
	buffer_store_dword v1, off, s[36:39], 0 offset:352 ; 4-byte Folded Spill
	s_and_saveexec_b64 s[8:9], s[2:3]
	s_cbranch_execz .LBB36_68
; %bb.67:                               ;   in Loop: Header=BB36_3 Depth=1
	buffer_load_dword v0, off, s[36:39], 0 offset:176 ; 4-byte Folded Reload
	buffer_load_dword v1, off, s[36:39], 0 offset:180 ; 4-byte Folded Reload
	s_waitcnt vmcnt(1)
	v_add_co_u32_e32 v0, vcc, v0, v2
	s_waitcnt vmcnt(0)
	v_addc_co_u32_e32 v1, vcc, v1, v3, vcc
	global_load_dwordx2 v[22:23], v[0:1], off
	s_nop 0
	buffer_load_dword v0, off, s[36:39], 0 offset:184 ; 4-byte Folded Reload
	buffer_load_dword v1, off, s[36:39], 0 offset:188 ; 4-byte Folded Reload
	s_waitcnt vmcnt(1)
	v_add_co_u32_e32 v0, vcc, v0, v2
	s_waitcnt vmcnt(0)
	v_addc_co_u32_e32 v1, vcc, v1, v3, vcc
	global_load_dwordx2 v[0:1], v[0:1], off
	s_waitcnt vmcnt(0)
	buffer_store_dword v0, off, s[36:39], 0 offset:348 ; 4-byte Folded Spill
	s_nop 0
	buffer_store_dword v1, off, s[36:39], 0 offset:352 ; 4-byte Folded Spill
.LBB36_68:                              ;   in Loop: Header=BB36_3 Depth=1
	s_or_b64 exec, exec, s[8:9]
	v_mov_b32_e32 v34, 0
	v_mov_b32_e32 v36, 0
	v_mov_b32_e32 v0, 0
	v_mov_b32_e32 v35, 0
	v_mov_b32_e32 v37, 0
	v_mov_b32_e32 v1, 0
	buffer_store_dword v0, off, s[36:39], 0 offset:364 ; 4-byte Folded Spill
	s_nop 0
	buffer_store_dword v1, off, s[36:39], 0 offset:368 ; 4-byte Folded Spill
	s_and_saveexec_b64 s[8:9], s[2:3]
	s_cbranch_execz .LBB36_70
; %bb.69:                               ;   in Loop: Header=BB36_3 Depth=1
	buffer_load_dword v0, off, s[36:39], 0 offset:156 ; 4-byte Folded Reload
	buffer_load_dword v1, off, s[36:39], 0 offset:164 ; 4-byte Folded Reload
	s_waitcnt vmcnt(1)
	v_add_co_u32_e32 v0, vcc, v0, v2
	s_waitcnt vmcnt(0)
	v_addc_co_u32_e32 v1, vcc, v1, v3, vcc
	global_load_dwordx2 v[36:37], v[0:1], off
	s_nop 0
	buffer_load_dword v0, off, s[36:39], 0 offset:168 ; 4-byte Folded Reload
	buffer_load_dword v1, off, s[36:39], 0 offset:172 ; 4-byte Folded Reload
	s_waitcnt vmcnt(1)
	v_add_co_u32_e32 v0, vcc, v0, v2
	s_waitcnt vmcnt(0)
	v_addc_co_u32_e32 v1, vcc, v1, v3, vcc
	global_load_dwordx2 v[0:1], v[0:1], off
	s_waitcnt vmcnt(0)
	buffer_store_dword v0, off, s[36:39], 0 offset:364 ; 4-byte Folded Spill
	s_nop 0
	buffer_store_dword v1, off, s[36:39], 0 offset:368 ; 4-byte Folded Spill
.LBB36_70:                              ;   in Loop: Header=BB36_3 Depth=1
	s_or_b64 exec, exec, s[8:9]
	v_mov_b32_e32 v0, 0
	v_mov_b32_e32 v1, 0
	buffer_store_dword v0, off, s[36:39], 0 offset:380 ; 4-byte Folded Spill
	s_nop 0
	buffer_store_dword v1, off, s[36:39], 0 offset:384 ; 4-byte Folded Spill
	s_and_saveexec_b64 s[8:9], s[2:3]
	s_cbranch_execz .LBB36_72
; %bb.71:                               ;   in Loop: Header=BB36_3 Depth=1
	buffer_load_dword v0, off, s[36:39], 0 offset:124 ; 4-byte Folded Reload
	buffer_load_dword v1, off, s[36:39], 0 offset:132 ; 4-byte Folded Reload
	s_waitcnt vmcnt(1)
	v_add_co_u32_e32 v0, vcc, v0, v2
	s_waitcnt vmcnt(0)
	v_addc_co_u32_e32 v1, vcc, v1, v3, vcc
	global_load_dwordx2 v[34:35], v[0:1], off
	s_nop 0
	buffer_load_dword v0, off, s[36:39], 0 offset:140 ; 4-byte Folded Reload
	buffer_load_dword v1, off, s[36:39], 0 offset:148 ; 4-byte Folded Reload
	s_waitcnt vmcnt(1)
	v_add_co_u32_e32 v0, vcc, v0, v2
	s_waitcnt vmcnt(0)
	v_addc_co_u32_e32 v1, vcc, v1, v3, vcc
	global_load_dwordx2 v[0:1], v[0:1], off
	s_waitcnt vmcnt(0)
	buffer_store_dword v0, off, s[36:39], 0 offset:380 ; 4-byte Folded Spill
	s_nop 0
	buffer_store_dword v1, off, s[36:39], 0 offset:384 ; 4-byte Folded Spill
.LBB36_72:                              ;   in Loop: Header=BB36_3 Depth=1
	s_or_b64 exec, exec, s[8:9]
	v_mov_b32_e32 v46, 0
	v_mov_b32_e32 v52, 0
	;; [unrolled: 1-line block ×6, first 2 shown]
	s_and_saveexec_b64 s[8:9], s[2:3]
	s_cbranch_execz .LBB36_74
; %bb.73:                               ;   in Loop: Header=BB36_3 Depth=1
	buffer_load_dword v0, off, s[36:39], 0 offset:92 ; 4-byte Folded Reload
	buffer_load_dword v1, off, s[36:39], 0 offset:100 ; 4-byte Folded Reload
	s_waitcnt vmcnt(1)
	v_add_co_u32_e32 v0, vcc, v0, v2
	s_waitcnt vmcnt(0)
	v_addc_co_u32_e32 v1, vcc, v1, v3, vcc
	global_load_dwordx2 v[52:53], v[0:1], off
	s_nop 0
	buffer_load_dword v0, off, s[36:39], 0 offset:108 ; 4-byte Folded Reload
	buffer_load_dword v1, off, s[36:39], 0 offset:116 ; 4-byte Folded Reload
	s_waitcnt vmcnt(1)
	v_add_co_u32_e32 v0, vcc, v0, v2
	s_waitcnt vmcnt(0)
	v_addc_co_u32_e32 v1, vcc, v1, v3, vcc
	global_load_dwordx2 v[0:1], v[0:1], off
.LBB36_74:                              ;   in Loop: Header=BB36_3 Depth=1
	s_or_b64 exec, exec, s[8:9]
	v_mov_b32_e32 v40, 0
	v_mov_b32_e32 v41, 0
	s_and_saveexec_b64 s[8:9], s[2:3]
	s_cbranch_execz .LBB36_76
; %bb.75:                               ;   in Loop: Header=BB36_3 Depth=1
	buffer_load_dword v10, off, s[36:39], 0 offset:60 ; 4-byte Folded Reload
	buffer_load_dword v11, off, s[36:39], 0 offset:68 ; 4-byte Folded Reload
	s_waitcnt vmcnt(1)
	v_add_co_u32_e32 v10, vcc, v10, v2
	s_waitcnt vmcnt(0)
	v_addc_co_u32_e32 v11, vcc, v11, v3, vcc
	global_load_dwordx2 v[46:47], v[10:11], off
	s_nop 0
	buffer_load_dword v10, off, s[36:39], 0 offset:76 ; 4-byte Folded Reload
	buffer_load_dword v11, off, s[36:39], 0 offset:84 ; 4-byte Folded Reload
	s_waitcnt vmcnt(1)
	v_add_co_u32_e32 v10, vcc, v10, v2
	s_waitcnt vmcnt(0)
	v_addc_co_u32_e32 v11, vcc, v11, v3, vcc
	global_load_dwordx2 v[40:41], v[10:11], off
.LBB36_76:                              ;   in Loop: Header=BB36_3 Depth=1
	s_or_b64 exec, exec, s[8:9]
	v_mov_b32_e32 v10, 0
	v_mov_b32_e32 v12, 0
	;; [unrolled: 1-line block ×4, first 2 shown]
	s_and_saveexec_b64 s[8:9], s[2:3]
	s_cbranch_execz .LBB36_78
; %bb.77:                               ;   in Loop: Header=BB36_3 Depth=1
	buffer_load_dword v10, off, s[36:39], 0 offset:28 ; 4-byte Folded Reload
	buffer_load_dword v11, off, s[36:39], 0 offset:36 ; 4-byte Folded Reload
	;; [unrolled: 1-line block ×4, first 2 shown]
	s_waitcnt vmcnt(3)
	v_add_co_u32_e32 v10, vcc, v10, v2
	s_waitcnt vmcnt(2)
	v_addc_co_u32_e32 v11, vcc, v11, v3, vcc
	s_waitcnt vmcnt(1)
	v_add_co_u32_e32 v12, vcc, v12, v2
	s_waitcnt vmcnt(0)
	v_addc_co_u32_e32 v13, vcc, v13, v3, vcc
	global_load_dwordx2 v[10:11], v[10:11], off
	s_nop 0
	global_load_dwordx2 v[12:13], v[12:13], off
.LBB36_78:                              ;   in Loop: Header=BB36_3 Depth=1
	s_or_b64 exec, exec, s[8:9]
	buffer_load_dword v49, off, s[36:39], 0 offset:340 ; 4-byte Folded Reload
	buffer_load_dword v50, off, s[36:39], 0 offset:344 ; 4-byte Folded Reload
	s_waitcnt vmcnt(15)
	ds_bpermute_b32 v44, v48, v4
	ds_bpermute_b32 v45, v48, v5
	s_waitcnt vmcnt(14) lgkmcnt(0)
	v_add_f64 v[44:45], v[42:43], -v[44:45]
	ds_bpermute_b32 v42, v48, v6
	ds_bpermute_b32 v43, v48, v7
	v_mul_f64 v[44:45], v[8:9], v[44:45]
	s_waitcnt vmcnt(0) lgkmcnt(0)
	v_fma_f64 v[42:43], v[44:45], v[42:43], v[49:50]
	ds_bpermute_b32 v44, v48, v4 offset:4
	ds_bpermute_b32 v45, v48, v5 offset:4
	;; [unrolled: 1-line block ×4, first 2 shown]
	s_waitcnt lgkmcnt(2)
	v_add_f64 v[44:45], v[54:55], -v[44:45]
	v_mul_f64 v[44:45], v[28:29], v[44:45]
	s_waitcnt lgkmcnt(0)
	v_fma_f64 v[42:43], v[44:45], v[49:50], v[42:43]
	ds_bpermute_b32 v44, v48, v4 offset:8
	ds_bpermute_b32 v45, v48, v5 offset:8
	;; [unrolled: 1-line block ×4, first 2 shown]
	s_waitcnt lgkmcnt(2)
	v_add_f64 v[44:45], v[58:59], -v[44:45]
	v_mul_f64 v[44:45], v[24:25], v[44:45]
	s_waitcnt lgkmcnt(0)
	v_fma_f64 v[42:43], v[44:45], v[49:50], v[42:43]
	buffer_load_dword v44, off, s[36:39], 0 ; 4-byte Folded Reload
	buffer_load_dword v45, off, s[36:39], 0 offset:4 ; 4-byte Folded Reload
	s_waitcnt vmcnt(0)
	v_add_f64 v[8:9], v[44:45], v[8:9]
	ds_bpermute_b32 v44, v48, v4 offset:12
	ds_bpermute_b32 v45, v48, v5 offset:12
	s_waitcnt lgkmcnt(0)
	v_add_f64 v[44:45], v[38:39], -v[44:45]
	buffer_load_dword v38, off, s[36:39], 0 offset:388 ; 4-byte Folded Reload
	buffer_load_dword v39, off, s[36:39], 0 offset:392 ; 4-byte Folded Reload
	v_add_f64 v[8:9], v[8:9], v[28:29]
	ds_bpermute_b32 v28, v48, v4 offset:16
	ds_bpermute_b32 v29, v48, v5 offset:16
	v_add_f64 v[8:9], v[8:9], v[24:25]
	ds_bpermute_b32 v24, v48, v4 offset:20
	ds_bpermute_b32 v25, v48, v5 offset:20
	v_add_f64 v[8:9], v[8:9], v[32:33]
	v_add_f64 v[8:9], v[8:9], v[20:21]
	;; [unrolled: 1-line block ×8, first 2 shown]
	s_waitcnt vmcnt(0) lgkmcnt(2)
	v_add_f64 v[28:29], v[38:39], -v[28:29]
	v_mul_f64 v[38:39], v[32:33], v[44:45]
	buffer_load_dword v44, off, s[36:39], 0 offset:372 ; 4-byte Folded Reload
	buffer_load_dword v45, off, s[36:39], 0 offset:376 ; 4-byte Folded Reload
	;; [unrolled: 1-line block ×4, first 2 shown]
	ds_bpermute_b32 v32, v48, v4 offset:24
	ds_bpermute_b32 v33, v48, v5 offset:24
	v_add_f64 v[8:9], v[8:9], v[36:37]
	v_mul_f64 v[28:29], v[20:21], v[28:29]
	v_add_f64 v[8:9], v[8:9], v[34:35]
	v_add_f64 v[8:9], v[8:9], v[52:53]
	s_waitcnt vmcnt(2) lgkmcnt(2)
	v_add_f64 v[24:25], v[44:45], -v[24:25]
	ds_bpermute_b32 v44, v48, v6 offset:12
	ds_bpermute_b32 v45, v48, v7 offset:12
	s_waitcnt vmcnt(0) lgkmcnt(2)
	v_add_f64 v[32:33], v[49:50], -v[32:33]
	s_waitcnt lgkmcnt(0)
	v_fma_f64 v[38:39], v[38:39], v[44:45], v[42:43]
	ds_bpermute_b32 v42, v48, v6 offset:16
	ds_bpermute_b32 v43, v48, v7 offset:16
	v_mul_f64 v[24:25], v[18:19], v[24:25]
	ds_bpermute_b32 v44, v48, v4 offset:28
	ds_bpermute_b32 v45, v48, v5 offset:28
	v_mul_f64 v[32:33], v[14:15], v[32:33]
	s_waitcnt lgkmcnt(2)
	v_fma_f64 v[20:21], v[28:29], v[42:43], v[38:39]
	ds_bpermute_b32 v28, v48, v6 offset:20
	ds_bpermute_b32 v29, v48, v7 offset:20
	s_waitcnt lgkmcnt(2)
	v_add_f64 v[42:43], v[56:57], -v[44:45]
	ds_bpermute_b32 v38, v48, v4 offset:32
	ds_bpermute_b32 v39, v48, v5 offset:32
	s_waitcnt lgkmcnt(2)
	v_fma_f64 v[18:19], v[24:25], v[28:29], v[20:21]
	ds_bpermute_b32 v20, v48, v6 offset:24
	ds_bpermute_b32 v21, v48, v7 offset:24
	s_waitcnt lgkmcnt(2)
	v_add_f64 v[28:29], v[60:61], -v[38:39]
	v_mul_f64 v[38:39], v[26:27], v[42:43]
	ds_bpermute_b32 v26, v48, v4 offset:44
	ds_bpermute_b32 v27, v48, v5 offset:44
	;; [unrolled: 1-line block ×3, first 2 shown]
	s_waitcnt lgkmcnt(3)
	v_fma_f64 v[14:15], v[32:33], v[20:21], v[18:19]
	ds_bpermute_b32 v18, v48, v6 offset:28
	ds_bpermute_b32 v19, v48, v7 offset:28
	v_mul_f64 v[28:29], v[16:17], v[28:29]
	buffer_load_dword v32, off, s[36:39], 0 offset:348 ; 4-byte Folded Reload
	buffer_load_dword v33, off, s[36:39], 0 offset:352 ; 4-byte Folded Reload
	ds_bpermute_b32 v25, v48, v5 offset:36
	ds_bpermute_b32 v20, v48, v4 offset:40
	ds_bpermute_b32 v21, v48, v5 offset:40
	s_waitcnt lgkmcnt(3)
	v_fma_f64 v[14:15], v[38:39], v[18:19], v[14:15]
	ds_bpermute_b32 v18, v48, v6 offset:32
	ds_bpermute_b32 v19, v48, v7 offset:32
	s_waitcnt lgkmcnt(4)
	v_add_f64 v[24:25], v[62:63], -v[24:25]
	ds_bpermute_b32 v16, v48, v6 offset:36
	ds_bpermute_b32 v17, v48, v7 offset:36
	s_waitcnt lgkmcnt(2)
	v_fma_f64 v[14:15], v[28:29], v[18:19], v[14:15]
	buffer_load_dword v28, off, s[36:39], 0 offset:364 ; 4-byte Folded Reload
	buffer_load_dword v29, off, s[36:39], 0 offset:368 ; 4-byte Folded Reload
	ds_bpermute_b32 v18, v48, v4 offset:48
	v_mul_f64 v[24:25], v[30:31], v[24:25]
	ds_bpermute_b32 v19, v48, v5 offset:48
	s_waitcnt lgkmcnt(2)
	v_fma_f64 v[14:15], v[24:25], v[16:17], v[14:15]
	ds_bpermute_b32 v16, v48, v6 offset:40
	ds_bpermute_b32 v17, v48, v7 offset:40
	ds_bpermute_b32 v24, v48, v4 offset:52
	ds_bpermute_b32 v25, v48, v5 offset:52
	s_waitcnt lgkmcnt(0)
	v_add_f64 v[0:1], v[0:1], -v[24:25]
	v_mul_f64 v[0:1], v[52:53], v[0:1]
	s_waitcnt vmcnt(2)
	v_add_f64 v[20:21], v[32:33], -v[20:21]
	v_mul_f64 v[20:21], v[22:23], v[20:21]
	s_waitcnt vmcnt(0)
	v_add_f64 v[26:27], v[28:29], -v[26:27]
	buffer_load_dword v28, off, s[36:39], 0 offset:380 ; 4-byte Folded Reload
	buffer_load_dword v29, off, s[36:39], 0 offset:384 ; 4-byte Folded Reload
	v_fma_f64 v[14:15], v[20:21], v[16:17], v[14:15]
	ds_bpermute_b32 v16, v48, v6 offset:44
	ds_bpermute_b32 v17, v48, v7 offset:44
	;; [unrolled: 1-line block ×4, first 2 shown]
	v_mul_f64 v[26:27], v[36:37], v[26:27]
	ds_bpermute_b32 v4, v48, v4 offset:60
	ds_bpermute_b32 v5, v48, v5 offset:60
	s_waitcnt lgkmcnt(2)
	v_add_f64 v[20:21], v[40:41], -v[20:21]
	v_fma_f64 v[14:15], v[26:27], v[16:17], v[14:15]
	ds_bpermute_b32 v16, v48, v6 offset:48
	ds_bpermute_b32 v17, v48, v7 offset:48
	s_waitcnt vmcnt(0)
	v_add_f64 v[18:19], v[28:29], -v[18:19]
	v_mul_f64 v[18:19], v[34:35], v[18:19]
	s_waitcnt lgkmcnt(0)
	v_fma_f64 v[14:15], v[18:19], v[16:17], v[14:15]
	ds_bpermute_b32 v16, v48, v6 offset:52
	ds_bpermute_b32 v17, v48, v7 offset:52
	v_mul_f64 v[18:19], v[46:47], v[20:21]
	s_waitcnt lgkmcnt(0)
	v_fma_f64 v[0:1], v[0:1], v[16:17], v[14:15]
	ds_bpermute_b32 v16, v48, v6 offset:56
	ds_bpermute_b32 v17, v48, v7 offset:56
	v_add_f64 v[14:15], v[8:9], v[46:47]
	s_waitcnt lgkmcnt(0)
	v_fma_f64 v[16:17], v[18:19], v[16:17], v[0:1]
	ds_bpermute_b32 v0, v48, v6 offset:60
	ds_bpermute_b32 v1, v48, v7 offset:60
.LBB36_79:                              ;   in Loop: Header=BB36_3 Depth=1
	s_waitcnt lgkmcnt(0)
	v_add_f64 v[4:5], v[12:13], -v[4:5]
	v_add_f64 v[22:23], v[14:15], v[10:11]
	s_add_u32 s30, s30, s7
	s_addc_u32 s31, s31, 0
	s_add_u32 s28, s28, s7
	s_addc_u32 s29, s29, 0
	v_mul_f64 v[4:5], v[10:11], v[4:5]
	v_fma_f64 v[35:36], v[4:5], v[0:1], v[16:17]
	buffer_load_dword v0, off, s[36:39], 0 offset:8 ; 4-byte Folded Reload
	buffer_load_dword v1, off, s[36:39], 0 offset:12 ; 4-byte Folded Reload
	s_waitcnt vmcnt(1)
	v_add_co_u32_e32 v0, vcc, s26, v0
	buffer_store_dword v0, off, s[36:39], 0 offset:8 ; 4-byte Folded Spill
	v_mov_b32_e32 v0, s27
	s_waitcnt vmcnt(1)
	v_addc_co_u32_e32 v1, vcc, v1, v0, vcc
	buffer_store_dword v1, off, s[36:39], 0 offset:12 ; 4-byte Folded Spill
	buffer_load_dword v1, off, s[36:39], 0 offset:16 ; 4-byte Folded Reload
	s_waitcnt vmcnt(0)
	v_add_co_u32_e32 v1, vcc, s26, v1
	buffer_store_dword v1, off, s[36:39], 0 offset:16 ; 4-byte Folded Spill
	buffer_load_dword v1, off, s[36:39], 0 offset:20 ; 4-byte Folded Reload
	s_waitcnt vmcnt(0)
	v_addc_co_u32_e32 v1, vcc, v1, v0, vcc
	buffer_store_dword v1, off, s[36:39], 0 offset:20 ; 4-byte Folded Spill
	buffer_load_dword v1, off, s[36:39], 0 offset:28 ; 4-byte Folded Reload
	s_waitcnt vmcnt(0)
	v_add_co_u32_e32 v1, vcc, s26, v1
	buffer_store_dword v1, off, s[36:39], 0 offset:28 ; 4-byte Folded Spill
	buffer_load_dword v1, off, s[36:39], 0 offset:36 ; 4-byte Folded Reload
	;; [unrolled: 8-line block ×31, first 2 shown]
	s_waitcnt vmcnt(0)
	v_addc_co_u32_e32 v1, vcc, v1, v0, vcc
	buffer_store_dword v1, off, s[36:39], 0 offset:332 ; 4-byte Folded Spill
	v_mov_b32_e32 v0, s12
	v_mov_b32_e32 v1, s13
	v_cmp_lt_i64_e32 vcc, s[30:31], v[0:1]
	s_cbranch_vccz .LBB36_82
; %bb.80:                               ;   in Loop: Header=BB36_3 Depth=1
	buffer_store_dword v35, off, s[36:39], 0 offset:340 ; 4-byte Folded Spill
	s_nop 0
	buffer_store_dword v36, off, s[36:39], 0 offset:344 ; 4-byte Folded Spill
	buffer_store_dword v22, off, s[36:39], 0 ; 4-byte Folded Spill
	s_nop 0
	buffer_store_dword v23, off, s[36:39], 0 offset:4 ; 4-byte Folded Spill
	s_branch .LBB36_3
.LBB36_81:
                                        ; implicit-def: $vgpr22_vgpr23
                                        ; implicit-def: $vgpr35_vgpr36
	s_branch .LBB36_84
.LBB36_82:
	buffer_load_dword v15, off, s[36:39], 0 offset:444 ; 4-byte Folded Reload
.LBB36_83:
	s_cbranch_execnz .LBB36_132
.LBB36_84:
	v_mov_b32_e32 v22, 0
	v_mov_b32_e32 v35, 0
	v_mov_b32_e32 v23, 0
	s_and_b64 vcc, exec, s[0:1]
	v_mov_b32_e32 v36, 0
	s_cbranch_vccnz .LBB36_132
; %bb.85:
	buffer_load_dword v5, off, s[36:39], 0 offset:336 ; 4-byte Folded Reload
	s_load_dword s7, s[4:5], 0x44
	s_add_u32 s2, s4, 64
	s_addc_u32 s3, s5, 0
	v_mov_b32_e32 v4, s17
	v_mov_b32_e32 v12, s15
	s_waitcnt lgkmcnt(0)
	s_lshl_b32 s7, s7, 8
	v_mov_b32_e32 v35, 0
	v_mov_b32_e32 v36, 0
	s_waitcnt vmcnt(0)
	v_lshlrev_b32_e32 v0, 4, v5
	v_add_co_u32_e32 v8, vcc, s10, v0
	v_addc_co_u32_e64 v9, s[0:1], 0, 0, vcc
	buffer_store_dword v0, off, s[36:39], 0 offset:600 ; 4-byte Folded Spill
	v_mul_lo_u32 v0, s15, v8
	v_mul_lo_u32 v1, s14, v9
	v_mad_u64_u32 v[2:3], s[0:1], s14, v8, 0
	s_mul_i32 s0, s15, s7
	s_mul_hi_u32 s1, s14, s7
	v_add3_u32 v3, v3, v1, v0
	v_lshlrev_b64 v[0:1], 3, v[2:3]
	s_add_i32 s1, s1, s0
	v_add_co_u32_e32 v6, vcc, s16, v0
	s_mul_i32 s0, s14, s7
	v_addc_co_u32_e32 v4, vcc, v4, v1, vcc
	s_lshl_b64 s[8:9], s[0:1], 3
	buffer_store_dword v4, off, s[36:39], 0 offset:8 ; 4-byte Folded Spill
	v_mov_b32_e32 v4, s19
	v_add_co_u32_e32 v0, vcc, s18, v0
	s_add_u32 s24, s10, 0xff
	buffer_store_dword v0, off, s[36:39], 0 offset:16 ; 4-byte Folded Spill
	v_addc_co_u32_e32 v63, vcc, v4, v1, vcc
	s_addc_u32 s25, 0, 0
	v_lshlrev_b32_e32 v0, 7, v5
	s_lshl_b64 s[0:1], s[10:11], 3
	v_mov_b32_e32 v1, s1
	v_add_co_u32_e32 v10, vcc, s0, v0
	v_addc_co_u32_e32 v11, vcc, 0, v1, vcc
	buffer_store_dword v6, off, s[36:39], 0 offset:12 ; 4-byte Folded Spill
	v_add_co_u32_e32 v4, vcc, 8, v10
	v_mov_b32_e32 v0, s16
	v_mov_b32_e32 v6, s18
	v_addc_co_u32_e32 v5, vcc, 0, v11, vcc
	v_mov_b32_e32 v1, s17
	v_mov_b32_e32 v7, s19
	v_mad_u64_u32 v[41:42], s[0:1], s14, v4, v[0:1]
	v_mul_lo_u32 v14, s15, v4
	v_mad_u64_u32 v[43:44], s[0:1], s14, v4, v[6:7]
	v_add_co_u32_e32 v4, vcc, s14, v2
	v_mul_lo_u32 v13, s14, v5
	v_addc_co_u32_e32 v5, vcc, v3, v12, vcc
	v_add_co_u32_e32 v2, vcc, 16, v10
	v_addc_co_u32_e32 v3, vcc, 0, v11, vcc
	v_mul_lo_u32 v3, s14, v3
	v_mul_lo_u32 v12, s15, v2
	v_mad_u64_u32 v[59:60], s[0:1], s14, v2, v[0:1]
	v_mad_u64_u32 v[47:48], s[0:1], s14, v2, v[6:7]
	v_add_co_u32_e32 v2, vcc, 24, v10
	v_add3_u32 v42, v14, v42, v13
	v_add3_u32 v44, v14, v44, v13
	v_addc_co_u32_e32 v13, vcc, 0, v11, vcc
	v_mul_lo_u32 v13, s14, v13
	v_mul_lo_u32 v14, s15, v2
	v_mad_u64_u32 v[49:50], s[0:1], s14, v2, v[0:1]
	v_mad_u64_u32 v[51:52], s[0:1], s14, v2, v[6:7]
	v_add_co_u32_e32 v2, vcc, 32, v10
	v_add3_u32 v60, v12, v60, v3
	v_add3_u32 v48, v12, v48, v3
	;; [unrolled: 8-line block ×4, first 2 shown]
	v_addc_co_u32_e32 v3, vcc, 0, v11, vcc
	v_mul_lo_u32 v12, s15, v2
	v_mad_u64_u32 v[61:62], s[0:1], s14, v2, v[0:1]
	v_mad_u64_u32 v[16:17], s[0:1], s14, v2, v[6:7]
	v_add_co_u32_e32 v2, vcc, 56, v10
	v_add3_u32 v58, v14, v58, v13
	v_add3_u32 v46, v14, v46, v13
	v_addc_co_u32_e32 v13, vcc, 0, v11, vcc
	v_mul_lo_u32 v13, s14, v13
	v_mul_lo_u32 v14, s15, v2
	v_mad_u64_u32 v[18:19], s[0:1], s14, v2, v[0:1]
	v_mad_u64_u32 v[20:21], s[0:1], s14, v2, v[6:7]
	v_mul_lo_u32 v3, s14, v3
	v_add3_u32 v19, v14, v19, v13
	v_add3_u32 v21, v14, v21, v13
	buffer_store_dword v18, off, s[36:39], 0 offset:20 ; 4-byte Folded Spill
	s_nop 0
	buffer_store_dword v19, off, s[36:39], 0 offset:24 ; 4-byte Folded Spill
	buffer_store_dword v20, off, s[36:39], 0 offset:28 ; 4-byte Folded Spill
	s_nop 0
	buffer_store_dword v21, off, s[36:39], 0 offset:32 ; 4-byte Folded Spill
	v_add_co_u32_e32 v2, vcc, 64, v10
	v_mad_u64_u32 v[18:19], s[0:1], s14, v2, v[0:1]
	v_mad_u64_u32 v[20:21], s[0:1], s14, v2, v[6:7]
	v_add3_u32 v62, v12, v62, v3
	v_add3_u32 v17, v12, v17, v3
	v_addc_co_u32_e32 v3, vcc, 0, v11, vcc
	s_movk_i32 s0, 0x48
	v_mul_lo_u32 v12, s15, v2
	v_add_co_u32_e32 v2, vcc, s0, v10
	v_mul_lo_u32 v3, s14, v3
	v_addc_co_u32_e32 v13, vcc, 0, v11, vcc
	v_mul_lo_u32 v13, s14, v13
	v_mul_lo_u32 v14, s15, v2
	v_mad_u64_u32 v[22:23], s[0:1], s14, v2, v[0:1]
	v_mad_u64_u32 v[24:25], s[0:1], s14, v2, v[6:7]
	s_movk_i32 s0, 0x50
	v_add_co_u32_e32 v2, vcc, s0, v10
	v_add3_u32 v19, v12, v19, v3
	v_add3_u32 v21, v12, v21, v3
	v_addc_co_u32_e32 v3, vcc, 0, v11, vcc
	buffer_store_dword v18, off, s[36:39], 0 offset:36 ; 4-byte Folded Spill
	s_nop 0
	buffer_store_dword v19, off, s[36:39], 0 offset:40 ; 4-byte Folded Spill
	v_add3_u32 v23, v14, v23, v13
	v_add3_u32 v25, v14, v25, v13
	v_mul_lo_u32 v3, s14, v3
	v_mul_lo_u32 v12, s15, v2
	v_mad_u64_u32 v[13:14], s[0:1], s14, v2, v[0:1]
	v_mad_u64_u32 v[18:19], s[0:1], s14, v2, v[6:7]
	s_movk_i32 s0, 0x58
	v_add3_u32 v14, v12, v14, v3
	v_add_co_u32_e32 v2, vcc, s0, v10
	buffer_store_dword v20, off, s[36:39], 0 offset:44 ; 4-byte Folded Spill
	s_nop 0
	buffer_store_dword v21, off, s[36:39], 0 offset:48 ; 4-byte Folded Spill
	buffer_store_dword v22, off, s[36:39], 0 offset:52 ; 4-byte Folded Spill
	s_nop 0
	buffer_store_dword v23, off, s[36:39], 0 offset:56 ; 4-byte Folded Spill
	;; [unrolled: 3-line block ×4, first 2 shown]
	v_add3_u32 v19, v12, v19, v3
	v_addc_co_u32_e32 v3, vcc, 0, v11, vcc
	v_mul_lo_u32 v3, s14, v3
	v_mul_lo_u32 v12, s15, v2
	v_mad_u64_u32 v[13:14], s[0:1], s14, v2, v[0:1]
	buffer_store_dword v18, off, s[36:39], 0 offset:76 ; 4-byte Folded Spill
	s_nop 0
	buffer_store_dword v19, off, s[36:39], 0 offset:80 ; 4-byte Folded Spill
	v_mov_b32_e32 v22, 0
	v_add3_u32 v14, v12, v14, v3
	buffer_store_dword v13, off, s[36:39], 0 offset:84 ; 4-byte Folded Spill
	s_nop 0
	buffer_store_dword v14, off, s[36:39], 0 offset:88 ; 4-byte Folded Spill
	v_mad_u64_u32 v[13:14], s[0:1], s14, v2, v[6:7]
	s_movk_i32 s0, 0x60
	v_add_co_u32_e32 v2, vcc, s0, v10
	v_add3_u32 v14, v12, v14, v3
	buffer_store_dword v13, off, s[36:39], 0 offset:92 ; 4-byte Folded Spill
	s_nop 0
	buffer_store_dword v14, off, s[36:39], 0 offset:96 ; 4-byte Folded Spill
	v_addc_co_u32_e32 v3, vcc, 0, v11, vcc
	v_mul_lo_u32 v3, s14, v3
	v_mul_lo_u32 v12, s15, v2
	v_mad_u64_u32 v[13:14], s[0:1], s14, v2, v[0:1]
	v_mov_b32_e32 v23, 0
	v_add3_u32 v14, v12, v14, v3
	buffer_store_dword v13, off, s[36:39], 0 offset:100 ; 4-byte Folded Spill
	s_nop 0
	buffer_store_dword v14, off, s[36:39], 0 offset:104 ; 4-byte Folded Spill
	v_mad_u64_u32 v[13:14], s[0:1], s14, v2, v[6:7]
	s_movk_i32 s0, 0x68
	v_add_co_u32_e32 v2, vcc, s0, v10
	v_add3_u32 v14, v12, v14, v3
	buffer_store_dword v13, off, s[36:39], 0 offset:108 ; 4-byte Folded Spill
	s_nop 0
	buffer_store_dword v14, off, s[36:39], 0 offset:112 ; 4-byte Folded Spill
	v_addc_co_u32_e32 v3, vcc, 0, v11, vcc
	v_mul_lo_u32 v3, s14, v3
	v_mul_lo_u32 v12, s15, v2
	v_mad_u64_u32 v[13:14], s[0:1], s14, v2, v[0:1]
	v_add3_u32 v14, v12, v14, v3
	buffer_store_dword v13, off, s[36:39], 0 offset:116 ; 4-byte Folded Spill
	s_nop 0
	buffer_store_dword v14, off, s[36:39], 0 offset:120 ; 4-byte Folded Spill
	v_mad_u64_u32 v[13:14], s[0:1], s14, v2, v[6:7]
	s_movk_i32 s0, 0x70
	v_add_co_u32_e32 v2, vcc, s0, v10
	v_add3_u32 v14, v12, v14, v3
	buffer_store_dword v13, off, s[36:39], 0 offset:124 ; 4-byte Folded Spill
	s_nop 0
	buffer_store_dword v14, off, s[36:39], 0 offset:128 ; 4-byte Folded Spill
	v_addc_co_u32_e32 v3, vcc, 0, v11, vcc
	v_mul_lo_u32 v3, s14, v3
	v_mul_lo_u32 v12, s15, v2
	v_mad_u64_u32 v[13:14], s[0:1], s14, v2, v[0:1]
	v_add3_u32 v14, v12, v14, v3
	buffer_store_dword v13, off, s[36:39], 0 offset:132 ; 4-byte Folded Spill
	s_nop 0
	buffer_store_dword v14, off, s[36:39], 0 offset:136 ; 4-byte Folded Spill
	v_mad_u64_u32 v[13:14], s[0:1], s14, v2, v[6:7]
	s_movk_i32 s0, 0x78
	v_add_co_u32_e32 v10, vcc, s0, v10
	v_addc_co_u32_e32 v2, vcc, 0, v11, vcc
	v_add3_u32 v14, v12, v14, v3
	v_mad_u64_u32 v[11:12], s[0:1], s14, v10, v[0:1]
	v_mul_lo_u32 v0, s14, v2
	v_mad_u64_u32 v[6:7], s[0:1], s14, v10, v[6:7]
	v_mul_lo_u32 v1, s15, v10
	buffer_store_dword v13, off, s[36:39], 0 offset:140 ; 4-byte Folded Spill
	s_nop 0
	buffer_store_dword v14, off, s[36:39], 0 offset:144 ; 4-byte Folded Spill
	v_mov_b32_e32 v2, v16
	v_mov_b32_e32 v3, v17
	v_add3_u32 v12, v1, v12, v0
	v_add3_u32 v7, v1, v7, v0
	v_add_co_u32_e32 v0, vcc, 15, v8
	buffer_store_dword v11, off, s[36:39], 0 offset:148 ; 4-byte Folded Spill
	s_nop 0
	buffer_store_dword v12, off, s[36:39], 0 offset:152 ; 4-byte Folded Spill
	buffer_store_dword v6, off, s[36:39], 0 offset:156 ; 4-byte Folded Spill
	s_nop 0
	buffer_store_dword v7, off, s[36:39], 0 offset:160 ; 4-byte Folded Spill
	v_addc_co_u32_e32 v1, vcc, 0, v9, vcc
	v_mul_lo_u32 v6, s14, v1
	v_mul_lo_u32 v7, s15, v0
	v_mad_u64_u32 v[0:1], s[0:1], s14, v0, 0
	v_add3_u32 v1, v1, v6, v7
	v_lshlrev_b64 v[0:1], 3, v[0:1]
	v_mov_b32_e32 v6, s17
	v_add_co_u32_e32 v7, vcc, s16, v0
	v_addc_co_u32_e32 v6, vcc, v6, v1, vcc
	buffer_store_dword v6, off, s[36:39], 0 offset:168 ; 4-byte Folded Spill
	v_mov_b32_e32 v6, s19
	v_add_co_u32_e32 v0, vcc, s18, v0
	buffer_store_dword v0, off, s[36:39], 0 offset:172 ; 4-byte Folded Spill
	v_addc_co_u32_e32 v0, vcc, v6, v1, vcc
	buffer_store_dword v0, off, s[36:39], 0 offset:176 ; 4-byte Folded Spill
	v_add_co_u32_e32 v0, vcc, 14, v8
	v_addc_co_u32_e32 v1, vcc, 0, v9, vcc
	buffer_store_dword v7, off, s[36:39], 0 offset:164 ; 4-byte Folded Spill
	v_mul_lo_u32 v6, s14, v1
	v_mul_lo_u32 v7, s15, v0
	v_mad_u64_u32 v[0:1], s[0:1], s14, v0, 0
	v_add3_u32 v1, v1, v6, v7
	v_lshlrev_b64 v[0:1], 3, v[0:1]
	v_mov_b32_e32 v6, s17
	v_add_co_u32_e32 v7, vcc, s16, v0
	v_addc_co_u32_e32 v6, vcc, v6, v1, vcc
	buffer_store_dword v6, off, s[36:39], 0 offset:184 ; 4-byte Folded Spill
	v_mov_b32_e32 v6, s19
	v_add_co_u32_e32 v0, vcc, s18, v0
	buffer_store_dword v0, off, s[36:39], 0 offset:188 ; 4-byte Folded Spill
	v_addc_co_u32_e32 v0, vcc, v6, v1, vcc
	buffer_store_dword v0, off, s[36:39], 0 offset:192 ; 4-byte Folded Spill
	v_add_co_u32_e32 v0, vcc, 13, v8
	v_addc_co_u32_e32 v1, vcc, 0, v9, vcc
	buffer_store_dword v7, off, s[36:39], 0 offset:180 ; 4-byte Folded Spill
	;; [unrolled: 17-line block ×13, first 2 shown]
	v_mul_lo_u32 v6, s14, v1
	v_mul_lo_u32 v7, s15, v0
	v_mad_u64_u32 v[0:1], s[0:1], s14, v0, 0
	v_add3_u32 v1, v1, v6, v7
	v_lshlrev_b64 v[0:1], 3, v[0:1]
	v_mov_b32_e32 v6, s17
	v_add_co_u32_e32 v7, vcc, s16, v0
	v_addc_co_u32_e32 v6, vcc, v6, v1, vcc
	buffer_store_dword v6, off, s[36:39], 0 offset:416 ; 4-byte Folded Spill
	v_mov_b32_e32 v6, s19
	v_add_co_u32_e32 v0, vcc, s18, v0
	buffer_store_dword v0, off, s[36:39], 0 offset:420 ; 4-byte Folded Spill
	v_addc_co_u32_e32 v0, vcc, v6, v1, vcc
	buffer_store_dword v0, off, s[36:39], 0 offset:424 ; 4-byte Folded Spill
	v_lshlrev_b64 v[0:1], 3, v[4:5]
	v_mov_b32_e32 v4, s17
	v_add_co_u32_e32 v5, vcc, s16, v0
	v_addc_co_u32_e32 v4, vcc, v4, v1, vcc
	buffer_store_dword v4, off, s[36:39], 0 offset:432 ; 4-byte Folded Spill
	v_mov_b32_e32 v4, s19
	v_add_co_u32_e32 v0, vcc, s18, v0
	buffer_store_dword v0, off, s[36:39], 0 offset:436 ; 4-byte Folded Spill
	v_addc_co_u32_e32 v0, vcc, v4, v1, vcc
	buffer_store_dword v7, off, s[36:39], 0 offset:408 ; 4-byte Folded Spill
	buffer_store_dword v5, off, s[36:39], 0 offset:428 ; 4-byte Folded Spill
	;; [unrolled: 1-line block ×4, first 2 shown]
	v_mbcnt_lo_u32_b32 v0, -1, 0
	v_mov_b32_e32 v5, 0
	v_mbcnt_hi_u32_b32 v0, -1, v0
	v_lshlrev_b32_e32 v0, 2, v0
	v_mov_b32_e32 v1, v5
	v_add_u32_e32 v4, s33, v15
	v_and_b32_e32 v28, 0x100, v0
	buffer_store_dword v0, off, s[36:39], 0 offset:620 ; 4-byte Folded Spill
	s_nop 0
	buffer_store_dword v1, off, s[36:39], 0 offset:624 ; 4-byte Folded Spill
	v_lshlrev_b64 v[0:1], 3, v[4:5]
	s_branch .LBB36_89
.LBB36_86:                              ;   in Loop: Header=BB36_89 Depth=1
	s_or_b64 exec, exec, s[16:17]
.LBB36_87:                              ;   in Loop: Header=BB36_89 Depth=1
	s_or_b64 exec, exec, s[0:1]
	buffer_load_dword v8, off, s[36:39], 0 offset:16 ; 4-byte Folded Reload
	s_waitcnt vmcnt(2)
	ds_bpermute_b32 v10, v28, v4
	ds_bpermute_b32 v11, v28, v5
	s_waitcnt vmcnt(1)
	ds_bpermute_b32 v12, v28, v6
	ds_bpermute_b32 v13, v28, v7
	ds_bpermute_b32 v14, v28, v4 offset:4
	ds_bpermute_b32 v15, v28, v5 offset:4
	ds_bpermute_b32 v16, v28, v6 offset:4
	ds_bpermute_b32 v17, v28, v7 offset:4
	ds_bpermute_b32 v18, v28, v6 offset:8
	ds_bpermute_b32 v19, v28, v7 offset:8
	ds_bpermute_b32 v20, v28, v6 offset:12
	ds_bpermute_b32 v21, v28, v7 offset:12
	ds_bpermute_b32 v22, v28, v6 offset:16
	ds_bpermute_b32 v23, v28, v7 offset:16
	ds_bpermute_b32 v24, v28, v6 offset:20
	ds_bpermute_b32 v25, v28, v7 offset:20
	ds_bpermute_b32 v26, v28, v6 offset:24
	ds_bpermute_b32 v27, v28, v7 offset:24
	ds_bpermute_b32 v29, v28, v6 offset:28
	ds_bpermute_b32 v30, v28, v7 offset:28
	ds_bpermute_b32 v31, v28, v6 offset:32
	ds_bpermute_b32 v32, v28, v7 offset:32
	ds_bpermute_b32 v33, v28, v6 offset:36
	ds_bpermute_b32 v34, v28, v7 offset:36
	ds_bpermute_b32 v37, v28, v6 offset:44
	ds_bpermute_b32 v38, v28, v7 offset:44
	ds_bpermute_b32 v39, v28, v6 offset:48
	ds_bpermute_b32 v40, v28, v7 offset:48
	s_waitcnt vmcnt(0)
	v_add_co_u32_e32 v8, vcc, v8, v0
	v_addc_co_u32_e32 v9, vcc, v63, v1, vcc
	global_load_dwordx2 v[8:9], v[8:9], off
	s_waitcnt vmcnt(0) lgkmcnt(14)
	v_add_f64 v[10:11], v[8:9], -v[10:11]
	buffer_load_dword v8, off, s[36:39], 0 offset:12 ; 4-byte Folded Reload
	buffer_load_dword v9, off, s[36:39], 0 offset:8 ; 4-byte Folded Reload
	s_waitcnt vmcnt(1)
	v_add_co_u32_e32 v8, vcc, v8, v0
	s_waitcnt vmcnt(0)
	v_addc_co_u32_e32 v9, vcc, v9, v1, vcc
	global_load_dwordx2 v[8:9], v[8:9], off
	s_waitcnt vmcnt(0)
	v_mul_f64 v[10:11], v[8:9], v[10:11]
	v_fma_f64 v[12:13], v[10:11], v[12:13], v[35:36]
	v_add_co_u32_e32 v10, vcc, v43, v0
	v_addc_co_u32_e32 v11, vcc, v44, v1, vcc
	global_load_dwordx2 v[10:11], v[10:11], off
	ds_bpermute_b32 v35, v28, v6 offset:40
	ds_bpermute_b32 v36, v28, v7 offset:40
	s_waitcnt vmcnt(0)
	v_add_f64 v[14:15], v[10:11], -v[14:15]
	v_add_co_u32_e32 v10, vcc, v41, v0
	v_addc_co_u32_e32 v11, vcc, v42, v1, vcc
	global_load_dwordx2 v[10:11], v[10:11], off
	s_waitcnt vmcnt(0)
	buffer_store_dword v10, off, s[36:39], 0 offset:448 ; 4-byte Folded Spill
	s_nop 0
	buffer_store_dword v11, off, s[36:39], 0 offset:452 ; 4-byte Folded Spill
	v_mul_f64 v[14:15], v[10:11], v[14:15]
	v_fma_f64 v[14:15], v[14:15], v[16:17], v[12:13]
	v_add_co_u32_e32 v12, vcc, v47, v0
	v_addc_co_u32_e32 v13, vcc, v48, v1, vcc
	global_load_dwordx2 v[12:13], v[12:13], off
	ds_bpermute_b32 v16, v28, v4 offset:8
	ds_bpermute_b32 v17, v28, v5 offset:8
	s_waitcnt vmcnt(0) lgkmcnt(0)
	v_add_f64 v[16:17], v[12:13], -v[16:17]
	v_add_co_u32_e32 v12, vcc, v59, v0
	v_addc_co_u32_e32 v13, vcc, v60, v1, vcc
	global_load_dwordx2 v[10:11], v[12:13], off
	s_waitcnt vmcnt(0)
	buffer_store_dword v10, off, s[36:39], 0 offset:456 ; 4-byte Folded Spill
	s_nop 0
	buffer_store_dword v11, off, s[36:39], 0 offset:460 ; 4-byte Folded Spill
	v_mul_f64 v[16:17], v[10:11], v[16:17]
	v_fma_f64 v[16:17], v[16:17], v[18:19], v[14:15]
	v_add_co_u32_e32 v14, vcc, v51, v0
	v_addc_co_u32_e32 v15, vcc, v52, v1, vcc
	global_load_dwordx2 v[14:15], v[14:15], off
	ds_bpermute_b32 v18, v28, v4 offset:12
	ds_bpermute_b32 v19, v28, v5 offset:12
	s_waitcnt vmcnt(0) lgkmcnt(0)
	v_add_f64 v[18:19], v[14:15], -v[18:19]
	v_add_co_u32_e32 v14, vcc, v49, v0
	v_addc_co_u32_e32 v15, vcc, v50, v1, vcc
	global_load_dwordx2 v[10:11], v[14:15], off
	v_mov_b32_e32 v14, v61
	v_mov_b32_e32 v15, v62
	s_waitcnt vmcnt(0)
	buffer_store_dword v10, off, s[36:39], 0 offset:464 ; 4-byte Folded Spill
	s_nop 0
	buffer_store_dword v11, off, s[36:39], 0 offset:468 ; 4-byte Folded Spill
	v_mul_f64 v[18:19], v[10:11], v[18:19]
	v_fma_f64 v[18:19], v[18:19], v[20:21], v[16:17]
	v_add_co_u32_e32 v16, vcc, v55, v0
	v_addc_co_u32_e32 v17, vcc, v56, v1, vcc
	global_load_dwordx2 v[16:17], v[16:17], off
	ds_bpermute_b32 v20, v28, v4 offset:16
	ds_bpermute_b32 v21, v28, v5 offset:16
	s_waitcnt vmcnt(0) lgkmcnt(0)
	v_add_f64 v[20:21], v[16:17], -v[20:21]
	v_add_co_u32_e32 v16, vcc, v53, v0
	v_addc_co_u32_e32 v17, vcc, v54, v1, vcc
	global_load_dwordx2 v[10:11], v[16:17], off
	s_waitcnt vmcnt(0)
	buffer_store_dword v10, off, s[36:39], 0 offset:472 ; 4-byte Folded Spill
	s_nop 0
	buffer_store_dword v11, off, s[36:39], 0 offset:476 ; 4-byte Folded Spill
	v_mul_f64 v[20:21], v[10:11], v[20:21]
	v_fma_f64 v[20:21], v[20:21], v[22:23], v[18:19]
	v_add_co_u32_e32 v18, vcc, v45, v0
	v_addc_co_u32_e32 v19, vcc, v46, v1, vcc
	global_load_dwordx2 v[18:19], v[18:19], off
	ds_bpermute_b32 v22, v28, v4 offset:20
	ds_bpermute_b32 v23, v28, v5 offset:20
	s_waitcnt vmcnt(0) lgkmcnt(0)
	v_add_f64 v[22:23], v[18:19], -v[22:23]
	v_add_co_u32_e32 v18, vcc, v57, v0
	v_addc_co_u32_e32 v19, vcc, v58, v1, vcc
	global_load_dwordx2 v[18:19], v[18:19], off
	s_waitcnt vmcnt(0)
	v_mul_f64 v[22:23], v[18:19], v[22:23]
	v_fma_f64 v[22:23], v[22:23], v[24:25], v[20:21]
	v_add_co_u32_e32 v20, vcc, v2, v0
	v_addc_co_u32_e32 v21, vcc, v3, v1, vcc
	global_load_dwordx2 v[20:21], v[20:21], off
	ds_bpermute_b32 v24, v28, v4 offset:24
	ds_bpermute_b32 v25, v28, v5 offset:24
	s_waitcnt vmcnt(0) lgkmcnt(0)
	v_add_f64 v[24:25], v[20:21], -v[24:25]
	v_add_co_u32_e32 v20, vcc, v61, v0
	v_addc_co_u32_e32 v21, vcc, v62, v1, vcc
	global_load_dwordx2 v[20:21], v[20:21], off
	s_nop 0
	buffer_load_dword v10, off, s[36:39], 0 offset:28 ; 4-byte Folded Reload
	buffer_load_dword v11, off, s[36:39], 0 offset:32 ; 4-byte Folded Reload
	v_mov_b32_e32 v62, v54
	v_mov_b32_e32 v61, v53
	v_mov_b32_e32 v53, v59
	v_mov_b32_e32 v54, v60
	v_mov_b32_e32 v60, v52
	v_mov_b32_e32 v59, v51
	v_mov_b32_e32 v52, v44
	v_mov_b32_e32 v51, v43
	ds_bpermute_b32 v43, v28, v6 offset:56
	ds_bpermute_b32 v44, v28, v7 offset:56
	s_waitcnt vmcnt(2)
	v_mul_f64 v[24:25], v[20:21], v[24:25]
	v_fma_f64 v[24:25], v[24:25], v[26:27], v[22:23]
	s_waitcnt vmcnt(1)
	v_add_co_u32_e32 v22, vcc, v10, v0
	s_waitcnt vmcnt(0)
	v_addc_co_u32_e32 v23, vcc, v11, v1, vcc
	global_load_dwordx2 v[22:23], v[22:23], off
	s_nop 0
	buffer_load_dword v10, off, s[36:39], 0 offset:20 ; 4-byte Folded Reload
	buffer_load_dword v11, off, s[36:39], 0 offset:24 ; 4-byte Folded Reload
	ds_bpermute_b32 v26, v28, v4 offset:28
	ds_bpermute_b32 v27, v28, v5 offset:28
	s_waitcnt vmcnt(2) lgkmcnt(0)
	v_add_f64 v[26:27], v[22:23], -v[26:27]
	s_waitcnt vmcnt(1)
	v_add_co_u32_e32 v22, vcc, v10, v0
	s_waitcnt vmcnt(0)
	v_addc_co_u32_e32 v23, vcc, v11, v1, vcc
	global_load_dwordx2 v[22:23], v[22:23], off
	s_nop 0
	buffer_load_dword v10, off, s[36:39], 0 offset:44 ; 4-byte Folded Reload
	buffer_load_dword v11, off, s[36:39], 0 offset:48 ; 4-byte Folded Reload
	s_waitcnt vmcnt(2)
	v_mul_f64 v[26:27], v[22:23], v[26:27]
	v_fma_f64 v[26:27], v[26:27], v[29:30], v[24:25]
	s_waitcnt vmcnt(1)
	v_add_co_u32_e32 v24, vcc, v10, v0
	s_waitcnt vmcnt(0)
	v_addc_co_u32_e32 v25, vcc, v11, v1, vcc
	global_load_dwordx2 v[24:25], v[24:25], off
	s_nop 0
	buffer_load_dword v10, off, s[36:39], 0 offset:36 ; 4-byte Folded Reload
	buffer_load_dword v11, off, s[36:39], 0 offset:40 ; 4-byte Folded Reload
	ds_bpermute_b32 v29, v28, v4 offset:32
	ds_bpermute_b32 v30, v28, v5 offset:32
	s_waitcnt vmcnt(2) lgkmcnt(0)
	v_add_f64 v[29:30], v[24:25], -v[29:30]
	s_waitcnt vmcnt(1)
	v_add_co_u32_e32 v24, vcc, v10, v0
	s_waitcnt vmcnt(0)
	v_addc_co_u32_e32 v25, vcc, v11, v1, vcc
	global_load_dwordx2 v[24:25], v[24:25], off
	s_nop 0
	buffer_load_dword v10, off, s[36:39], 0 offset:60 ; 4-byte Folded Reload
	buffer_load_dword v11, off, s[36:39], 0 offset:64 ; 4-byte Folded Reload
	s_waitcnt vmcnt(2)
	v_mul_f64 v[29:30], v[24:25], v[29:30]
	v_fma_f64 v[26:27], v[29:30], v[31:32], v[26:27]
	s_waitcnt vmcnt(1)
	v_add_co_u32_e32 v29, vcc, v10, v0
	s_waitcnt vmcnt(0)
	v_addc_co_u32_e32 v30, vcc, v11, v1, vcc
	global_load_dwordx2 v[29:30], v[29:30], off
	s_nop 0
	buffer_load_dword v10, off, s[36:39], 0 offset:52 ; 4-byte Folded Reload
	buffer_load_dword v11, off, s[36:39], 0 offset:56 ; 4-byte Folded Reload
	ds_bpermute_b32 v31, v28, v4 offset:36
	ds_bpermute_b32 v32, v28, v5 offset:36
	s_waitcnt vmcnt(2) lgkmcnt(0)
	v_add_f64 v[29:30], v[29:30], -v[31:32]
	s_waitcnt vmcnt(1)
	v_add_co_u32_e32 v31, vcc, v10, v0
	s_waitcnt vmcnt(0)
	v_addc_co_u32_e32 v32, vcc, v11, v1, vcc
	global_load_dwordx2 v[31:32], v[31:32], off
	s_nop 0
	buffer_load_dword v10, off, s[36:39], 0 offset:76 ; 4-byte Folded Reload
	buffer_load_dword v11, off, s[36:39], 0 offset:80 ; 4-byte Folded Reload
	s_waitcnt vmcnt(2)
	v_mul_f64 v[29:30], v[31:32], v[29:30]
	v_fma_f64 v[26:27], v[29:30], v[33:34], v[26:27]
	s_waitcnt vmcnt(1)
	v_add_co_u32_e32 v29, vcc, v10, v0
	s_waitcnt vmcnt(0)
	v_addc_co_u32_e32 v30, vcc, v11, v1, vcc
	global_load_dwordx2 v[29:30], v[29:30], off
	s_nop 0
	buffer_load_dword v10, off, s[36:39], 0 offset:68 ; 4-byte Folded Reload
	buffer_load_dword v11, off, s[36:39], 0 offset:72 ; 4-byte Folded Reload
	ds_bpermute_b32 v33, v28, v4 offset:40
	ds_bpermute_b32 v34, v28, v5 offset:40
	s_waitcnt vmcnt(2) lgkmcnt(0)
	v_add_f64 v[29:30], v[29:30], -v[33:34]
	s_waitcnt vmcnt(1)
	v_add_co_u32_e32 v33, vcc, v10, v0
	s_waitcnt vmcnt(0)
	v_addc_co_u32_e32 v34, vcc, v11, v1, vcc
	global_load_dwordx2 v[33:34], v[33:34], off
	s_nop 0
	buffer_load_dword v10, off, s[36:39], 0 offset:92 ; 4-byte Folded Reload
	buffer_load_dword v11, off, s[36:39], 0 offset:96 ; 4-byte Folded Reload
	s_waitcnt vmcnt(2)
	v_mul_f64 v[29:30], v[33:34], v[29:30]
	v_fma_f64 v[26:27], v[29:30], v[35:36], v[26:27]
	s_waitcnt vmcnt(1)
	v_add_co_u32_e32 v29, vcc, v10, v0
	s_waitcnt vmcnt(0)
	v_addc_co_u32_e32 v30, vcc, v11, v1, vcc
	global_load_dwordx2 v[29:30], v[29:30], off
	s_nop 0
	buffer_load_dword v10, off, s[36:39], 0 offset:84 ; 4-byte Folded Reload
	buffer_load_dword v11, off, s[36:39], 0 offset:88 ; 4-byte Folded Reload
	ds_bpermute_b32 v35, v28, v4 offset:44
	ds_bpermute_b32 v36, v28, v5 offset:44
	s_waitcnt vmcnt(2) lgkmcnt(0)
	v_add_f64 v[29:30], v[29:30], -v[35:36]
	s_waitcnt vmcnt(1)
	v_add_co_u32_e32 v35, vcc, v10, v0
	s_waitcnt vmcnt(0)
	v_addc_co_u32_e32 v36, vcc, v11, v1, vcc
	global_load_dwordx2 v[35:36], v[35:36], off
	s_nop 0
	buffer_load_dword v10, off, s[36:39], 0 offset:108 ; 4-byte Folded Reload
	buffer_load_dword v11, off, s[36:39], 0 offset:112 ; 4-byte Folded Reload
	s_waitcnt vmcnt(2)
	v_mul_f64 v[29:30], v[35:36], v[29:30]
	v_fma_f64 v[26:27], v[29:30], v[37:38], v[26:27]
	s_waitcnt vmcnt(1)
	v_add_co_u32_e32 v29, vcc, v10, v0
	s_waitcnt vmcnt(0)
	v_addc_co_u32_e32 v30, vcc, v11, v1, vcc
	global_load_dwordx2 v[29:30], v[29:30], off
	s_nop 0
	buffer_load_dword v10, off, s[36:39], 0 offset:100 ; 4-byte Folded Reload
	buffer_load_dword v11, off, s[36:39], 0 offset:104 ; 4-byte Folded Reload
	ds_bpermute_b32 v37, v28, v4 offset:48
	ds_bpermute_b32 v38, v28, v5 offset:48
	s_waitcnt vmcnt(2) lgkmcnt(0)
	v_add_f64 v[29:30], v[29:30], -v[37:38]
	s_waitcnt vmcnt(1)
	v_add_co_u32_e32 v37, vcc, v10, v0
	s_waitcnt vmcnt(0)
	v_addc_co_u32_e32 v38, vcc, v11, v1, vcc
	global_load_dwordx2 v[37:38], v[37:38], off
	s_nop 0
	buffer_load_dword v12, off, s[36:39], 0 offset:124 ; 4-byte Folded Reload
	buffer_load_dword v13, off, s[36:39], 0 offset:128 ; 4-byte Folded Reload
	s_waitcnt vmcnt(2)
	v_mul_f64 v[29:30], v[37:38], v[29:30]
	v_fma_f64 v[26:27], v[29:30], v[39:40], v[26:27]
	s_waitcnt vmcnt(1)
	v_add_co_u32_e32 v29, vcc, v12, v0
	s_waitcnt vmcnt(0)
	v_addc_co_u32_e32 v30, vcc, v13, v1, vcc
	global_load_dwordx2 v[29:30], v[29:30], off
	s_nop 0
	buffer_load_dword v12, off, s[36:39], 0 offset:116 ; 4-byte Folded Reload
	buffer_load_dword v13, off, s[36:39], 0 offset:120 ; 4-byte Folded Reload
	ds_bpermute_b32 v39, v28, v4 offset:52
	ds_bpermute_b32 v40, v28, v5 offset:52
	s_waitcnt vmcnt(2) lgkmcnt(0)
	v_add_f64 v[29:30], v[29:30], -v[39:40]
	s_waitcnt vmcnt(1)
	v_add_co_u32_e32 v39, vcc, v12, v0
	s_waitcnt vmcnt(0)
	v_addc_co_u32_e32 v40, vcc, v13, v1, vcc
	global_load_dwordx2 v[39:40], v[39:40], off
	v_mov_b32_e32 v13, v3
	v_mov_b32_e32 v12, v2
	;; [unrolled: 1-line block ×10, first 2 shown]
	ds_bpermute_b32 v41, v28, v6 offset:52
	ds_bpermute_b32 v42, v28, v7 offset:52
	;; [unrolled: 1-line block ×4, first 2 shown]
	s_waitcnt vmcnt(0)
	v_mul_f64 v[29:30], v[39:40], v[29:30]
	s_waitcnt lgkmcnt(2)
	v_fma_f64 v[26:27], v[29:30], v[41:42], v[26:27]
	buffer_load_dword v29, off, s[36:39], 0 offset:140 ; 4-byte Folded Reload
	buffer_load_dword v30, off, s[36:39], 0 offset:144 ; 4-byte Folded Reload
	ds_bpermute_b32 v41, v28, v4 offset:56
	ds_bpermute_b32 v42, v28, v5 offset:56
	;; [unrolled: 1-line block ×4, first 2 shown]
	s_waitcnt vmcnt(1)
	v_add_co_u32_e32 v29, vcc, v29, v0
	s_waitcnt vmcnt(0)
	v_addc_co_u32_e32 v30, vcc, v30, v1, vcc
	global_load_dwordx2 v[29:30], v[29:30], off
	s_waitcnt vmcnt(0) lgkmcnt(2)
	v_add_f64 v[29:30], v[29:30], -v[41:42]
	buffer_load_dword v41, off, s[36:39], 0 offset:132 ; 4-byte Folded Reload
	buffer_load_dword v42, off, s[36:39], 0 offset:136 ; 4-byte Folded Reload
	s_waitcnt vmcnt(1)
	v_add_co_u32_e32 v41, vcc, v41, v0
	s_waitcnt vmcnt(0)
	v_addc_co_u32_e32 v42, vcc, v42, v1, vcc
	global_load_dwordx2 v[41:42], v[41:42], off
	s_waitcnt vmcnt(0)
	v_mul_f64 v[29:30], v[41:42], v[29:30]
	v_fma_f64 v[26:27], v[29:30], v[43:44], v[26:27]
	buffer_load_dword v29, off, s[36:39], 0 ; 4-byte Folded Reload
	buffer_load_dword v30, off, s[36:39], 0 offset:4 ; 4-byte Folded Reload
	buffer_load_dword v16, off, s[36:39], 0 offset:448 ; 4-byte Folded Reload
	;; [unrolled: 1-line block ×3, first 2 shown]
	v_mov_b32_e32 v43, v51
	v_mov_b32_e32 v44, v52
	;; [unrolled: 1-line block ×10, first 2 shown]
	s_waitcnt vmcnt(2)
	v_add_f64 v[8:9], v[29:30], v[8:9]
	s_waitcnt vmcnt(0)
	v_add_f64 v[8:9], v[8:9], v[16:17]
	buffer_load_dword v16, off, s[36:39], 0 offset:456 ; 4-byte Folded Reload
	buffer_load_dword v17, off, s[36:39], 0 offset:460 ; 4-byte Folded Reload
	s_waitcnt vmcnt(0)
	v_add_f64 v[8:9], v[8:9], v[16:17]
	buffer_load_dword v16, off, s[36:39], 0 offset:464 ; 4-byte Folded Reload
	buffer_load_dword v17, off, s[36:39], 0 offset:468 ; 4-byte Folded Reload
	;; [unrolled: 4-line block ×3, first 2 shown]
	s_waitcnt vmcnt(0)
	v_add_f64 v[8:9], v[8:9], v[16:17]
	v_add_f64 v[8:9], v[8:9], v[18:19]
	;; [unrolled: 1-line block ×11, first 2 shown]
	buffer_load_dword v8, off, s[36:39], 0 offset:148 ; 4-byte Folded Reload
	buffer_load_dword v9, off, s[36:39], 0 offset:152 ; 4-byte Folded Reload
	v_mov_b32_e32 v41, v49
	v_mov_b32_e32 v42, v50
	;; [unrolled: 1-line block ×10, first 2 shown]
	s_waitcnt vmcnt(1)
	v_add_co_u32_e32 v8, vcc, v8, v0
	s_waitcnt vmcnt(0)
	v_addc_co_u32_e32 v9, vcc, v9, v1, vcc
	global_load_dwordx2 v[8:9], v[8:9], off
	s_nop 0
	buffer_load_dword v12, off, s[36:39], 0 offset:156 ; 4-byte Folded Reload
	buffer_load_dword v13, off, s[36:39], 0 offset:160 ; 4-byte Folded Reload
	s_waitcnt vmcnt(1)
	v_add_co_u32_e32 v12, vcc, v12, v0
	s_waitcnt vmcnt(0)
	v_addc_co_u32_e32 v13, vcc, v13, v1, vcc
	global_load_dwordx2 v[12:13], v[12:13], off
.LBB36_88:                              ;   in Loop: Header=BB36_89 Depth=1
	s_waitcnt vmcnt(0) lgkmcnt(0)
	v_add_f64 v[4:5], v[12:13], -v[4:5]
	v_add_f64 v[22:23], v[10:11], v[8:9]
	s_add_u32 s10, s10, s7
	s_addc_u32 s11, s11, 0
	s_add_u32 s24, s24, s7
	s_addc_u32 s25, s25, 0
	v_mul_f64 v[4:5], v[8:9], v[4:5]
	v_fma_f64 v[35:36], v[4:5], v[6:7], v[26:27]
	buffer_load_dword v4, off, s[36:39], 0 offset:12 ; 4-byte Folded Reload
	buffer_load_dword v5, off, s[36:39], 0 offset:8 ; 4-byte Folded Reload
	s_waitcnt vmcnt(1)
	v_add_co_u32_e32 v4, vcc, s8, v4
	buffer_store_dword v4, off, s[36:39], 0 offset:12 ; 4-byte Folded Spill
	v_mov_b32_e32 v4, s9
	s_waitcnt vmcnt(1)
	v_addc_co_u32_e32 v5, vcc, v5, v4, vcc
	buffer_store_dword v5, off, s[36:39], 0 offset:8 ; 4-byte Folded Spill
	buffer_load_dword v5, off, s[36:39], 0 offset:16 ; 4-byte Folded Reload
	s_waitcnt vmcnt(0)
	v_add_co_u32_e32 v5, vcc, s8, v5
	buffer_store_dword v5, off, s[36:39], 0 offset:16 ; 4-byte Folded Spill
	buffer_load_dword v5, off, s[36:39], 0 offset:20 ; 4-byte Folded Reload
	s_nop 0
	buffer_load_dword v6, off, s[36:39], 0 offset:24 ; 4-byte Folded Reload
	v_addc_co_u32_e32 v63, vcc, v63, v4, vcc
	v_add_co_u32_e32 v41, vcc, s8, v41
	v_addc_co_u32_e32 v42, vcc, v42, v4, vcc
	v_add_co_u32_e32 v59, vcc, s8, v59
	;; [unrolled: 2-line block ×6, first 2 shown]
	v_addc_co_u32_e32 v62, vcc, v62, v4, vcc
	s_waitcnt vmcnt(1)
	v_add_co_u32_e32 v5, vcc, s8, v5
	s_waitcnt vmcnt(0)
	v_addc_co_u32_e32 v6, vcc, v6, v4, vcc
	buffer_store_dword v5, off, s[36:39], 0 offset:20 ; 4-byte Folded Spill
	s_nop 0
	buffer_store_dword v6, off, s[36:39], 0 offset:24 ; 4-byte Folded Spill
	buffer_load_dword v5, off, s[36:39], 0 offset:36 ; 4-byte Folded Reload
	s_nop 0
	buffer_load_dword v6, off, s[36:39], 0 offset:40 ; 4-byte Folded Reload
	s_waitcnt vmcnt(1)
	v_add_co_u32_e32 v5, vcc, s8, v5
	s_waitcnt vmcnt(0)
	v_addc_co_u32_e32 v6, vcc, v6, v4, vcc
	buffer_store_dword v5, off, s[36:39], 0 offset:36 ; 4-byte Folded Spill
	s_nop 0
	buffer_store_dword v6, off, s[36:39], 0 offset:40 ; 4-byte Folded Spill
	buffer_load_dword v5, off, s[36:39], 0 offset:52 ; 4-byte Folded Reload
	s_nop 0
	buffer_load_dword v6, off, s[36:39], 0 offset:56 ; 4-byte Folded Reload
	;; [unrolled: 10-line block ×9, first 2 shown]
	v_add_co_u32_e32 v43, vcc, s8, v43
	v_addc_co_u32_e32 v44, vcc, v44, v4, vcc
	v_add_co_u32_e32 v47, vcc, s8, v47
	v_addc_co_u32_e32 v48, vcc, v48, v4, vcc
	;; [unrolled: 2-line block ×6, first 2 shown]
	s_waitcnt vmcnt(1)
	v_add_co_u32_e32 v5, vcc, s8, v5
	s_waitcnt vmcnt(0)
	v_addc_co_u32_e32 v6, vcc, v6, v4, vcc
	buffer_store_dword v5, off, s[36:39], 0 offset:28 ; 4-byte Folded Spill
	s_nop 0
	buffer_store_dword v6, off, s[36:39], 0 offset:32 ; 4-byte Folded Spill
	buffer_load_dword v5, off, s[36:39], 0 offset:44 ; 4-byte Folded Reload
	s_nop 0
	buffer_load_dword v6, off, s[36:39], 0 offset:48 ; 4-byte Folded Reload
	s_waitcnt vmcnt(1)
	v_add_co_u32_e32 v5, vcc, s8, v5
	s_waitcnt vmcnt(0)
	v_addc_co_u32_e32 v6, vcc, v6, v4, vcc
	buffer_store_dword v5, off, s[36:39], 0 offset:44 ; 4-byte Folded Spill
	s_nop 0
	buffer_store_dword v6, off, s[36:39], 0 offset:48 ; 4-byte Folded Spill
	buffer_load_dword v5, off, s[36:39], 0 offset:60 ; 4-byte Folded Reload
	s_nop 0
	buffer_load_dword v6, off, s[36:39], 0 offset:64 ; 4-byte Folded Reload
	s_waitcnt vmcnt(1)
	v_add_co_u32_e32 v5, vcc, s8, v5
	s_waitcnt vmcnt(0)
	v_addc_co_u32_e32 v6, vcc, v6, v4, vcc
	buffer_store_dword v5, off, s[36:39], 0 offset:60 ; 4-byte Folded Spill
	s_nop 0
	buffer_store_dword v6, off, s[36:39], 0 offset:64 ; 4-byte Folded Spill
	buffer_load_dword v5, off, s[36:39], 0 offset:76 ; 4-byte Folded Reload
	s_nop 0
	buffer_load_dword v6, off, s[36:39], 0 offset:80 ; 4-byte Folded Reload
	s_waitcnt vmcnt(1)
	v_add_co_u32_e32 v5, vcc, s8, v5
	s_waitcnt vmcnt(0)
	v_addc_co_u32_e32 v6, vcc, v6, v4, vcc
	buffer_store_dword v5, off, s[36:39], 0 offset:76 ; 4-byte Folded Spill
	s_nop 0
	buffer_store_dword v6, off, s[36:39], 0 offset:80 ; 4-byte Folded Spill
	buffer_load_dword v5, off, s[36:39], 0 offset:92 ; 4-byte Folded Reload
	s_nop 0
	buffer_load_dword v6, off, s[36:39], 0 offset:96 ; 4-byte Folded Reload
	s_waitcnt vmcnt(1)
	v_add_co_u32_e32 v5, vcc, s8, v5
	s_waitcnt vmcnt(0)
	v_addc_co_u32_e32 v6, vcc, v6, v4, vcc
	buffer_store_dword v5, off, s[36:39], 0 offset:92 ; 4-byte Folded Spill
	s_nop 0
	buffer_store_dword v6, off, s[36:39], 0 offset:96 ; 4-byte Folded Spill
	buffer_load_dword v5, off, s[36:39], 0 offset:108 ; 4-byte Folded Reload
	s_nop 0
	buffer_load_dword v6, off, s[36:39], 0 offset:112 ; 4-byte Folded Reload
	s_waitcnt vmcnt(1)
	v_add_co_u32_e32 v5, vcc, s8, v5
	s_waitcnt vmcnt(0)
	v_addc_co_u32_e32 v6, vcc, v6, v4, vcc
	buffer_store_dword v5, off, s[36:39], 0 offset:108 ; 4-byte Folded Spill
	s_nop 0
	buffer_store_dword v6, off, s[36:39], 0 offset:112 ; 4-byte Folded Spill
	buffer_load_dword v5, off, s[36:39], 0 offset:124 ; 4-byte Folded Reload
	s_nop 0
	buffer_load_dword v6, off, s[36:39], 0 offset:128 ; 4-byte Folded Reload
	s_waitcnt vmcnt(1)
	v_add_co_u32_e32 v5, vcc, s8, v5
	s_waitcnt vmcnt(0)
	v_addc_co_u32_e32 v6, vcc, v6, v4, vcc
	buffer_store_dword v5, off, s[36:39], 0 offset:124 ; 4-byte Folded Spill
	s_nop 0
	buffer_store_dword v6, off, s[36:39], 0 offset:128 ; 4-byte Folded Spill
	buffer_load_dword v5, off, s[36:39], 0 offset:140 ; 4-byte Folded Reload
	s_nop 0
	buffer_load_dword v6, off, s[36:39], 0 offset:144 ; 4-byte Folded Reload
	s_waitcnt vmcnt(1)
	v_add_co_u32_e32 v5, vcc, s8, v5
	s_waitcnt vmcnt(0)
	v_addc_co_u32_e32 v6, vcc, v6, v4, vcc
	buffer_store_dword v5, off, s[36:39], 0 offset:140 ; 4-byte Folded Spill
	s_nop 0
	buffer_store_dword v6, off, s[36:39], 0 offset:144 ; 4-byte Folded Spill
	buffer_load_dword v5, off, s[36:39], 0 offset:156 ; 4-byte Folded Reload
	s_nop 0
	buffer_load_dword v6, off, s[36:39], 0 offset:160 ; 4-byte Folded Reload
	s_waitcnt vmcnt(1)
	v_add_co_u32_e32 v5, vcc, s8, v5
	s_waitcnt vmcnt(0)
	v_addc_co_u32_e32 v6, vcc, v6, v4, vcc
	buffer_store_dword v5, off, s[36:39], 0 offset:156 ; 4-byte Folded Spill
	s_nop 0
	buffer_store_dword v6, off, s[36:39], 0 offset:160 ; 4-byte Folded Spill
	buffer_load_dword v5, off, s[36:39], 0 offset:164 ; 4-byte Folded Reload
	s_waitcnt vmcnt(0)
	v_add_co_u32_e32 v5, vcc, s8, v5
	buffer_store_dword v5, off, s[36:39], 0 offset:164 ; 4-byte Folded Spill
	buffer_load_dword v5, off, s[36:39], 0 offset:168 ; 4-byte Folded Reload
	s_waitcnt vmcnt(0)
	v_addc_co_u32_e32 v5, vcc, v5, v4, vcc
	buffer_store_dword v5, off, s[36:39], 0 offset:168 ; 4-byte Folded Spill
	buffer_load_dword v5, off, s[36:39], 0 offset:172 ; 4-byte Folded Reload
	s_waitcnt vmcnt(0)
	v_add_co_u32_e32 v5, vcc, s8, v5
	buffer_store_dword v5, off, s[36:39], 0 offset:172 ; 4-byte Folded Spill
	buffer_load_dword v5, off, s[36:39], 0 offset:176 ; 4-byte Folded Reload
	s_waitcnt vmcnt(0)
	v_addc_co_u32_e32 v5, vcc, v5, v4, vcc
	;; [unrolled: 8-line block ×30, first 2 shown]
	buffer_store_dword v5, off, s[36:39], 0 offset:440 ; 4-byte Folded Spill
	v_mov_b32_e32 v4, s12
	v_mov_b32_e32 v5, s13
	v_cmp_ge_i64_e32 vcc, s[10:11], v[4:5]
	s_cbranch_vccnz .LBB36_131
.LBB36_89:                              ; =>This Inner Loop Header: Depth=1
	v_mov_b32_e32 v4, s12
	v_mov_b32_e32 v5, s13
	v_cmp_ge_i64_e32 vcc, s[24:25], v[4:5]
	buffer_load_dword v5, off, s[36:39], 0 offset:600 ; 4-byte Folded Reload
	v_mov_b32_e32 v4, s25
	s_and_b64 vcc, exec, vcc
                                        ; implicit-def: $vgpr6_vgpr7
                                        ; implicit-def: $vgpr8_vgpr9
                                        ; implicit-def: $vgpr12_vgpr13
                                        ; implicit-def: $vgpr10_vgpr11
                                        ; implicit-def: $vgpr26_vgpr27
	buffer_store_dword v22, off, s[36:39], 0 ; 4-byte Folded Spill
	s_nop 0
	buffer_store_dword v23, off, s[36:39], 0 offset:4 ; 4-byte Folded Spill
	s_waitcnt vmcnt(2)
	v_add_co_u32_e64 v16, s[0:1], s24, v5
	v_addc_co_u32_e64 v17, s[0:1], 0, v4, s[0:1]
	s_mov_b64 s[0:1], -1
                                        ; implicit-def: $vgpr4
	s_cbranch_vccz .LBB36_127
; %bb.90:                               ;   in Loop: Header=BB36_89 Depth=1
	s_load_dword s0, s[2:3], 0xc
	buffer_load_dword v4, off, s[36:39], 0 offset:336 ; 4-byte Folded Reload
	buffer_load_dword v5, off, s[36:39], 0 offset:444 ; 4-byte Folded Reload
	v_mov_b32_e32 v24, 0
	v_mov_b32_e32 v6, 0
	v_mov_b32_e32 v25, 0
	s_waitcnt lgkmcnt(0)
	s_and_b32 s0, s0, 0xffff
	v_mov_b32_e32 v7, 0
	s_waitcnt vmcnt(0)
	v_mad_u32_u24 v4, v4, s0, v5
	v_and_b32_e32 v8, 63, v4
	v_mov_b32_e32 v4, 0
	v_mov_b32_e32 v5, 0
	v_cmp_gt_u32_e32 vcc, 16, v8
	s_and_saveexec_b64 s[0:1], vcc
	s_cbranch_execz .LBB36_94
; %bb.91:                               ;   in Loop: Header=BB36_89 Depth=1
	v_add_co_u32_e32 v4, vcc, v16, v8
	v_addc_co_u32_e32 v5, vcc, 0, v17, vcc
	v_add_co_u32_e32 v8, vcc, 0xffffff01, v4
	v_addc_co_u32_e32 v9, vcc, -1, v5, vcc
	v_cmp_gt_i64_e32 vcc, s[12:13], v[8:9]
	v_mov_b32_e32 v4, 0
	v_mov_b32_e32 v6, 0
	;; [unrolled: 1-line block ×4, first 2 shown]
	s_and_saveexec_b64 s[16:17], vcc
	s_cbranch_execz .LBB36_93
; %bb.92:                               ;   in Loop: Header=BB36_89 Depth=1
	v_lshlrev_b64 v[4:5], 3, v[8:9]
	v_mov_b32_e32 v7, s23
	v_add_co_u32_e32 v6, vcc, s22, v4
	v_addc_co_u32_e32 v7, vcc, v7, v5, vcc
	v_mov_b32_e32 v8, s21
	v_add_co_u32_e32 v4, vcc, s20, v4
	v_addc_co_u32_e32 v5, vcc, v8, v5, vcc
	global_load_dwordx2 v[4:5], v[4:5], off
	s_nop 0
	global_load_dwordx2 v[6:7], v[6:7], off
.LBB36_93:                              ;   in Loop: Header=BB36_89 Depth=1
	s_or_b64 exec, exec, s[16:17]
.LBB36_94:                              ;   in Loop: Header=BB36_89 Depth=1
	s_or_b64 exec, exec, s[0:1]
	v_add_co_u32_e32 v8, vcc, 0xffffff01, v16
	v_addc_co_u32_e32 v9, vcc, -1, v17, vcc
	v_cmp_gt_i64_e32 vcc, s[12:13], v[8:9]
	v_mov_b32_e32 v20, 0
	v_mov_b32_e32 v21, 0
	s_and_saveexec_b64 s[0:1], vcc
	s_cbranch_execz .LBB36_96
; %bb.95:                               ;   in Loop: Header=BB36_89 Depth=1
	buffer_load_dword v8, off, s[36:39], 0 offset:12 ; 4-byte Folded Reload
	buffer_load_dword v9, off, s[36:39], 0 offset:8 ; 4-byte Folded Reload
	s_waitcnt vmcnt(1)
	v_add_co_u32_e32 v8, vcc, v8, v0
	s_waitcnt vmcnt(0)
	v_addc_co_u32_e32 v9, vcc, v9, v1, vcc
	global_load_dwordx2 v[24:25], v[8:9], off
	s_nop 0
	buffer_load_dword v8, off, s[36:39], 0 offset:16 ; 4-byte Folded Reload
	s_waitcnt vmcnt(0)
	v_add_co_u32_e32 v8, vcc, v8, v0
	v_addc_co_u32_e32 v9, vcc, v63, v1, vcc
	global_load_dwordx2 v[20:21], v[8:9], off
.LBB36_96:                              ;   in Loop: Header=BB36_89 Depth=1
	s_or_b64 exec, exec, s[0:1]
	v_add_co_u32_e32 v8, vcc, 0xffffff02, v16
	v_addc_co_u32_e32 v9, vcc, -1, v17, vcc
	v_cmp_gt_i64_e32 vcc, s[12:13], v[8:9]
	v_mov_b32_e32 v26, 0
	v_mov_b32_e32 v29, 0
	;; [unrolled: 1-line block ×6, first 2 shown]
	s_and_saveexec_b64 s[0:1], vcc
	s_cbranch_execz .LBB36_98
; %bb.97:                               ;   in Loop: Header=BB36_89 Depth=1
	buffer_load_dword v8, off, s[36:39], 0 offset:428 ; 4-byte Folded Reload
	buffer_load_dword v9, off, s[36:39], 0 offset:432 ; 4-byte Folded Reload
	s_waitcnt vmcnt(1)
	v_add_co_u32_e32 v8, vcc, v8, v0
	s_waitcnt vmcnt(0)
	v_addc_co_u32_e32 v9, vcc, v9, v1, vcc
	global_load_dwordx2 v[29:30], v[8:9], off
	s_nop 0
	buffer_load_dword v8, off, s[36:39], 0 offset:436 ; 4-byte Folded Reload
	buffer_load_dword v9, off, s[36:39], 0 offset:440 ; 4-byte Folded Reload
	s_waitcnt vmcnt(1)
	v_add_co_u32_e32 v8, vcc, v8, v0
	s_waitcnt vmcnt(0)
	v_addc_co_u32_e32 v9, vcc, v9, v1, vcc
	global_load_dwordx2 v[22:23], v[8:9], off
.LBB36_98:                              ;   in Loop: Header=BB36_89 Depth=1
	s_or_b64 exec, exec, s[0:1]
	v_add_co_u32_e32 v8, vcc, 0xffffff03, v16
	v_addc_co_u32_e32 v9, vcc, -1, v17, vcc
	v_cmp_gt_i64_e32 vcc, s[12:13], v[8:9]
	v_mov_b32_e32 v8, 0
	v_mov_b32_e32 v9, 0
	buffer_store_dword v8, off, s[36:39], 0 offset:456 ; 4-byte Folded Spill
	s_nop 0
	buffer_store_dword v9, off, s[36:39], 0 offset:460 ; 4-byte Folded Spill
	s_and_saveexec_b64 s[0:1], vcc
	s_cbranch_execz .LBB36_100
; %bb.99:                               ;   in Loop: Header=BB36_89 Depth=1
	buffer_load_dword v8, off, s[36:39], 0 offset:408 ; 4-byte Folded Reload
	buffer_load_dword v9, off, s[36:39], 0 offset:416 ; 4-byte Folded Reload
	s_waitcnt vmcnt(1)
	v_add_co_u32_e32 v8, vcc, v8, v0
	s_waitcnt vmcnt(0)
	v_addc_co_u32_e32 v9, vcc, v9, v1, vcc
	global_load_dwordx2 v[26:27], v[8:9], off
	s_nop 0
	buffer_load_dword v8, off, s[36:39], 0 offset:420 ; 4-byte Folded Reload
	buffer_load_dword v9, off, s[36:39], 0 offset:424 ; 4-byte Folded Reload
	s_waitcnt vmcnt(1)
	v_add_co_u32_e32 v8, vcc, v8, v0
	s_waitcnt vmcnt(0)
	v_addc_co_u32_e32 v9, vcc, v9, v1, vcc
	global_load_dwordx2 v[8:9], v[8:9], off
	s_waitcnt vmcnt(0)
	buffer_store_dword v8, off, s[36:39], 0 offset:456 ; 4-byte Folded Spill
	s_nop 0
	buffer_store_dword v9, off, s[36:39], 0 offset:460 ; 4-byte Folded Spill
.LBB36_100:                             ;   in Loop: Header=BB36_89 Depth=1
	s_or_b64 exec, exec, s[0:1]
	v_add_co_u32_e32 v8, vcc, 0xffffff04, v16
	v_addc_co_u32_e32 v9, vcc, -1, v17, vcc
	v_cmp_gt_i64_e32 vcc, s[12:13], v[8:9]
	v_mov_b32_e32 v8, 0
	v_mov_b32_e32 v9, 0
	buffer_store_dword v8, off, s[36:39], 0 offset:448 ; 4-byte Folded Spill
	s_nop 0
	buffer_store_dword v9, off, s[36:39], 0 offset:452 ; 4-byte Folded Spill
	v_mov_b32_e32 v31, 0
	v_mov_b32_e32 v8, 0
	v_mov_b32_e32 v32, 0
	v_mov_b32_e32 v9, 0
	buffer_store_dword v8, off, s[36:39], 0 offset:472 ; 4-byte Folded Spill
	s_nop 0
	buffer_store_dword v9, off, s[36:39], 0 offset:476 ; 4-byte Folded Spill
	s_and_saveexec_b64 s[0:1], vcc
	s_cbranch_execz .LBB36_102
; %bb.101:                              ;   in Loop: Header=BB36_89 Depth=1
	buffer_load_dword v8, off, s[36:39], 0 offset:380 ; 4-byte Folded Reload
	buffer_load_dword v9, off, s[36:39], 0 offset:388 ; 4-byte Folded Reload
	s_waitcnt vmcnt(1)
	v_add_co_u32_e32 v8, vcc, v8, v0
	s_waitcnt vmcnt(0)
	v_addc_co_u32_e32 v9, vcc, v9, v1, vcc
	global_load_dwordx2 v[8:9], v[8:9], off
	s_waitcnt vmcnt(0)
	buffer_store_dword v8, off, s[36:39], 0 offset:448 ; 4-byte Folded Spill
	s_nop 0
	buffer_store_dword v9, off, s[36:39], 0 offset:452 ; 4-byte Folded Spill
	buffer_load_dword v8, off, s[36:39], 0 offset:396 ; 4-byte Folded Reload
	s_nop 0
	buffer_load_dword v9, off, s[36:39], 0 offset:404 ; 4-byte Folded Reload
	s_waitcnt vmcnt(1)
	v_add_co_u32_e32 v8, vcc, v8, v0
	s_waitcnt vmcnt(0)
	v_addc_co_u32_e32 v9, vcc, v9, v1, vcc
	global_load_dwordx2 v[8:9], v[8:9], off
	s_waitcnt vmcnt(0)
	buffer_store_dword v8, off, s[36:39], 0 offset:472 ; 4-byte Folded Spill
	s_nop 0
	buffer_store_dword v9, off, s[36:39], 0 offset:476 ; 4-byte Folded Spill
.LBB36_102:                             ;   in Loop: Header=BB36_89 Depth=1
	s_or_b64 exec, exec, s[0:1]
	v_add_co_u32_e32 v8, vcc, 0xffffff05, v16
	v_addc_co_u32_e32 v9, vcc, -1, v17, vcc
	v_cmp_gt_i64_e32 vcc, s[12:13], v[8:9]
	v_mov_b32_e32 v8, 0
	v_mov_b32_e32 v9, 0
	buffer_store_dword v8, off, s[36:39], 0 offset:488 ; 4-byte Folded Spill
	s_nop 0
	buffer_store_dword v9, off, s[36:39], 0 offset:492 ; 4-byte Folded Spill
	s_and_saveexec_b64 s[0:1], vcc
	s_cbranch_execz .LBB36_104
; %bb.103:                              ;   in Loop: Header=BB36_89 Depth=1
	buffer_load_dword v8, off, s[36:39], 0 offset:348 ; 4-byte Folded Reload
	buffer_load_dword v9, off, s[36:39], 0 offset:356 ; 4-byte Folded Reload
	s_waitcnt vmcnt(1)
	v_add_co_u32_e32 v8, vcc, v8, v0
	s_waitcnt vmcnt(0)
	v_addc_co_u32_e32 v9, vcc, v9, v1, vcc
	global_load_dwordx2 v[31:32], v[8:9], off
	s_nop 0
	buffer_load_dword v8, off, s[36:39], 0 offset:364 ; 4-byte Folded Reload
	buffer_load_dword v9, off, s[36:39], 0 offset:372 ; 4-byte Folded Reload
	s_waitcnt vmcnt(1)
	v_add_co_u32_e32 v8, vcc, v8, v0
	s_waitcnt vmcnt(0)
	v_addc_co_u32_e32 v9, vcc, v9, v1, vcc
	global_load_dwordx2 v[8:9], v[8:9], off
	s_waitcnt vmcnt(0)
	buffer_store_dword v8, off, s[36:39], 0 offset:488 ; 4-byte Folded Spill
	s_nop 0
	buffer_store_dword v9, off, s[36:39], 0 offset:492 ; 4-byte Folded Spill
.LBB36_104:                             ;   in Loop: Header=BB36_89 Depth=1
	s_or_b64 exec, exec, s[0:1]
	v_add_co_u32_e32 v8, vcc, 0xffffff06, v16
	v_addc_co_u32_e32 v9, vcc, -1, v17, vcc
	v_cmp_gt_i64_e32 vcc, s[12:13], v[8:9]
	v_mov_b32_e32 v39, 0
	v_mov_b32_e32 v37, 0
	;; [unrolled: 1-line block ×6, first 2 shown]
	buffer_store_dword v8, off, s[36:39], 0 offset:520 ; 4-byte Folded Spill
	s_nop 0
	buffer_store_dword v9, off, s[36:39], 0 offset:524 ; 4-byte Folded Spill
	s_and_saveexec_b64 s[0:1], vcc
	s_cbranch_execz .LBB36_106
; %bb.105:                              ;   in Loop: Header=BB36_89 Depth=1
	buffer_load_dword v8, off, s[36:39], 0 offset:324 ; 4-byte Folded Reload
	buffer_load_dword v9, off, s[36:39], 0 offset:328 ; 4-byte Folded Reload
	s_waitcnt vmcnt(1)
	v_add_co_u32_e32 v8, vcc, v8, v0
	s_waitcnt vmcnt(0)
	v_addc_co_u32_e32 v9, vcc, v9, v1, vcc
	global_load_dwordx2 v[37:38], v[8:9], off
	s_nop 0
	buffer_load_dword v8, off, s[36:39], 0 offset:332 ; 4-byte Folded Reload
	buffer_load_dword v9, off, s[36:39], 0 offset:340 ; 4-byte Folded Reload
	s_waitcnt vmcnt(1)
	v_add_co_u32_e32 v8, vcc, v8, v0
	s_waitcnt vmcnt(0)
	v_addc_co_u32_e32 v9, vcc, v9, v1, vcc
	global_load_dwordx2 v[8:9], v[8:9], off
	s_waitcnt vmcnt(0)
	buffer_store_dword v8, off, s[36:39], 0 offset:520 ; 4-byte Folded Spill
	s_nop 0
	buffer_store_dword v9, off, s[36:39], 0 offset:524 ; 4-byte Folded Spill
.LBB36_106:                             ;   in Loop: Header=BB36_89 Depth=1
	s_or_b64 exec, exec, s[0:1]
	v_add_co_u32_e32 v8, vcc, 0xffffff07, v16
	v_addc_co_u32_e32 v9, vcc, -1, v17, vcc
	v_cmp_gt_i64_e32 vcc, s[12:13], v[8:9]
	v_mov_b32_e32 v8, 0
	v_mov_b32_e32 v9, 0
	buffer_store_dword v8, off, s[36:39], 0 offset:528 ; 4-byte Folded Spill
	s_nop 0
	buffer_store_dword v9, off, s[36:39], 0 offset:532 ; 4-byte Folded Spill
	s_and_saveexec_b64 s[0:1], vcc
	s_cbranch_execz .LBB36_108
; %bb.107:                              ;   in Loop: Header=BB36_89 Depth=1
	buffer_load_dword v8, off, s[36:39], 0 offset:308 ; 4-byte Folded Reload
	buffer_load_dword v9, off, s[36:39], 0 offset:312 ; 4-byte Folded Reload
	s_waitcnt vmcnt(1)
	v_add_co_u32_e32 v8, vcc, v8, v0
	s_waitcnt vmcnt(0)
	v_addc_co_u32_e32 v9, vcc, v9, v1, vcc
	global_load_dwordx2 v[39:40], v[8:9], off
	s_nop 0
	buffer_load_dword v8, off, s[36:39], 0 offset:316 ; 4-byte Folded Reload
	buffer_load_dword v9, off, s[36:39], 0 offset:320 ; 4-byte Folded Reload
	s_waitcnt vmcnt(1)
	v_add_co_u32_e32 v8, vcc, v8, v0
	s_waitcnt vmcnt(0)
	v_addc_co_u32_e32 v9, vcc, v9, v1, vcc
	global_load_dwordx2 v[8:9], v[8:9], off
	s_waitcnt vmcnt(0)
	buffer_store_dword v8, off, s[36:39], 0 offset:528 ; 4-byte Folded Spill
	s_nop 0
	buffer_store_dword v9, off, s[36:39], 0 offset:532 ; 4-byte Folded Spill
.LBB36_108:                             ;   in Loop: Header=BB36_89 Depth=1
	s_or_b64 exec, exec, s[0:1]
	v_add_co_u32_e32 v8, vcc, 0xffffff08, v16
	v_addc_co_u32_e32 v9, vcc, -1, v17, vcc
	v_cmp_gt_i64_e32 vcc, s[12:13], v[8:9]
	v_mov_b32_e32 v18, 0
	v_mov_b32_e32 v10, 0
	;; [unrolled: 1-line block ×6, first 2 shown]
	buffer_store_dword v8, off, s[36:39], 0 offset:544 ; 4-byte Folded Spill
	s_nop 0
	buffer_store_dword v9, off, s[36:39], 0 offset:548 ; 4-byte Folded Spill
	s_and_saveexec_b64 s[0:1], vcc
	s_cbranch_execz .LBB36_110
; %bb.109:                              ;   in Loop: Header=BB36_89 Depth=1
	buffer_load_dword v8, off, s[36:39], 0 offset:292 ; 4-byte Folded Reload
	buffer_load_dword v9, off, s[36:39], 0 offset:296 ; 4-byte Folded Reload
	s_waitcnt vmcnt(1)
	v_add_co_u32_e32 v8, vcc, v8, v0
	s_waitcnt vmcnt(0)
	v_addc_co_u32_e32 v9, vcc, v9, v1, vcc
	global_load_dwordx2 v[10:11], v[8:9], off
	s_nop 0
	buffer_load_dword v8, off, s[36:39], 0 offset:300 ; 4-byte Folded Reload
	buffer_load_dword v9, off, s[36:39], 0 offset:304 ; 4-byte Folded Reload
	s_waitcnt vmcnt(1)
	v_add_co_u32_e32 v8, vcc, v8, v0
	s_waitcnt vmcnt(0)
	v_addc_co_u32_e32 v9, vcc, v9, v1, vcc
	global_load_dwordx2 v[8:9], v[8:9], off
	s_waitcnt vmcnt(0)
	buffer_store_dword v8, off, s[36:39], 0 offset:544 ; 4-byte Folded Spill
	s_nop 0
	buffer_store_dword v9, off, s[36:39], 0 offset:548 ; 4-byte Folded Spill
.LBB36_110:                             ;   in Loop: Header=BB36_89 Depth=1
	s_or_b64 exec, exec, s[0:1]
	v_add_co_u32_e32 v8, vcc, 0xffffff09, v16
	v_addc_co_u32_e32 v9, vcc, -1, v17, vcc
	v_cmp_gt_i64_e32 vcc, s[12:13], v[8:9]
	v_mov_b32_e32 v8, 0
	v_mov_b32_e32 v9, 0
	buffer_store_dword v8, off, s[36:39], 0 offset:504 ; 4-byte Folded Spill
	s_nop 0
	buffer_store_dword v9, off, s[36:39], 0 offset:508 ; 4-byte Folded Spill
	s_and_saveexec_b64 s[0:1], vcc
	s_cbranch_execz .LBB36_112
; %bb.111:                              ;   in Loop: Header=BB36_89 Depth=1
	buffer_load_dword v8, off, s[36:39], 0 offset:276 ; 4-byte Folded Reload
	buffer_load_dword v9, off, s[36:39], 0 offset:280 ; 4-byte Folded Reload
	s_waitcnt vmcnt(1)
	v_add_co_u32_e32 v8, vcc, v8, v0
	s_waitcnt vmcnt(0)
	v_addc_co_u32_e32 v9, vcc, v9, v1, vcc
	global_load_dwordx2 v[18:19], v[8:9], off
	s_nop 0
	buffer_load_dword v8, off, s[36:39], 0 offset:284 ; 4-byte Folded Reload
	buffer_load_dword v9, off, s[36:39], 0 offset:288 ; 4-byte Folded Reload
	s_waitcnt vmcnt(1)
	v_add_co_u32_e32 v8, vcc, v8, v0
	s_waitcnt vmcnt(0)
	v_addc_co_u32_e32 v9, vcc, v9, v1, vcc
	global_load_dwordx2 v[8:9], v[8:9], off
	s_waitcnt vmcnt(0)
	buffer_store_dword v8, off, s[36:39], 0 offset:504 ; 4-byte Folded Spill
	s_nop 0
	buffer_store_dword v9, off, s[36:39], 0 offset:508 ; 4-byte Folded Spill
.LBB36_112:                             ;   in Loop: Header=BB36_89 Depth=1
	s_or_b64 exec, exec, s[0:1]
	v_add_co_u32_e32 v8, vcc, 0xffffff0a, v16
	v_addc_co_u32_e32 v9, vcc, -1, v17, vcc
	v_cmp_gt_i64_e32 vcc, s[12:13], v[8:9]
	v_mov_b32_e32 v8, 0
	v_mov_b32_e32 v9, 0
	buffer_store_dword v8, off, s[36:39], 0 offset:464 ; 4-byte Folded Spill
	s_nop 0
	buffer_store_dword v9, off, s[36:39], 0 offset:468 ; 4-byte Folded Spill
	v_mov_b32_e32 v8, 0
	v_mov_b32_e32 v9, 0
	buffer_store_dword v8, off, s[36:39], 0 offset:480 ; 4-byte Folded Spill
	s_nop 0
	buffer_store_dword v9, off, s[36:39], 0 offset:484 ; 4-byte Folded Spill
	;; [unrolled: 5-line block ×3, first 2 shown]
	s_and_saveexec_b64 s[0:1], vcc
	s_cbranch_execz .LBB36_114
; %bb.113:                              ;   in Loop: Header=BB36_89 Depth=1
	buffer_load_dword v8, off, s[36:39], 0 offset:260 ; 4-byte Folded Reload
	buffer_load_dword v9, off, s[36:39], 0 offset:264 ; 4-byte Folded Reload
	s_waitcnt vmcnt(1)
	v_add_co_u32_e32 v8, vcc, v8, v0
	s_waitcnt vmcnt(0)
	v_addc_co_u32_e32 v9, vcc, v9, v1, vcc
	global_load_dwordx2 v[8:9], v[8:9], off
	s_waitcnt vmcnt(0)
	buffer_store_dword v8, off, s[36:39], 0 offset:480 ; 4-byte Folded Spill
	s_nop 0
	buffer_store_dword v9, off, s[36:39], 0 offset:484 ; 4-byte Folded Spill
	buffer_load_dword v8, off, s[36:39], 0 offset:268 ; 4-byte Folded Reload
	s_nop 0
	buffer_load_dword v9, off, s[36:39], 0 offset:272 ; 4-byte Folded Reload
	s_waitcnt vmcnt(1)
	v_add_co_u32_e32 v8, vcc, v8, v0
	s_waitcnt vmcnt(0)
	v_addc_co_u32_e32 v9, vcc, v9, v1, vcc
	global_load_dwordx2 v[8:9], v[8:9], off
	s_waitcnt vmcnt(0)
	buffer_store_dword v8, off, s[36:39], 0 offset:536 ; 4-byte Folded Spill
	s_nop 0
	buffer_store_dword v9, off, s[36:39], 0 offset:540 ; 4-byte Folded Spill
.LBB36_114:                             ;   in Loop: Header=BB36_89 Depth=1
	s_or_b64 exec, exec, s[0:1]
	v_add_co_u32_e32 v8, vcc, 0xffffff0b, v16
	v_addc_co_u32_e32 v9, vcc, -1, v17, vcc
	v_cmp_gt_i64_e32 vcc, s[12:13], v[8:9]
	v_mov_b32_e32 v8, 0
	v_mov_b32_e32 v9, 0
	buffer_store_dword v8, off, s[36:39], 0 offset:552 ; 4-byte Folded Spill
	s_nop 0
	buffer_store_dword v9, off, s[36:39], 0 offset:556 ; 4-byte Folded Spill
	s_and_saveexec_b64 s[0:1], vcc
	s_cbranch_execz .LBB36_116
; %bb.115:                              ;   in Loop: Header=BB36_89 Depth=1
	buffer_load_dword v8, off, s[36:39], 0 offset:244 ; 4-byte Folded Reload
	buffer_load_dword v9, off, s[36:39], 0 offset:248 ; 4-byte Folded Reload
	s_waitcnt vmcnt(1)
	v_add_co_u32_e32 v8, vcc, v8, v0
	s_waitcnt vmcnt(0)
	v_addc_co_u32_e32 v9, vcc, v9, v1, vcc
	global_load_dwordx2 v[8:9], v[8:9], off
	s_waitcnt vmcnt(0)
	buffer_store_dword v8, off, s[36:39], 0 offset:464 ; 4-byte Folded Spill
	s_nop 0
	buffer_store_dword v9, off, s[36:39], 0 offset:468 ; 4-byte Folded Spill
	buffer_load_dword v8, off, s[36:39], 0 offset:252 ; 4-byte Folded Reload
	s_nop 0
	buffer_load_dword v9, off, s[36:39], 0 offset:256 ; 4-byte Folded Reload
	s_waitcnt vmcnt(1)
	v_add_co_u32_e32 v8, vcc, v8, v0
	s_waitcnt vmcnt(0)
	v_addc_co_u32_e32 v9, vcc, v9, v1, vcc
	global_load_dwordx2 v[8:9], v[8:9], off
	s_waitcnt vmcnt(0)
	buffer_store_dword v8, off, s[36:39], 0 offset:552 ; 4-byte Folded Spill
	s_nop 0
	buffer_store_dword v9, off, s[36:39], 0 offset:556 ; 4-byte Folded Spill
.LBB36_116:                             ;   in Loop: Header=BB36_89 Depth=1
	s_or_b64 exec, exec, s[0:1]
	v_add_co_u32_e32 v8, vcc, 0xffffff0c, v16
	v_addc_co_u32_e32 v9, vcc, -1, v17, vcc
	v_cmp_gt_i64_e32 vcc, s[12:13], v[8:9]
	v_mov_b32_e32 v8, 0
	v_mov_b32_e32 v9, 0
	buffer_store_dword v8, off, s[36:39], 0 offset:496 ; 4-byte Folded Spill
	s_nop 0
	buffer_store_dword v9, off, s[36:39], 0 offset:500 ; 4-byte Folded Spill
	v_mov_b32_e32 v8, 0
	v_mov_b32_e32 v9, 0
	buffer_store_dword v8, off, s[36:39], 0 offset:512 ; 4-byte Folded Spill
	s_nop 0
	buffer_store_dword v9, off, s[36:39], 0 offset:516 ; 4-byte Folded Spill
	;; [unrolled: 5-line block ×3, first 2 shown]
	s_and_saveexec_b64 s[0:1], vcc
	s_cbranch_execz .LBB36_118
; %bb.117:                              ;   in Loop: Header=BB36_89 Depth=1
	buffer_load_dword v8, off, s[36:39], 0 offset:228 ; 4-byte Folded Reload
	buffer_load_dword v9, off, s[36:39], 0 offset:232 ; 4-byte Folded Reload
	s_waitcnt vmcnt(1)
	v_add_co_u32_e32 v8, vcc, v8, v0
	s_waitcnt vmcnt(0)
	v_addc_co_u32_e32 v9, vcc, v9, v1, vcc
	global_load_dwordx2 v[8:9], v[8:9], off
	s_waitcnt vmcnt(0)
	buffer_store_dword v8, off, s[36:39], 0 offset:512 ; 4-byte Folded Spill
	s_nop 0
	buffer_store_dword v9, off, s[36:39], 0 offset:516 ; 4-byte Folded Spill
	buffer_load_dword v8, off, s[36:39], 0 offset:236 ; 4-byte Folded Reload
	s_nop 0
	buffer_load_dword v9, off, s[36:39], 0 offset:240 ; 4-byte Folded Reload
	s_waitcnt vmcnt(1)
	v_add_co_u32_e32 v8, vcc, v8, v0
	s_waitcnt vmcnt(0)
	v_addc_co_u32_e32 v9, vcc, v9, v1, vcc
	global_load_dwordx2 v[8:9], v[8:9], off
	s_waitcnt vmcnt(0)
	buffer_store_dword v8, off, s[36:39], 0 offset:560 ; 4-byte Folded Spill
	s_nop 0
	buffer_store_dword v9, off, s[36:39], 0 offset:564 ; 4-byte Folded Spill
.LBB36_118:                             ;   in Loop: Header=BB36_89 Depth=1
	s_or_b64 exec, exec, s[0:1]
	v_add_co_u32_e32 v8, vcc, 0xffffff0d, v16
	v_addc_co_u32_e32 v9, vcc, -1, v17, vcc
	v_cmp_gt_i64_e32 vcc, s[12:13], v[8:9]
	v_mov_b32_e32 v8, 0
	v_mov_b32_e32 v9, 0
	buffer_store_dword v8, off, s[36:39], 0 offset:576 ; 4-byte Folded Spill
	s_nop 0
	buffer_store_dword v9, off, s[36:39], 0 offset:580 ; 4-byte Folded Spill
	s_and_saveexec_b64 s[0:1], vcc
	s_cbranch_execz .LBB36_120
; %bb.119:                              ;   in Loop: Header=BB36_89 Depth=1
	buffer_load_dword v8, off, s[36:39], 0 offset:212 ; 4-byte Folded Reload
	buffer_load_dword v9, off, s[36:39], 0 offset:216 ; 4-byte Folded Reload
	s_waitcnt vmcnt(1)
	v_add_co_u32_e32 v8, vcc, v8, v0
	s_waitcnt vmcnt(0)
	v_addc_co_u32_e32 v9, vcc, v9, v1, vcc
	global_load_dwordx2 v[8:9], v[8:9], off
	s_waitcnt vmcnt(0)
	buffer_store_dword v8, off, s[36:39], 0 offset:496 ; 4-byte Folded Spill
	s_nop 0
	buffer_store_dword v9, off, s[36:39], 0 offset:500 ; 4-byte Folded Spill
	buffer_load_dword v8, off, s[36:39], 0 offset:220 ; 4-byte Folded Reload
	s_nop 0
	buffer_load_dword v9, off, s[36:39], 0 offset:224 ; 4-byte Folded Reload
	s_waitcnt vmcnt(1)
	v_add_co_u32_e32 v8, vcc, v8, v0
	s_waitcnt vmcnt(0)
	v_addc_co_u32_e32 v9, vcc, v9, v1, vcc
	global_load_dwordx2 v[8:9], v[8:9], off
	s_waitcnt vmcnt(0)
	buffer_store_dword v8, off, s[36:39], 0 offset:576 ; 4-byte Folded Spill
	s_nop 0
	buffer_store_dword v9, off, s[36:39], 0 offset:580 ; 4-byte Folded Spill
.LBB36_120:                             ;   in Loop: Header=BB36_89 Depth=1
	s_or_b64 exec, exec, s[0:1]
	v_add_co_u32_e32 v8, vcc, 0xffffff0e, v16
	v_addc_co_u32_e32 v9, vcc, -1, v17, vcc
	v_cmp_gt_i64_e32 vcc, s[12:13], v[8:9]
	v_mov_b32_e32 v8, 0
	v_mov_b32_e32 v9, 0
	buffer_store_dword v8, off, s[36:39], 0 offset:568 ; 4-byte Folded Spill
	s_nop 0
	buffer_store_dword v9, off, s[36:39], 0 offset:572 ; 4-byte Folded Spill
	v_mov_b32_e32 v14, 0
	v_mov_b32_e32 v8, 0
	v_mov_b32_e32 v15, 0
	v_mov_b32_e32 v9, 0
	buffer_store_dword v8, off, s[36:39], 0 offset:584 ; 4-byte Folded Spill
	s_nop 0
	buffer_store_dword v9, off, s[36:39], 0 offset:588 ; 4-byte Folded Spill
	s_and_saveexec_b64 s[0:1], vcc
	s_cbranch_execz .LBB36_122
; %bb.121:                              ;   in Loop: Header=BB36_89 Depth=1
	buffer_load_dword v8, off, s[36:39], 0 offset:196 ; 4-byte Folded Reload
	buffer_load_dword v9, off, s[36:39], 0 offset:200 ; 4-byte Folded Reload
	s_waitcnt vmcnt(1)
	v_add_co_u32_e32 v8, vcc, v8, v0
	s_waitcnt vmcnt(0)
	v_addc_co_u32_e32 v9, vcc, v9, v1, vcc
	global_load_dwordx2 v[14:15], v[8:9], off
	s_nop 0
	buffer_load_dword v8, off, s[36:39], 0 offset:204 ; 4-byte Folded Reload
	buffer_load_dword v9, off, s[36:39], 0 offset:208 ; 4-byte Folded Reload
	s_waitcnt vmcnt(1)
	v_add_co_u32_e32 v8, vcc, v8, v0
	s_waitcnt vmcnt(0)
	v_addc_co_u32_e32 v9, vcc, v9, v1, vcc
	global_load_dwordx2 v[8:9], v[8:9], off
	s_waitcnt vmcnt(0)
	buffer_store_dword v8, off, s[36:39], 0 offset:584 ; 4-byte Folded Spill
	s_nop 0
	buffer_store_dword v9, off, s[36:39], 0 offset:588 ; 4-byte Folded Spill
.LBB36_122:                             ;   in Loop: Header=BB36_89 Depth=1
	s_or_b64 exec, exec, s[0:1]
	v_add_co_u32_e32 v8, vcc, 0xffffff0f, v16
	v_addc_co_u32_e32 v9, vcc, -1, v17, vcc
	v_cmp_gt_i64_e32 vcc, s[12:13], v[8:9]
	v_mov_b32_e32 v8, 0
	v_mov_b32_e32 v9, 0
	buffer_store_dword v8, off, s[36:39], 0 offset:592 ; 4-byte Folded Spill
	s_nop 0
	buffer_store_dword v9, off, s[36:39], 0 offset:596 ; 4-byte Folded Spill
	s_and_saveexec_b64 s[0:1], vcc
	s_cbranch_execz .LBB36_124
; %bb.123:                              ;   in Loop: Header=BB36_89 Depth=1
	buffer_load_dword v8, off, s[36:39], 0 offset:180 ; 4-byte Folded Reload
	buffer_load_dword v9, off, s[36:39], 0 offset:184 ; 4-byte Folded Reload
	s_waitcnt vmcnt(1)
	v_add_co_u32_e32 v8, vcc, v8, v0
	s_waitcnt vmcnt(0)
	v_addc_co_u32_e32 v9, vcc, v9, v1, vcc
	global_load_dwordx2 v[8:9], v[8:9], off
	s_waitcnt vmcnt(0)
	buffer_store_dword v8, off, s[36:39], 0 offset:568 ; 4-byte Folded Spill
	s_nop 0
	buffer_store_dword v9, off, s[36:39], 0 offset:572 ; 4-byte Folded Spill
	buffer_load_dword v8, off, s[36:39], 0 offset:188 ; 4-byte Folded Reload
	s_nop 0
	buffer_load_dword v9, off, s[36:39], 0 offset:192 ; 4-byte Folded Reload
	s_waitcnt vmcnt(1)
	v_add_co_u32_e32 v8, vcc, v8, v0
	s_waitcnt vmcnt(0)
	v_addc_co_u32_e32 v9, vcc, v9, v1, vcc
	global_load_dwordx2 v[8:9], v[8:9], off
	s_waitcnt vmcnt(0)
	buffer_store_dword v8, off, s[36:39], 0 offset:592 ; 4-byte Folded Spill
	s_nop 0
	buffer_store_dword v9, off, s[36:39], 0 offset:596 ; 4-byte Folded Spill
.LBB36_124:                             ;   in Loop: Header=BB36_89 Depth=1
	s_or_b64 exec, exec, s[0:1]
	v_add_co_u32_e32 v8, vcc, 0xffffff10, v16
	v_addc_co_u32_e32 v9, vcc, -1, v17, vcc
	v_cmp_gt_i64_e32 vcc, s[12:13], v[8:9]
	v_mov_b32_e32 v8, 0
	v_mov_b32_e32 v12, 0
	v_mov_b32_e32 v9, 0
	v_mov_b32_e32 v13, 0
	buffer_store_dword v10, off, s[36:39], 0 offset:612 ; 4-byte Folded Spill
	s_nop 0
	buffer_store_dword v11, off, s[36:39], 0 offset:616 ; 4-byte Folded Spill
	buffer_store_dword v18, off, s[36:39], 0 offset:604 ; 4-byte Folded Spill
	s_nop 0
	buffer_store_dword v19, off, s[36:39], 0 offset:608 ; 4-byte Folded Spill
	s_and_saveexec_b64 s[0:1], vcc
	s_cbranch_execz .LBB36_126
; %bb.125:                              ;   in Loop: Header=BB36_89 Depth=1
	buffer_load_dword v8, off, s[36:39], 0 offset:164 ; 4-byte Folded Reload
	buffer_load_dword v9, off, s[36:39], 0 offset:168 ; 4-byte Folded Reload
	;; [unrolled: 1-line block ×4, first 2 shown]
	s_waitcnt vmcnt(3)
	v_add_co_u32_e32 v8, vcc, v8, v0
	s_waitcnt vmcnt(2)
	v_addc_co_u32_e32 v9, vcc, v9, v1, vcc
	s_waitcnt vmcnt(1)
	v_add_co_u32_e32 v12, vcc, v12, v0
	s_waitcnt vmcnt(0)
	v_addc_co_u32_e32 v13, vcc, v13, v1, vcc
	global_load_dwordx2 v[8:9], v[8:9], off
	s_nop 0
	global_load_dwordx2 v[12:13], v[12:13], off
.LBB36_126:                             ;   in Loop: Header=BB36_89 Depth=1
	s_or_b64 exec, exec, s[0:1]
	buffer_load_dword v10, off, s[36:39], 0 offset:456 ; 4-byte Folded Reload
	buffer_load_dword v11, off, s[36:39], 0 offset:460 ; 4-byte Folded Reload
	s_waitcnt vmcnt(45)
	ds_bpermute_b32 v18, v28, v4
	ds_bpermute_b32 v19, v28, v5
	v_mov_b32_e32 v33, v35
	v_mov_b32_e32 v34, v36
	s_mov_b64 s[0:1], 0
	s_waitcnt vmcnt(44) lgkmcnt(0)
	v_add_f64 v[18:19], v[20:21], -v[18:19]
	ds_bpermute_b32 v20, v28, v4 offset:4
	ds_bpermute_b32 v21, v28, v5 offset:4
	s_waitcnt lgkmcnt(0)
	v_add_f64 v[20:21], v[22:23], -v[20:21]
	v_mul_f64 v[18:19], v[24:25], v[18:19]
	ds_bpermute_b32 v22, v28, v6
	ds_bpermute_b32 v23, v28, v7
	v_mul_f64 v[20:21], v[29:30], v[20:21]
	s_waitcnt lgkmcnt(0)
	v_fma_f64 v[18:19], v[18:19], v[22:23], v[35:36]
	ds_bpermute_b32 v22, v28, v6 offset:4
	ds_bpermute_b32 v23, v28, v7 offset:4
	s_waitcnt lgkmcnt(0)
	v_fma_f64 v[18:19], v[20:21], v[22:23], v[18:19]
	ds_bpermute_b32 v20, v28, v4 offset:8
	ds_bpermute_b32 v21, v28, v5 offset:8
	;; [unrolled: 1-line block ×4, first 2 shown]
	s_waitcnt vmcnt(0) lgkmcnt(2)
	v_add_f64 v[20:21], v[10:11], -v[20:21]
	buffer_load_dword v10, off, s[36:39], 0 offset:472 ; 4-byte Folded Reload
	buffer_load_dword v11, off, s[36:39], 0 offset:476 ; 4-byte Folded Reload
	;; [unrolled: 1-line block ×4, first 2 shown]
	v_mul_f64 v[20:21], v[26:27], v[20:21]
	s_waitcnt lgkmcnt(0)
	v_fma_f64 v[18:19], v[20:21], v[22:23], v[18:19]
	ds_bpermute_b32 v20, v28, v4 offset:12
	ds_bpermute_b32 v21, v28, v5 offset:12
	;; [unrolled: 1-line block ×4, first 2 shown]
	s_waitcnt vmcnt(2) lgkmcnt(2)
	v_add_f64 v[20:21], v[10:11], -v[20:21]
	buffer_load_dword v10, off, s[36:39], 0 ; 4-byte Folded Reload
	buffer_load_dword v11, off, s[36:39], 0 offset:4 ; 4-byte Folded Reload
	s_waitcnt vmcnt(2)
	v_mul_f64 v[20:21], v[35:36], v[20:21]
	s_waitcnt lgkmcnt(0)
	v_fma_f64 v[18:19], v[20:21], v[22:23], v[18:19]
	ds_bpermute_b32 v22, v28, v4 offset:16
	ds_bpermute_b32 v23, v28, v5 offset:16
	s_waitcnt vmcnt(0)
	v_add_f64 v[20:21], v[10:11], v[24:25]
	buffer_load_dword v24, off, s[36:39], 0 offset:488 ; 4-byte Folded Reload
	buffer_load_dword v25, off, s[36:39], 0 offset:492 ; 4-byte Folded Reload
	v_add_f64 v[20:21], v[20:21], v[29:30]
	v_add_f64 v[20:21], v[20:21], v[26:27]
	buffer_load_dword v26, off, s[36:39], 0 offset:520 ; 4-byte Folded Reload
	buffer_load_dword v27, off, s[36:39], 0 offset:524 ; 4-byte Folded Reload
	buffer_load_dword v29, off, s[36:39], 0 offset:528 ; 4-byte Folded Reload
	buffer_load_dword v30, off, s[36:39], 0 offset:532 ; 4-byte Folded Reload
	v_add_f64 v[20:21], v[20:21], v[35:36]
	v_mov_b32_e32 v36, v34
	v_mov_b32_e32 v35, v33
	buffer_load_dword v33, off, s[36:39], 0 offset:544 ; 4-byte Folded Reload
	buffer_load_dword v34, off, s[36:39], 0 offset:548 ; 4-byte Folded Reload
	v_add_f64 v[20:21], v[20:21], v[31:32]
	v_add_f64 v[20:21], v[20:21], v[37:38]
	;; [unrolled: 1-line block ×3, first 2 shown]
	s_waitcnt vmcnt(6) lgkmcnt(0)
	v_add_f64 v[22:23], v[24:25], -v[22:23]
	ds_bpermute_b32 v24, v28, v4 offset:20
	ds_bpermute_b32 v25, v28, v5 offset:20
	v_mul_f64 v[22:23], v[31:32], v[22:23]
	ds_bpermute_b32 v31, v28, v4 offset:28
	ds_bpermute_b32 v32, v28, v5 offset:28
	s_waitcnt vmcnt(4) lgkmcnt(2)
	v_add_f64 v[24:25], v[26:27], -v[24:25]
	ds_bpermute_b32 v26, v28, v4 offset:24
	ds_bpermute_b32 v27, v28, v5 offset:24
	s_waitcnt vmcnt(2) lgkmcnt(0)
	v_add_f64 v[26:27], v[29:30], -v[26:27]
	ds_bpermute_b32 v29, v28, v6 offset:16
	ds_bpermute_b32 v30, v28, v7 offset:16
	s_waitcnt vmcnt(0)
	v_add_f64 v[31:32], v[33:34], -v[31:32]
	buffer_load_dword v33, off, s[36:39], 0 offset:504 ; 4-byte Folded Reload
	buffer_load_dword v34, off, s[36:39], 0 offset:508 ; 4-byte Folded Reload
	v_mul_f64 v[24:25], v[37:38], v[24:25]
	s_waitcnt lgkmcnt(0)
	v_fma_f64 v[18:19], v[22:23], v[29:30], v[18:19]
	ds_bpermute_b32 v29, v28, v4 offset:32
	ds_bpermute_b32 v30, v28, v5 offset:32
	;; [unrolled: 1-line block ×4, first 2 shown]
	v_mul_f64 v[26:27], v[39:40], v[26:27]
	s_waitcnt lgkmcnt(0)
	v_fma_f64 v[18:19], v[24:25], v[22:23], v[18:19]
	ds_bpermute_b32 v24, v28, v4 offset:36
	ds_bpermute_b32 v25, v28, v5 offset:36
	;; [unrolled: 1-line block ×4, first 2 shown]
	s_waitcnt lgkmcnt(0)
	v_fma_f64 v[18:19], v[26:27], v[22:23], v[18:19]
	ds_bpermute_b32 v26, v28, v4 offset:40
	ds_bpermute_b32 v27, v28, v5 offset:40
	;; [unrolled: 1-line block ×4, first 2 shown]
	s_waitcnt vmcnt(0)
	v_add_f64 v[29:30], v[33:34], -v[29:30]
	buffer_load_dword v33, off, s[36:39], 0 offset:612 ; 4-byte Folded Reload
	buffer_load_dword v34, off, s[36:39], 0 offset:616 ; 4-byte Folded Reload
	;; [unrolled: 1-line block ×4, first 2 shown]
	s_waitcnt vmcnt(2)
	v_mul_f64 v[31:32], v[33:34], v[31:32]
	s_waitcnt vmcnt(0)
	v_add_f64 v[24:25], v[37:38], -v[24:25]
	buffer_load_dword v37, off, s[36:39], 0 offset:604 ; 4-byte Folded Reload
	buffer_load_dword v38, off, s[36:39], 0 offset:608 ; 4-byte Folded Reload
	v_add_f64 v[20:21], v[20:21], v[33:34]
	buffer_load_dword v33, off, s[36:39], 0 offset:552 ; 4-byte Folded Reload
	buffer_load_dword v34, off, s[36:39], 0 offset:556 ; 4-byte Folded Reload
	buffer_load_dword v39, off, s[36:39], 0 offset:480 ; 4-byte Folded Reload
	buffer_load_dword v40, off, s[36:39], 0 offset:484 ; 4-byte Folded Reload
	s_waitcnt lgkmcnt(0)
	v_fma_f64 v[18:19], v[31:32], v[22:23], v[18:19]
	ds_bpermute_b32 v31, v28, v4 offset:44
	ds_bpermute_b32 v32, v28, v5 offset:44
	;; [unrolled: 1-line block ×4, first 2 shown]
	s_waitcnt vmcnt(4)
	v_mul_f64 v[29:30], v[37:38], v[29:30]
	v_add_f64 v[20:21], v[20:21], v[37:38]
	s_waitcnt vmcnt(2)
	v_add_f64 v[26:27], v[33:34], -v[26:27]
	buffer_load_dword v33, off, s[36:39], 0 offset:560 ; 4-byte Folded Reload
	buffer_load_dword v34, off, s[36:39], 0 offset:564 ; 4-byte Folded Reload
	s_waitcnt vmcnt(2)
	v_mul_f64 v[24:25], v[39:40], v[24:25]
	s_waitcnt lgkmcnt(0)
	v_fma_f64 v[18:19], v[29:30], v[22:23], v[18:19]
	v_add_f64 v[20:21], v[20:21], v[39:40]
	ds_bpermute_b32 v29, v28, v4 offset:48
	ds_bpermute_b32 v30, v28, v5 offset:48
	;; [unrolled: 1-line block ×4, first 2 shown]
	s_waitcnt lgkmcnt(0)
	v_fma_f64 v[18:19], v[24:25], v[22:23], v[18:19]
	ds_bpermute_b32 v24, v28, v4 offset:52
	ds_bpermute_b32 v25, v28, v5 offset:52
	;; [unrolled: 1-line block ×4, first 2 shown]
	s_waitcnt vmcnt(0)
	v_add_f64 v[31:32], v[33:34], -v[31:32]
	buffer_load_dword v33, off, s[36:39], 0 offset:464 ; 4-byte Folded Reload
	buffer_load_dword v34, off, s[36:39], 0 offset:468 ; 4-byte Folded Reload
	;; [unrolled: 1-line block ×4, first 2 shown]
	s_waitcnt vmcnt(2)
	v_mul_f64 v[26:27], v[33:34], v[26:27]
	s_waitcnt vmcnt(0)
	v_add_f64 v[29:30], v[37:38], -v[29:30]
	buffer_load_dword v37, off, s[36:39], 0 offset:512 ; 4-byte Folded Reload
	buffer_load_dword v38, off, s[36:39], 0 offset:516 ; 4-byte Folded Reload
	v_add_f64 v[20:21], v[20:21], v[33:34]
	buffer_load_dword v33, off, s[36:39], 0 offset:584 ; 4-byte Folded Reload
	buffer_load_dword v34, off, s[36:39], 0 offset:588 ; 4-byte Folded Reload
	s_waitcnt lgkmcnt(0)
	v_fma_f64 v[18:19], v[26:27], v[22:23], v[18:19]
	ds_bpermute_b32 v22, v28, v6 offset:44
	ds_bpermute_b32 v23, v28, v7 offset:44
	;; [unrolled: 1-line block ×6, first 2 shown]
	s_waitcnt vmcnt(2)
	v_mul_f64 v[31:32], v[37:38], v[31:32]
	v_add_f64 v[20:21], v[20:21], v[37:38]
	s_waitcnt vmcnt(0)
	v_add_f64 v[24:25], v[33:34], -v[24:25]
	buffer_load_dword v33, off, s[36:39], 0 offset:496 ; 4-byte Folded Reload
	buffer_load_dword v34, off, s[36:39], 0 offset:500 ; 4-byte Folded Reload
	s_waitcnt lgkmcnt(4)
	v_fma_f64 v[18:19], v[31:32], v[22:23], v[18:19]
	buffer_load_dword v31, off, s[36:39], 0 offset:592 ; 4-byte Folded Reload
	buffer_load_dword v32, off, s[36:39], 0 offset:596 ; 4-byte Folded Reload
	ds_bpermute_b32 v22, v28, v6 offset:48
	ds_bpermute_b32 v23, v28, v7 offset:48
	v_mul_f64 v[24:25], v[14:15], v[24:25]
	s_waitcnt vmcnt(2)
	v_mul_f64 v[29:30], v[33:34], v[29:30]
	v_add_f64 v[20:21], v[20:21], v[33:34]
	s_waitcnt vmcnt(0) lgkmcnt(4)
	v_add_f64 v[26:27], v[31:32], -v[26:27]
	s_waitcnt lgkmcnt(0)
	v_fma_f64 v[18:19], v[29:30], v[22:23], v[18:19]
	buffer_load_dword v29, off, s[36:39], 0 offset:568 ; 4-byte Folded Reload
	buffer_load_dword v30, off, s[36:39], 0 offset:572 ; 4-byte Folded Reload
	ds_bpermute_b32 v22, v28, v6 offset:52
	ds_bpermute_b32 v23, v28, v7 offset:52
	v_add_f64 v[14:15], v[20:21], v[14:15]
	ds_bpermute_b32 v20, v28, v6 offset:56
	ds_bpermute_b32 v21, v28, v7 offset:56
	;; [unrolled: 1-line block ×3, first 2 shown]
	s_waitcnt lgkmcnt(3)
	v_fma_f64 v[18:19], v[24:25], v[22:23], v[18:19]
	ds_bpermute_b32 v7, v28, v7 offset:60
	s_waitcnt vmcnt(0)
	v_mul_f64 v[26:27], v[29:30], v[26:27]
	v_add_f64 v[10:11], v[14:15], v[29:30]
	s_waitcnt lgkmcnt(2)
	v_fma_f64 v[26:27], v[26:27], v[20:21], v[18:19]
.LBB36_127:                             ;   in Loop: Header=BB36_89 Depth=1
	s_and_b64 vcc, exec, s[0:1]
	s_cbranch_vccz .LBB36_88
; %bb.128:                              ;   in Loop: Header=BB36_89 Depth=1
	s_load_dword s0, s[2:3], 0x0
	buffer_load_dword v4, off, s[36:39], 0 offset:620 ; 4-byte Folded Reload
	buffer_load_dword v5, off, s[36:39], 0 offset:624 ; 4-byte Folded Reload
	s_waitcnt lgkmcnt(0)
	v_mov_b32_e32 v6, 0
	v_mov_b32_e32 v7, 0
	s_cmp_lt_u32 s6, s0
	s_cselect_b32 s0, 12, 18
	s_add_u32 s0, s2, s0
	s_addc_u32 s1, s3, 0
	s_waitcnt vmcnt(0)
	global_load_ushort v4, v5, s[0:1]
	s_nop 0
	buffer_load_dword v5, off, s[36:39], 0 offset:336 ; 4-byte Folded Reload
	buffer_load_dword v8, off, s[36:39], 0 offset:444 ; 4-byte Folded Reload
	s_waitcnt vmcnt(0)
	v_mad_u32_u24 v4, v5, v4, v8
	v_and_b32_e32 v8, 63, v4
	v_mov_b32_e32 v4, 0
	v_mov_b32_e32 v5, 0
	v_cmp_gt_u32_e32 vcc, 16, v8
	s_and_saveexec_b64 s[0:1], vcc
	s_cbranch_execz .LBB36_87
; %bb.129:                              ;   in Loop: Header=BB36_89 Depth=1
	v_add_co_u32_e32 v4, vcc, v16, v8
	v_addc_co_u32_e32 v5, vcc, 0, v17, vcc
	v_add_co_u32_e32 v8, vcc, 0xffffff01, v4
	v_addc_co_u32_e32 v9, vcc, -1, v5, vcc
	v_cmp_gt_i64_e32 vcc, s[12:13], v[8:9]
	v_mov_b32_e32 v4, 0
	v_mov_b32_e32 v6, 0
	;; [unrolled: 1-line block ×4, first 2 shown]
	s_and_saveexec_b64 s[16:17], vcc
	s_cbranch_execz .LBB36_86
; %bb.130:                              ;   in Loop: Header=BB36_89 Depth=1
	v_lshlrev_b64 v[4:5], 3, v[8:9]
	v_mov_b32_e32 v7, s23
	v_add_co_u32_e32 v6, vcc, s22, v4
	v_addc_co_u32_e32 v7, vcc, v7, v5, vcc
	v_mov_b32_e32 v8, s21
	v_add_co_u32_e32 v4, vcc, s20, v4
	v_addc_co_u32_e32 v5, vcc, v8, v5, vcc
	global_load_dwordx2 v[4:5], v[4:5], off
	s_nop 0
	global_load_dwordx2 v[6:7], v[6:7], off
	s_branch .LBB36_86
.LBB36_131:
	buffer_load_dword v15, off, s[36:39], 0 offset:444 ; 4-byte Folded Reload
.LBB36_132:
	buffer_load_dword v1, off, s[36:39], 0 offset:336 ; 4-byte Folded Reload
	s_movk_i32 s0, 0x41
	s_waitcnt vmcnt(0)
	v_mad_u32_u24 v0, v1, s0, v15
	v_lshl_add_u32 v0, v0, 3, 0
	ds_write_b64 v0, v[35:36]
	ds_write_b64 v0, v[22:23] offset:8320
	v_lshrrev_b32_e32 v0, 6, v15
	v_add_u32_e32 v8, v0, v1
	v_cmp_gt_u32_e32 vcc, 64, v8
	s_waitcnt lgkmcnt(0)
	s_barrier
	s_and_saveexec_b64 s[0:1], vcc
	s_cbranch_execz .LBB36_164
; %bb.133:
	s_load_dwordx4 s[8:11], s[4:5], 0x30
	v_and_b32_e32 v0, 63, v15
	v_cmp_gt_u32_e64 s[0:1], 16, v0
	v_mul_u32_u24_e32 v6, 0x41, v0
                                        ; implicit-def: $vgpr0_vgpr1
                                        ; implicit-def: $vgpr2_vgpr3
	s_and_saveexec_b64 s[2:3], s[0:1]
	s_cbranch_execz .LBB36_135
; %bb.134:
	v_add_u32_e32 v0, v8, v6
	v_lshl_add_u32 v0, v0, 3, 0
	ds_read_b64 v[2:3], v0
	ds_read_b64 v[0:1], v0 offset:8320
.LBB36_135:
	s_or_b64 exec, exec, s[2:3]
	v_mbcnt_lo_u32_b32 v4, -1, 0
	v_mbcnt_hi_u32_b32 v13, -1, v4
	v_and_b32_e32 v4, 64, v13
	v_add_u32_e32 v14, 64, v4
	v_xor_b32_e32 v4, 8, v13
	v_cmp_lt_i32_e32 vcc, v4, v14
	v_cndmask_b32_e32 v4, v13, v4, vcc
	v_lshlrev_b32_e32 v7, 2, v4
	s_waitcnt lgkmcnt(0)
	ds_bpermute_b32 v4, v7, v2
	ds_bpermute_b32 v5, v7, v3
	;; [unrolled: 1-line block ×4, first 2 shown]
	s_mov_b32 s7, 0
	s_lshl_b64 s[4:5], s[6:7], 6
	s_waitcnt lgkmcnt(2)
	v_add_f64 v[2:3], v[2:3], v[4:5]
	v_xor_b32_e32 v4, 4, v13
	s_waitcnt lgkmcnt(0)
	v_add_f64 v[0:1], v[0:1], v[9:10]
	v_cmp_lt_i32_e32 vcc, v4, v14
	v_cndmask_b32_e32 v4, v13, v4, vcc
	v_lshlrev_b32_e32 v9, 2, v4
	s_cmp_lg_u64 s[8:9], 0
	v_cmp_eq_u32_e64 s[2:3], 0, v15
	ds_bpermute_b32 v4, v9, v2
	ds_bpermute_b32 v5, v9, v3
	;; [unrolled: 1-line block ×4, first 2 shown]
	s_cselect_b64 s[12:13], -1, 0
	s_cmp_lg_u64 s[10:11], 0
	s_waitcnt lgkmcnt(2)
	v_add_f64 v[2:3], v[2:3], v[4:5]
	v_xor_b32_e32 v4, 2, v13
	s_waitcnt lgkmcnt(0)
	v_add_f64 v[0:1], v[0:1], v[10:11]
	v_cmp_lt_i32_e32 vcc, v4, v14
	v_cndmask_b32_e32 v4, v13, v4, vcc
	v_lshlrev_b32_e32 v10, 2, v4
	s_cselect_b64 s[6:7], -1, 0
	ds_bpermute_b32 v4, v10, v2
	ds_bpermute_b32 v5, v10, v3
	;; [unrolled: 1-line block ×4, first 2 shown]
	s_waitcnt lgkmcnt(2)
	v_add_f64 v[2:3], v[2:3], v[4:5]
	s_waitcnt lgkmcnt(0)
	v_add_f64 v[4:5], v[0:1], v[11:12]
	v_xor_b32_e32 v0, 1, v13
	v_cmp_lt_i32_e32 vcc, v0, v14
	v_cndmask_b32_e32 v0, v13, v0, vcc
	v_lshlrev_b32_e32 v11, 2, v0
	ds_bpermute_b32 v0, v11, v2
	ds_bpermute_b32 v1, v11, v3
	;; [unrolled: 1-line block ×4, first 2 shown]
	s_waitcnt lgkmcnt(2)
	v_add_f64 v[0:1], v[2:3], v[0:1]
	s_waitcnt lgkmcnt(0)
	v_add_f64 v[2:3], v[4:5], v[12:13]
	v_or_b32_e32 v4, s4, v8
	v_mov_b32_e32 v5, s5
	v_cmp_gt_i64_e32 vcc, s[14:15], v[4:5]
	s_and_b64 s[18:19], s[2:3], vcc
	s_and_saveexec_b64 s[16:17], s[18:19]
	s_cbranch_execz .LBB36_140
; %bb.136:
	v_lshlrev_b64 v[4:5], 3, v[4:5]
	s_andn2_b64 vcc, exec, s[12:13]
	s_cbranch_vccnz .LBB36_138
; %bb.137:
	v_mov_b32_e32 v13, s9
	v_add_co_u32_e32 v12, vcc, s8, v4
	v_addc_co_u32_e32 v13, vcc, v13, v5, vcc
	global_store_dwordx2 v[12:13], v[0:1], off
.LBB36_138:
	s_andn2_b64 vcc, exec, s[6:7]
	s_cbranch_vccnz .LBB36_140
; %bb.139:
	v_mov_b32_e32 v12, s11
	v_add_co_u32_e32 v4, vcc, s10, v4
	v_addc_co_u32_e32 v5, vcc, v12, v5, vcc
	global_store_dwordx2 v[4:5], v[2:3], off
.LBB36_140:
	s_or_b64 exec, exec, s[16:17]
	v_cmp_gt_u32_e32 vcc, 48, v8
	s_and_b64 exec, exec, vcc
	s_cbranch_execz .LBB36_164
; %bb.141:
	s_and_saveexec_b64 s[16:17], s[0:1]
	s_cbranch_execz .LBB36_143
; %bb.142:
	v_add_u32_e32 v0, v8, v6
	v_lshl_add_u32 v2, v0, 3, 0
	ds_read_b64 v[0:1], v2 offset:128
	ds_read_b64 v[2:3], v2 offset:8448
.LBB36_143:
	s_or_b64 exec, exec, s[16:17]
	s_waitcnt lgkmcnt(1)
	ds_bpermute_b32 v4, v7, v0
	ds_bpermute_b32 v5, v7, v1
	s_waitcnt lgkmcnt(2)
	ds_bpermute_b32 v12, v7, v2
	ds_bpermute_b32 v13, v7, v3
	v_add_u32_e32 v14, 16, v8
	s_waitcnt lgkmcnt(2)
	v_add_f64 v[0:1], v[0:1], v[4:5]
	s_waitcnt lgkmcnt(0)
	v_add_f64 v[2:3], v[2:3], v[12:13]
	ds_bpermute_b32 v4, v9, v0
	ds_bpermute_b32 v5, v9, v1
	ds_bpermute_b32 v12, v9, v2
	ds_bpermute_b32 v13, v9, v3
	s_waitcnt lgkmcnt(2)
	v_add_f64 v[0:1], v[0:1], v[4:5]
	s_waitcnt lgkmcnt(0)
	v_add_f64 v[2:3], v[2:3], v[12:13]
	ds_bpermute_b32 v4, v10, v0
	ds_bpermute_b32 v5, v10, v1
	ds_bpermute_b32 v12, v10, v2
	ds_bpermute_b32 v13, v10, v3
	;; [unrolled: 8-line block ×3, first 2 shown]
	s_waitcnt lgkmcnt(2)
	v_add_f64 v[0:1], v[0:1], v[4:5]
	v_mov_b32_e32 v5, s5
	s_waitcnt lgkmcnt(0)
	v_add_f64 v[2:3], v[2:3], v[12:13]
	v_add_co_u32_e32 v4, vcc, s4, v14
	v_addc_co_u32_e32 v5, vcc, 0, v5, vcc
	v_cmp_gt_i64_e32 vcc, s[14:15], v[4:5]
	s_and_b64 s[18:19], s[2:3], vcc
	s_and_saveexec_b64 s[16:17], s[18:19]
	s_cbranch_execz .LBB36_148
; %bb.144:
	s_andn2_b64 vcc, exec, s[12:13]
	s_cbranch_vccnz .LBB36_146
; %bb.145:
	v_mov_b32_e32 v5, s5
	v_add_co_u32_e32 v4, vcc, s4, v8
	v_addc_co_u32_e32 v5, vcc, 0, v5, vcc
	v_lshlrev_b64 v[4:5], 3, v[4:5]
	v_mov_b32_e32 v12, s9
	v_add_co_u32_e32 v4, vcc, s8, v4
	v_addc_co_u32_e32 v5, vcc, v12, v5, vcc
	global_store_dwordx2 v[4:5], v[0:1], off offset:128
.LBB36_146:
	s_andn2_b64 vcc, exec, s[6:7]
	s_cbranch_vccnz .LBB36_148
; %bb.147:
	v_mov_b32_e32 v5, s5
	v_add_co_u32_e32 v4, vcc, s4, v8
	v_addc_co_u32_e32 v5, vcc, 0, v5, vcc
	v_lshlrev_b64 v[4:5], 3, v[4:5]
	v_mov_b32_e32 v12, s11
	v_add_co_u32_e32 v4, vcc, s10, v4
	v_addc_co_u32_e32 v5, vcc, v12, v5, vcc
	global_store_dwordx2 v[4:5], v[2:3], off offset:128
.LBB36_148:
	s_or_b64 exec, exec, s[16:17]
	v_cmp_gt_u32_e32 vcc, 32, v8
	s_and_b64 exec, exec, vcc
	s_cbranch_execz .LBB36_164
; %bb.149:
	s_and_saveexec_b64 s[16:17], s[0:1]
	s_cbranch_execz .LBB36_151
; %bb.150:
	v_add_u32_e32 v0, v8, v6
	v_lshl_add_u32 v2, v0, 3, 0
	ds_read_b64 v[0:1], v2 offset:256
	ds_read_b64 v[2:3], v2 offset:8576
.LBB36_151:
	s_or_b64 exec, exec, s[16:17]
	s_waitcnt lgkmcnt(1)
	ds_bpermute_b32 v4, v7, v0
	ds_bpermute_b32 v5, v7, v1
	s_waitcnt lgkmcnt(2)
	ds_bpermute_b32 v12, v7, v2
	ds_bpermute_b32 v13, v7, v3
	s_waitcnt lgkmcnt(2)
	v_add_f64 v[0:1], v[0:1], v[4:5]
	s_waitcnt lgkmcnt(0)
	v_add_f64 v[2:3], v[2:3], v[12:13]
	ds_bpermute_b32 v4, v9, v0
	ds_bpermute_b32 v5, v9, v1
	ds_bpermute_b32 v12, v9, v2
	ds_bpermute_b32 v13, v9, v3
	s_waitcnt lgkmcnt(2)
	v_add_f64 v[0:1], v[0:1], v[4:5]
	s_waitcnt lgkmcnt(0)
	v_add_f64 v[2:3], v[2:3], v[12:13]
	ds_bpermute_b32 v4, v10, v0
	ds_bpermute_b32 v5, v10, v1
	;; [unrolled: 8-line block ×3, first 2 shown]
	ds_bpermute_b32 v12, v11, v2
	ds_bpermute_b32 v13, v11, v3
	s_waitcnt lgkmcnt(2)
	v_add_f64 v[0:1], v[0:1], v[4:5]
	v_add_u32_e32 v4, 32, v8
	s_waitcnt lgkmcnt(0)
	v_add_f64 v[2:3], v[2:3], v[12:13]
	v_or_b32_e32 v4, s4, v4
	v_mov_b32_e32 v5, s5
	v_cmp_gt_i64_e32 vcc, s[14:15], v[4:5]
	s_and_b64 s[18:19], s[2:3], vcc
	s_and_saveexec_b64 s[16:17], s[18:19]
	s_cbranch_execz .LBB36_156
; %bb.152:
	s_andn2_b64 vcc, exec, s[12:13]
	s_cbranch_vccnz .LBB36_154
; %bb.153:
	v_mov_b32_e32 v5, s5
	v_add_co_u32_e32 v4, vcc, s4, v8
	v_addc_co_u32_e32 v5, vcc, 0, v5, vcc
	v_lshlrev_b64 v[4:5], 3, v[4:5]
	v_mov_b32_e32 v12, s9
	v_add_co_u32_e32 v4, vcc, s8, v4
	v_addc_co_u32_e32 v5, vcc, v12, v5, vcc
	global_store_dwordx2 v[4:5], v[0:1], off offset:256
.LBB36_154:
	s_andn2_b64 vcc, exec, s[6:7]
	s_cbranch_vccnz .LBB36_156
; %bb.155:
	v_mov_b32_e32 v5, s5
	v_add_co_u32_e32 v4, vcc, s4, v8
	v_addc_co_u32_e32 v5, vcc, 0, v5, vcc
	v_lshlrev_b64 v[4:5], 3, v[4:5]
	v_mov_b32_e32 v12, s11
	v_add_co_u32_e32 v4, vcc, s10, v4
	v_addc_co_u32_e32 v5, vcc, v12, v5, vcc
	global_store_dwordx2 v[4:5], v[2:3], off offset:256
.LBB36_156:
	s_or_b64 exec, exec, s[16:17]
	v_cmp_gt_u32_e32 vcc, 16, v8
	s_and_b64 exec, exec, vcc
	s_cbranch_execz .LBB36_164
; %bb.157:
	s_and_saveexec_b64 s[16:17], s[0:1]
	s_cbranch_execz .LBB36_159
; %bb.158:
	v_add_u32_e32 v0, v8, v6
	v_lshl_add_u32 v2, v0, 3, 0
	ds_read_b64 v[0:1], v2 offset:384
	ds_read_b64 v[2:3], v2 offset:8704
.LBB36_159:
	s_or_b64 exec, exec, s[16:17]
	s_waitcnt lgkmcnt(1)
	ds_bpermute_b32 v4, v7, v0
	ds_bpermute_b32 v5, v7, v1
	s_waitcnt lgkmcnt(2)
	ds_bpermute_b32 v6, v7, v2
	ds_bpermute_b32 v7, v7, v3
	s_waitcnt lgkmcnt(2)
	v_add_f64 v[0:1], v[0:1], v[4:5]
	s_waitcnt lgkmcnt(0)
	v_add_f64 v[2:3], v[2:3], v[6:7]
	ds_bpermute_b32 v4, v9, v0
	ds_bpermute_b32 v5, v9, v1
	;; [unrolled: 1-line block ×4, first 2 shown]
	v_add_u32_e32 v9, 48, v8
	v_or_b32_e32 v9, s4, v9
	s_waitcnt lgkmcnt(2)
	v_add_f64 v[0:1], v[0:1], v[4:5]
	s_waitcnt lgkmcnt(0)
	v_add_f64 v[2:3], v[2:3], v[6:7]
	ds_bpermute_b32 v4, v10, v0
	ds_bpermute_b32 v5, v10, v1
	ds_bpermute_b32 v6, v10, v2
	ds_bpermute_b32 v7, v10, v3
	v_mov_b32_e32 v10, s5
	v_cmp_gt_i64_e32 vcc, s[14:15], v[9:10]
	s_waitcnt lgkmcnt(2)
	v_add_f64 v[4:5], v[0:1], v[4:5]
	s_and_b64 s[0:1], s[2:3], vcc
	s_waitcnt lgkmcnt(0)
	v_add_f64 v[0:1], v[2:3], v[6:7]
	ds_bpermute_b32 v6, v11, v4
	ds_bpermute_b32 v7, v11, v5
	;; [unrolled: 1-line block ×4, first 2 shown]
	s_and_b64 exec, exec, s[0:1]
	s_cbranch_execz .LBB36_164
; %bb.160:
	s_andn2_b64 vcc, exec, s[12:13]
	s_cbranch_vccnz .LBB36_162
; %bb.161:
	s_waitcnt lgkmcnt(2)
	v_add_f64 v[4:5], v[4:5], v[6:7]
	v_mov_b32_e32 v7, s5
	v_add_co_u32_e32 v6, vcc, s4, v8
	v_addc_co_u32_e32 v7, vcc, 0, v7, vcc
	v_lshlrev_b64 v[6:7], 3, v[6:7]
	v_mov_b32_e32 v9, s9
	v_add_co_u32_e32 v6, vcc, s8, v6
	v_addc_co_u32_e32 v7, vcc, v9, v7, vcc
	global_store_dwordx2 v[6:7], v[4:5], off offset:384
.LBB36_162:
	s_andn2_b64 vcc, exec, s[6:7]
	s_cbranch_vccnz .LBB36_164
; %bb.163:
	s_waitcnt lgkmcnt(0)
	v_add_f64 v[0:1], v[0:1], v[2:3]
	v_mov_b32_e32 v3, s5
	v_add_co_u32_e32 v2, vcc, s4, v8
	v_addc_co_u32_e32 v3, vcc, 0, v3, vcc
	v_lshlrev_b64 v[2:3], 3, v[2:3]
	v_mov_b32_e32 v4, s11
	v_add_co_u32_e32 v2, vcc, s10, v2
	v_addc_co_u32_e32 v3, vcc, v4, v3, vcc
	global_store_dwordx2 v[2:3], v[0:1], off offset:384
.LBB36_164:
	s_endpgm
	.section	.rodata,"a",@progbits
	.p2align	6, 0x0
	.amdhsa_kernel _ZN2at6native12_GLOBAL__N_135GammaBetaBackwardCUDAKernelTemplateIddLj64ELj16ELj256ELb0ELb0ELb0EEEvllPKT_S5_PKT0_S8_PS3_S9_
		.amdhsa_group_segment_fixed_size 0
		.amdhsa_private_segment_fixed_size 632
		.amdhsa_kernarg_size 320
		.amdhsa_user_sgpr_count 6
		.amdhsa_user_sgpr_private_segment_buffer 1
		.amdhsa_user_sgpr_dispatch_ptr 0
		.amdhsa_user_sgpr_queue_ptr 0
		.amdhsa_user_sgpr_kernarg_segment_ptr 1
		.amdhsa_user_sgpr_dispatch_id 0
		.amdhsa_user_sgpr_flat_scratch_init 0
		.amdhsa_user_sgpr_private_segment_size 0
		.amdhsa_uses_dynamic_stack 0
		.amdhsa_system_sgpr_private_segment_wavefront_offset 1
		.amdhsa_system_sgpr_workgroup_id_x 1
		.amdhsa_system_sgpr_workgroup_id_y 1
		.amdhsa_system_sgpr_workgroup_id_z 0
		.amdhsa_system_sgpr_workgroup_info 0
		.amdhsa_system_vgpr_workitem_id 1
		.amdhsa_next_free_vgpr 64
		.amdhsa_next_free_sgpr 40
		.amdhsa_reserve_vcc 1
		.amdhsa_reserve_flat_scratch 0
		.amdhsa_float_round_mode_32 0
		.amdhsa_float_round_mode_16_64 0
		.amdhsa_float_denorm_mode_32 3
		.amdhsa_float_denorm_mode_16_64 3
		.amdhsa_dx10_clamp 1
		.amdhsa_ieee_mode 1
		.amdhsa_fp16_overflow 0
		.amdhsa_exception_fp_ieee_invalid_op 0
		.amdhsa_exception_fp_denorm_src 0
		.amdhsa_exception_fp_ieee_div_zero 0
		.amdhsa_exception_fp_ieee_overflow 0
		.amdhsa_exception_fp_ieee_underflow 0
		.amdhsa_exception_fp_ieee_inexact 0
		.amdhsa_exception_int_div_zero 0
	.end_amdhsa_kernel
	.section	.text._ZN2at6native12_GLOBAL__N_135GammaBetaBackwardCUDAKernelTemplateIddLj64ELj16ELj256ELb0ELb0ELb0EEEvllPKT_S5_PKT0_S8_PS3_S9_,"axG",@progbits,_ZN2at6native12_GLOBAL__N_135GammaBetaBackwardCUDAKernelTemplateIddLj64ELj16ELj256ELb0ELb0ELb0EEEvllPKT_S5_PKT0_S8_PS3_S9_,comdat
.Lfunc_end36:
	.size	_ZN2at6native12_GLOBAL__N_135GammaBetaBackwardCUDAKernelTemplateIddLj64ELj16ELj256ELb0ELb0ELb0EEEvllPKT_S5_PKT0_S8_PS3_S9_, .Lfunc_end36-_ZN2at6native12_GLOBAL__N_135GammaBetaBackwardCUDAKernelTemplateIddLj64ELj16ELj256ELb0ELb0ELb0EEEvllPKT_S5_PKT0_S8_PS3_S9_
                                        ; -- End function
	.set _ZN2at6native12_GLOBAL__N_135GammaBetaBackwardCUDAKernelTemplateIddLj64ELj16ELj256ELb0ELb0ELb0EEEvllPKT_S5_PKT0_S8_PS3_S9_.num_vgpr, 64
	.set _ZN2at6native12_GLOBAL__N_135GammaBetaBackwardCUDAKernelTemplateIddLj64ELj16ELj256ELb0ELb0ELb0EEEvllPKT_S5_PKT0_S8_PS3_S9_.num_agpr, 0
	.set _ZN2at6native12_GLOBAL__N_135GammaBetaBackwardCUDAKernelTemplateIddLj64ELj16ELj256ELb0ELb0ELb0EEEvllPKT_S5_PKT0_S8_PS3_S9_.numbered_sgpr, 40
	.set _ZN2at6native12_GLOBAL__N_135GammaBetaBackwardCUDAKernelTemplateIddLj64ELj16ELj256ELb0ELb0ELb0EEEvllPKT_S5_PKT0_S8_PS3_S9_.num_named_barrier, 0
	.set _ZN2at6native12_GLOBAL__N_135GammaBetaBackwardCUDAKernelTemplateIddLj64ELj16ELj256ELb0ELb0ELb0EEEvllPKT_S5_PKT0_S8_PS3_S9_.private_seg_size, 632
	.set _ZN2at6native12_GLOBAL__N_135GammaBetaBackwardCUDAKernelTemplateIddLj64ELj16ELj256ELb0ELb0ELb0EEEvllPKT_S5_PKT0_S8_PS3_S9_.uses_vcc, 1
	.set _ZN2at6native12_GLOBAL__N_135GammaBetaBackwardCUDAKernelTemplateIddLj64ELj16ELj256ELb0ELb0ELb0EEEvllPKT_S5_PKT0_S8_PS3_S9_.uses_flat_scratch, 0
	.set _ZN2at6native12_GLOBAL__N_135GammaBetaBackwardCUDAKernelTemplateIddLj64ELj16ELj256ELb0ELb0ELb0EEEvllPKT_S5_PKT0_S8_PS3_S9_.has_dyn_sized_stack, 0
	.set _ZN2at6native12_GLOBAL__N_135GammaBetaBackwardCUDAKernelTemplateIddLj64ELj16ELj256ELb0ELb0ELb0EEEvllPKT_S5_PKT0_S8_PS3_S9_.has_recursion, 0
	.set _ZN2at6native12_GLOBAL__N_135GammaBetaBackwardCUDAKernelTemplateIddLj64ELj16ELj256ELb0ELb0ELb0EEEvllPKT_S5_PKT0_S8_PS3_S9_.has_indirect_call, 0
	.section	.AMDGPU.csdata,"",@progbits
; Kernel info:
; codeLenInByte = 26160
; TotalNumSgprs: 44
; NumVgprs: 64
; ScratchSize: 632
; MemoryBound: 0
; FloatMode: 240
; IeeeMode: 1
; LDSByteSize: 0 bytes/workgroup (compile time only)
; SGPRBlocks: 5
; VGPRBlocks: 15
; NumSGPRsForWavesPerEU: 44
; NumVGPRsForWavesPerEU: 64
; Occupancy: 4
; WaveLimiterHint : 0
; COMPUTE_PGM_RSRC2:SCRATCH_EN: 1
; COMPUTE_PGM_RSRC2:USER_SGPR: 6
; COMPUTE_PGM_RSRC2:TRAP_HANDLER: 0
; COMPUTE_PGM_RSRC2:TGID_X_EN: 1
; COMPUTE_PGM_RSRC2:TGID_Y_EN: 1
; COMPUTE_PGM_RSRC2:TGID_Z_EN: 0
; COMPUTE_PGM_RSRC2:TIDIG_COMP_CNT: 1
	.section	.text._ZN2at6native12_GLOBAL__N_135GammaBetaBackwardCUDAKernelTemplateIddLj32ELj1ELj32ELb1ELb1ELb0EEEvllPKT_S5_PKT0_S8_PS3_S9_,"axG",@progbits,_ZN2at6native12_GLOBAL__N_135GammaBetaBackwardCUDAKernelTemplateIddLj32ELj1ELj32ELb1ELb1ELb0EEEvllPKT_S5_PKT0_S8_PS3_S9_,comdat
	.globl	_ZN2at6native12_GLOBAL__N_135GammaBetaBackwardCUDAKernelTemplateIddLj32ELj1ELj32ELb1ELb1ELb0EEEvllPKT_S5_PKT0_S8_PS3_S9_ ; -- Begin function _ZN2at6native12_GLOBAL__N_135GammaBetaBackwardCUDAKernelTemplateIddLj32ELj1ELj32ELb1ELb1ELb0EEEvllPKT_S5_PKT0_S8_PS3_S9_
	.p2align	8
	.type	_ZN2at6native12_GLOBAL__N_135GammaBetaBackwardCUDAKernelTemplateIddLj32ELj1ELj32ELb1ELb1ELb0EEEvllPKT_S5_PKT0_S8_PS3_S9_,@function
_ZN2at6native12_GLOBAL__N_135GammaBetaBackwardCUDAKernelTemplateIddLj32ELj1ELj32ELb1ELb1ELb0EEEvllPKT_S5_PKT0_S8_PS3_S9_: ; @_ZN2at6native12_GLOBAL__N_135GammaBetaBackwardCUDAKernelTemplateIddLj32ELj1ELj32ELb1ELb1ELb0EEEvllPKT_S5_PKT0_S8_PS3_S9_
; %bb.0:
	s_load_dwordx4 s[16:19], s[4:5], 0x0
	s_lshl_b32 s24, s7, 5
	s_mov_b32 s25, 0
	v_mov_b32_e32 v2, s24
	v_mov_b32_e32 v3, s25
	s_waitcnt lgkmcnt(0)
	v_cmp_gt_i64_e32 vcc, s[16:17], v[2:3]
	s_mov_b32 s2, s7
	s_cbranch_vccnz .LBB37_2
; %bb.1:
	s_add_u32 s26, s4, 64
	s_addc_u32 s27, s5, 0
	s_mov_b64 s[0:1], 0
	s_branch .LBB37_3
.LBB37_2:
	s_mov_b64 s[0:1], -1
                                        ; implicit-def: $sgpr26_sgpr27
.LBB37_3:
	s_load_dwordx4 s[20:23], s[4:5], 0x30
	v_mov_b32_e32 v10, 0
	v_mov_b32_e32 v16, 0
	;; [unrolled: 1-line block ×3, first 2 shown]
	s_andn2_b64 vcc, exec, s[0:1]
	v_mov_b32_e32 v17, 0
	s_cbranch_vccnz .LBB37_10
; %bb.4:
	v_lshlrev_b32_e32 v4, 5, v1
	v_mbcnt_lo_u32_b32 v5, -1, 0
	s_add_u32 s26, s4, 64
	v_mbcnt_hi_u32_b32 v5, -1, v5
	v_add_co_u32_e32 v7, vcc, s24, v4
	s_load_dword s0, s[4:5], 0x4c
	s_load_dword s3, s[4:5], 0x44
	s_load_dwordx8 s[8:15], s[4:5], 0x10
	s_addc_u32 s27, s5, 0
	v_lshlrev_b32_e32 v5, 2, v5
	v_addc_co_u32_e64 v8, s[4:5], 0, 0, vcc
	v_and_b32_e32 v30, 0x100, v5
	v_mul_lo_u32 v9, s19, v7
	v_mul_lo_u32 v10, s18, v8
	v_mad_u64_u32 v[4:5], s[4:5], s18, v7, 0
	s_waitcnt lgkmcnt(0)
	s_and_b32 s0, s0, 0xffff
	v_mad_u32_u24 v2, v1, s0, v0
	v_and_b32_e32 v6, 63, v2
	v_mov_b32_e32 v3, 0
	v_lshl_or_b32 v2, s6, 5, v0
	v_add3_u32 v5, v5, v10, v9
	v_lshlrev_b64 v[4:5], 3, v[4:5]
	v_lshlrev_b64 v[2:3], 3, v[2:3]
	s_lshl_b32 s28, s3, 5
	v_add_co_u32_e32 v39, vcc, v4, v2
	v_addc_co_u32_e32 v40, vcc, v5, v3, vcc
	v_add_co_u32_e32 v2, vcc, v7, v6
	v_addc_co_u32_e32 v3, vcc, 0, v8, vcc
	s_mul_i32 s3, s19, s28
	s_mul_hi_u32 s4, s18, s28
	s_mov_b32 s29, 0
	s_add_i32 s5, s4, s3
	s_mul_i32 s4, s18, s28
	v_lshlrev_b64 v[4:5], 3, v[2:3]
	v_mov_b32_e32 v16, 0
	v_mov_b32_e32 v10, 0
	v_cmp_gt_u32_e64 s[0:1], 32, v6
	v_or_b32_e32 v31, 4, v30
	v_or_b32_e32 v32, 8, v30
	;; [unrolled: 1-line block ×12, first 2 shown]
	s_lshl_b64 s[30:31], s[28:29], 3
	s_lshl_b64 s[34:35], s[4:5], 3
	;; [unrolled: 1-line block ×3, first 2 shown]
	v_or_b32_e32 v45, 52, v30
	v_or_b32_e32 v46, 56, v30
	;; [unrolled: 1-line block ×18, first 2 shown]
	v_mov_b32_e32 v17, 0
	v_mov_b32_e32 v11, 0
	v_or_b32_e32 v63, 0x7c, v30
	s_branch .LBB37_7
.LBB37_5:                               ;   in Loop: Header=BB37_7 Depth=1
	s_or_b64 exec, exec, s[38:39]
.LBB37_6:                               ;   in Loop: Header=BB37_7 Depth=1
	s_or_b64 exec, exec, s[4:5]
	v_mov_b32_e32 v12, s11
	v_add_co_u32_e32 v14, vcc, s10, v39
	v_addc_co_u32_e32 v15, vcc, v12, v40, vcc
	global_load_dwordx2 v[26:27], v[14:15], off
	v_mov_b32_e32 v12, s9
	v_add_co_u32_e32 v18, vcc, s8, v39
	v_addc_co_u32_e32 v19, vcc, v12, v40, vcc
	v_mov_b32_e32 v64, s37
	v_add_co_u32_e32 v20, vcc, s36, v14
	v_addc_co_u32_e32 v21, vcc, v15, v64, vcc
	global_load_dwordx2 v[12:13], v[18:19], off
	global_load_dwordx2 v[28:29], v[20:21], off
	v_add_co_u32_e32 v18, vcc, s36, v18
	v_addc_co_u32_e32 v19, vcc, v19, v64, vcc
	v_add_co_u32_e32 v20, vcc, s36, v20
	v_addc_co_u32_e32 v21, vcc, v21, v64, vcc
	global_load_dwordx2 v[14:15], v[18:19], off
	global_load_dwordx2 v[65:66], v[20:21], off
	v_add_co_u32_e32 v22, vcc, s36, v18
	v_addc_co_u32_e32 v23, vcc, v19, v64, vcc
	;; [unrolled: 6-line block ×4, first 2 shown]
	v_add_co_u32_e32 v73, vcc, s36, v24
	v_addc_co_u32_e32 v74, vcc, v25, v64, vcc
	global_load_dwordx2 v[75:76], v[73:74], off
	global_load_dwordx2 v[22:23], v[71:72], off
	s_waitcnt vmcnt(12)
	ds_bpermute_b32 v77, v30, v8
	ds_bpermute_b32 v78, v30, v9
	;; [unrolled: 1-line block ×4, first 2 shown]
	s_waitcnt vmcnt(11)
	ds_bpermute_b32 v81, v30, v6
	ds_bpermute_b32 v82, v30, v7
	;; [unrolled: 1-line block ×8, first 2 shown]
	v_add_co_u32_e32 v71, vcc, s36, v71
	v_addc_co_u32_e32 v72, vcc, v72, v64, vcc
	ds_bpermute_b32 v89, v34, v8
	ds_bpermute_b32 v90, v34, v9
	global_load_dwordx2 v[24:25], v[71:72], off
	ds_bpermute_b32 v91, v33, v6
	ds_bpermute_b32 v92, v33, v7
	;; [unrolled: 1-line block ×10, first 2 shown]
	s_waitcnt vmcnt(11) lgkmcnt(14)
	v_add_f64 v[26:27], v[26:27], -v[77:78]
	ds_bpermute_b32 v77, v32, v6
	ds_bpermute_b32 v78, v32, v7
	s_add_u32 s24, s24, s28
	s_addc_u32 s25, s25, 0
	v_add_co_u32_e64 v39, s[4:5], s34, v39
	s_waitcnt vmcnt(10)
	v_mul_f64 v[26:27], v[12:13], v[26:27]
	s_waitcnt vmcnt(9)
	v_add_f64 v[28:29], v[28:29], -v[79:80]
	ds_bpermute_b32 v79, v34, v6
	ds_bpermute_b32 v80, v34, v7
	v_add_f64 v[10:11], v[10:11], v[12:13]
	v_fma_f64 v[16:17], v[26:27], v[81:82], v[16:17]
	v_add_co_u32_e32 v26, vcc, s36, v71
	s_waitcnt vmcnt(7)
	v_add_f64 v[65:66], v[65:66], -v[85:86]
	v_mul_f64 v[28:29], v[14:15], v[28:29]
	v_addc_co_u32_e32 v27, vcc, v72, v64, vcc
	v_add_co_u32_e32 v71, vcc, s36, v73
	v_addc_co_u32_e32 v72, vcc, v74, v64, vcc
	v_add_f64 v[10:11], v[10:11], v[14:15]
	s_waitcnt vmcnt(6)
	v_mul_f64 v[65:66], v[18:19], v[65:66]
	s_waitcnt vmcnt(5) lgkmcnt(14)
	v_add_f64 v[67:68], v[67:68], -v[87:88]
	v_fma_f64 v[28:29], v[28:29], v[83:84], v[16:17]
	global_load_dwordx2 v[73:74], v[71:72], off
	global_load_dwordx2 v[16:17], v[26:27], off
	v_add_f64 v[10:11], v[10:11], v[18:19]
	s_waitcnt vmcnt(6)
	v_add_f64 v[69:70], v[69:70], -v[89:90]
	s_waitcnt vmcnt(5)
	v_mul_f64 v[67:68], v[20:21], v[67:68]
	s_waitcnt lgkmcnt(2)
	v_fma_f64 v[28:29], v[65:66], v[77:78], v[28:29]
	v_add_co_u32_e32 v65, vcc, s36, v71
	v_addc_co_u32_e32 v66, vcc, v72, v64, vcc
	v_add_co_u32_e32 v71, vcc, s36, v26
	v_addc_co_u32_e32 v72, vcc, v27, v64, vcc
	s_waitcnt vmcnt(3)
	v_mul_f64 v[69:70], v[22:23], v[69:70]
	v_fma_f64 v[28:29], v[67:68], v[91:92], v[28:29]
	global_load_dwordx2 v[67:68], v[65:66], off
	global_load_dwordx2 v[26:27], v[71:72], off
	v_add_co_u32_e32 v71, vcc, s36, v71
	v_addc_co_u32_e32 v72, vcc, v72, v64, vcc
	v_add_co_u32_e32 v65, vcc, s36, v65
	v_addc_co_u32_e32 v66, vcc, v66, v64, vcc
	s_waitcnt lgkmcnt(0)
	v_fma_f64 v[69:70], v[69:70], v[79:80], v[28:29]
	global_load_dwordx2 v[77:78], v[65:66], off
	global_load_dwordx2 v[28:29], v[71:72], off
	v_add_co_u32_e32 v65, vcc, s36, v65
	v_addc_co_u32_e32 v66, vcc, v66, v64, vcc
	global_load_dwordx2 v[79:80], v[65:66], off
	v_add_co_u32_e32 v71, vcc, s36, v71
	v_addc_co_u32_e32 v72, vcc, v72, v64, vcc
	v_add_co_u32_e32 v65, vcc, s36, v65
	v_addc_co_u32_e32 v66, vcc, v66, v64, vcc
	global_load_dwordx2 v[81:82], v[71:72], off
	global_load_dwordx2 v[83:84], v[65:66], off
	v_add_co_u32_e32 v71, vcc, s36, v71
	v_addc_co_u32_e32 v72, vcc, v72, v64, vcc
	v_add_co_u32_e32 v65, vcc, s36, v65
	v_addc_co_u32_e32 v66, vcc, v66, v64, vcc
	global_load_dwordx2 v[85:86], v[71:72], off
	;; [unrolled: 6-line block ×3, first 2 shown]
	global_load_dwordx2 v[91:92], v[65:66], off
	v_add_co_u32_e32 v71, vcc, s36, v71
	v_addc_co_u32_e32 v72, vcc, v72, v64, vcc
	v_add_f64 v[75:76], v[75:76], -v[93:94]
	global_load_dwordx2 v[93:94], v[71:72], off
	v_add_co_u32_e32 v65, vcc, s36, v65
	v_addc_co_u32_e32 v66, vcc, v66, v64, vcc
	global_load_dwordx2 v[97:98], v[65:66], off
	v_add_co_u32_e32 v71, vcc, s36, v71
	v_addc_co_u32_e32 v72, vcc, v72, v64, vcc
	v_add_co_u32_e32 v65, vcc, s36, v65
	v_addc_co_u32_e32 v66, vcc, v66, v64, vcc
	global_load_dwordx2 v[101:102], v[65:66], off
	s_waitcnt vmcnt(16)
	v_mul_f64 v[75:76], v[24:25], v[75:76]
	s_waitcnt vmcnt(15)
	v_add_f64 v[73:74], v[73:74], -v[95:96]
	global_load_dwordx2 v[99:100], v[71:72], off
	v_add_co_u32_e32 v71, vcc, s36, v71
	v_addc_co_u32_e32 v72, vcc, v72, v64, vcc
	global_load_dwordx2 v[95:96], v[71:72], off
	v_fma_f64 v[69:70], v[75:76], v[103:104], v[69:70]
	s_waitcnt vmcnt(16)
	v_mul_f64 v[73:74], v[16:17], v[73:74]
	ds_bpermute_b32 v75, v36, v6
	ds_bpermute_b32 v76, v36, v7
	;; [unrolled: 1-line block ×3, first 2 shown]
	s_waitcnt vmcnt(15)
	v_add_f64 v[67:68], v[67:68], -v[105:106]
	ds_bpermute_b32 v104, v38, v9
	v_add_co_u32_e32 v65, vcc, s36, v65
	s_waitcnt lgkmcnt(2)
	v_fma_f64 v[69:70], v[73:74], v[75:76], v[69:70]
	ds_bpermute_b32 v75, v37, v6
	ds_bpermute_b32 v76, v37, v7
	v_addc_co_u32_e32 v66, vcc, v66, v64, vcc
	s_waitcnt vmcnt(14)
	v_mul_f64 v[67:68], v[26:27], v[67:68]
	s_waitcnt vmcnt(13) lgkmcnt(2)
	v_add_f64 v[73:74], v[77:78], -v[103:104]
	ds_bpermute_b32 v77, v41, v8
	ds_bpermute_b32 v78, v41, v9
	v_add_co_u32_e32 v71, vcc, s36, v71
	v_addc_co_u32_e32 v72, vcc, v72, v64, vcc
	s_waitcnt lgkmcnt(2)
	v_fma_f64 v[67:68], v[67:68], v[75:76], v[69:70]
	s_waitcnt vmcnt(12)
	v_mul_f64 v[69:70], v[28:29], v[73:74]
	s_waitcnt vmcnt(11) lgkmcnt(0)
	v_add_f64 v[73:74], v[79:80], -v[77:78]
	ds_bpermute_b32 v75, v38, v6
	ds_bpermute_b32 v76, v38, v7
	;; [unrolled: 1-line block ×4, first 2 shown]
	global_load_dwordx2 v[79:80], v[71:72], off
	v_add_f64 v[10:11], v[10:11], v[20:21]
	s_waitcnt lgkmcnt(2)
	v_fma_f64 v[67:68], v[69:70], v[75:76], v[67:68]
	s_waitcnt vmcnt(11)
	v_mul_f64 v[69:70], v[81:82], v[73:74]
	s_waitcnt vmcnt(10) lgkmcnt(0)
	v_add_f64 v[73:74], v[83:84], -v[77:78]
	ds_bpermute_b32 v75, v41, v6
	ds_bpermute_b32 v76, v41, v7
	ds_bpermute_b32 v77, v43, v8
	ds_bpermute_b32 v78, v43, v9
	v_add_f64 v[10:11], v[10:11], v[22:23]
	s_waitcnt lgkmcnt(2)
	v_fma_f64 v[67:68], v[69:70], v[75:76], v[67:68]
	s_waitcnt vmcnt(9)
	v_mul_f64 v[69:70], v[85:86], v[73:74]
	s_waitcnt vmcnt(8) lgkmcnt(0)
	v_add_f64 v[73:74], v[87:88], -v[77:78]
	ds_bpermute_b32 v75, v42, v6
	ds_bpermute_b32 v76, v42, v7
	ds_bpermute_b32 v77, v44, v8
	ds_bpermute_b32 v78, v44, v9
	;; [unrolled: 11-line block ×3, first 2 shown]
	v_add_f64 v[10:11], v[10:11], v[16:17]
	ds_bpermute_b32 v16, v50, v8
	s_waitcnt lgkmcnt(3)
	v_fma_f64 v[67:68], v[69:70], v[75:76], v[67:68]
	s_waitcnt vmcnt(5)
	v_mul_f64 v[69:70], v[93:94], v[73:74]
	ds_bpermute_b32 v75, v44, v6
	ds_bpermute_b32 v76, v44, v7
	s_waitcnt vmcnt(4) lgkmcnt(3)
	v_add_f64 v[73:74], v[97:98], -v[77:78]
	ds_bpermute_b32 v77, v46, v8
	ds_bpermute_b32 v78, v46, v9
	;; [unrolled: 1-line block ×3, first 2 shown]
	v_add_f64 v[10:11], v[10:11], v[26:27]
	s_waitcnt lgkmcnt(3)
	v_fma_f64 v[67:68], v[69:70], v[75:76], v[67:68]
	s_waitcnt vmcnt(3) lgkmcnt(1)
	v_add_f64 v[75:76], v[101:102], -v[77:78]
	global_load_dwordx2 v[77:78], v[65:66], off
	v_add_co_u32_e32 v65, vcc, s36, v65
	v_addc_co_u32_e32 v66, vcc, v66, v64, vcc
	global_load_dwordx2 v[83:84], v[65:66], off
	v_add_co_u32_e32 v71, vcc, s36, v71
	v_addc_co_u32_e32 v72, vcc, v72, v64, vcc
	;; [unrolled: 3-line block ×3, first 2 shown]
	v_add_co_u32_e32 v65, vcc, s36, v65
	v_addc_co_u32_e32 v66, vcc, v66, v64, vcc
	global_load_dwordx2 v[91:92], v[65:66], off
	global_load_dwordx2 v[97:98], v[71:72], off
	v_add_co_u32_e32 v71, vcc, s36, v71
	v_addc_co_u32_e32 v72, vcc, v72, v64, vcc
	v_add_co_u32_e32 v65, vcc, s36, v65
	v_addc_co_u32_e32 v66, vcc, v66, v64, vcc
	global_load_dwordx2 v[101:102], v[65:66], off
	global_load_dwordx2 v[103:104], v[71:72], off
	v_add_co_u32_e32 v71, vcc, s36, v71
	v_addc_co_u32_e32 v72, vcc, v72, v64, vcc
	;; [unrolled: 6-line block ×3, first 2 shown]
	global_load_dwordx2 v[109:110], v[65:66], off
	v_add_co_u32_e32 v71, vcc, s36, v71
	v_addc_co_u32_e32 v72, vcc, v72, v64, vcc
	v_add_co_u32_e32 v12, vcc, s36, v65
	v_addc_co_u32_e32 v13, vcc, v66, v64, vcc
	global_load_dwordx2 v[111:112], v[71:72], off
	global_load_dwordx2 v[65:66], v[12:13], off
	s_waitcnt vmcnt(14)
	v_mul_f64 v[69:70], v[99:100], v[73:74]
	v_add_co_u32_e32 v71, vcc, s36, v71
	v_addc_co_u32_e32 v72, vcc, v72, v64, vcc
	ds_bpermute_b32 v73, v45, v6
	ds_bpermute_b32 v74, v45, v7
	v_add_co_u32_e32 v12, vcc, s36, v12
	v_addc_co_u32_e32 v13, vcc, v13, v64, vcc
	global_load_dwordx2 v[14:15], v[71:72], off
	global_load_dwordx2 v[113:114], v[12:13], off
	s_waitcnt lgkmcnt(0)
	v_fma_f64 v[67:68], v[69:70], v[73:74], v[67:68]
	s_waitcnt vmcnt(15)
	v_mul_f64 v[69:70], v[95:96], v[75:76]
	ds_bpermute_b32 v75, v47, v8
	ds_bpermute_b32 v76, v47, v9
	v_add_co_u32_e32 v71, vcc, s36, v71
	v_addc_co_u32_e32 v72, vcc, v72, v64, vcc
	ds_bpermute_b32 v73, v46, v6
	ds_bpermute_b32 v74, v46, v7
	v_add_co_u32_e32 v12, vcc, s36, v12
	v_addc_co_u32_e32 v13, vcc, v13, v64, vcc
	s_waitcnt vmcnt(13) lgkmcnt(2)
	v_add_f64 v[18:19], v[77:78], -v[75:76]
	global_load_dwordx2 v[75:76], v[71:72], off
	s_waitcnt lgkmcnt(0)
	v_fma_f64 v[20:21], v[69:70], v[73:74], v[67:68]
	ds_bpermute_b32 v67, v48, v8
	ds_bpermute_b32 v68, v48, v9
	;; [unrolled: 1-line block ×5, first 2 shown]
	v_mul_f64 v[18:19], v[79:80], v[18:19]
	s_waitcnt vmcnt(13) lgkmcnt(3)
	v_add_f64 v[22:23], v[83:84], -v[67:68]
	ds_bpermute_b32 v74, v49, v9
	global_load_dwordx2 v[67:68], v[12:13], off
	v_add_f64 v[10:11], v[10:11], v[28:29]
	s_waitcnt lgkmcnt(2)
	v_fma_f64 v[18:19], v[18:19], v[69:70], v[20:21]
	s_waitcnt vmcnt(13)
	v_mul_f64 v[20:21], v[87:88], v[22:23]
	s_waitcnt vmcnt(12) lgkmcnt(0)
	v_add_f64 v[24:25], v[91:92], -v[73:74]
	ds_bpermute_b32 v22, v48, v6
	ds_bpermute_b32 v23, v48, v7
	v_add_f64 v[10:11], v[10:11], v[81:82]
	s_waitcnt lgkmcnt(0)
	v_fma_f64 v[18:19], v[20:21], v[22:23], v[18:19]
	s_waitcnt vmcnt(11)
	v_mul_f64 v[20:21], v[97:98], v[24:25]
	s_waitcnt vmcnt(10)
	v_add_f64 v[16:17], v[101:102], -v[16:17]
	ds_bpermute_b32 v22, v49, v6
	ds_bpermute_b32 v23, v49, v7
	ds_bpermute_b32 v24, v51, v8
	ds_bpermute_b32 v25, v51, v9
	v_add_f64 v[10:11], v[10:11], v[85:86]
	s_waitcnt lgkmcnt(2)
	v_fma_f64 v[18:19], v[20:21], v[22:23], v[18:19]
	s_waitcnt vmcnt(9)
	v_mul_f64 v[16:17], v[103:104], v[16:17]
	s_waitcnt vmcnt(8) lgkmcnt(0)
	v_add_f64 v[20:21], v[105:106], -v[24:25]
	ds_bpermute_b32 v22, v50, v6
	ds_bpermute_b32 v23, v50, v7
	ds_bpermute_b32 v24, v52, v8
	ds_bpermute_b32 v25, v52, v9
	v_add_f64 v[10:11], v[10:11], v[89:90]
	s_waitcnt lgkmcnt(2)
	v_fma_f64 v[16:17], v[16:17], v[22:23], v[18:19]
	s_waitcnt vmcnt(7)
	v_mul_f64 v[18:19], v[107:108], v[20:21]
	s_waitcnt vmcnt(6) lgkmcnt(0)
	;; [unrolled: 11-line block ×4, first 2 shown]
	v_add_f64 v[22:23], v[113:114], -v[24:25]
	ds_bpermute_b32 v20, v53, v6
	ds_bpermute_b32 v21, v53, v7
	v_add_f64 v[10:11], v[10:11], v[95:96]
	s_waitcnt lgkmcnt(0)
	v_fma_f64 v[16:17], v[18:19], v[20:21], v[16:17]
	ds_bpermute_b32 v20, v54, v6
	ds_bpermute_b32 v21, v54, v7
	v_add_f64 v[10:11], v[10:11], v[79:80]
	s_waitcnt vmcnt(1)
	v_mul_f64 v[18:19], v[75:76], v[22:23]
	v_add_f64 v[10:11], v[10:11], v[87:88]
	s_waitcnt lgkmcnt(0)
	v_fma_f64 v[16:17], v[18:19], v[20:21], v[16:17]
	v_add_co_u32_e32 v20, vcc, s36, v71
	v_addc_co_u32_e32 v21, vcc, v72, v64, vcc
	global_load_dwordx2 v[22:23], v[20:21], off
	v_add_co_u32_e32 v20, vcc, s36, v20
	v_addc_co_u32_e32 v21, vcc, v21, v64, vcc
	v_add_co_u32_e32 v12, vcc, s36, v12
	v_addc_co_u32_e32 v13, vcc, v13, v64, vcc
	global_load_dwordx2 v[24:25], v[12:13], off
	global_load_dwordx2 v[26:27], v[20:21], off
	v_add_co_u32_e32 v12, vcc, s36, v12
	v_addc_co_u32_e32 v13, vcc, v13, v64, vcc
	global_load_dwordx2 v[28:29], v[12:13], off
	ds_bpermute_b32 v18, v55, v8
	ds_bpermute_b32 v19, v55, v9
	v_add_co_u32_e32 v20, vcc, s36, v20
	v_addc_co_u32_e32 v21, vcc, v21, v64, vcc
	v_add_co_u32_e32 v12, vcc, s36, v12
	s_waitcnt vmcnt(4) lgkmcnt(0)
	v_add_f64 v[18:19], v[67:68], -v[18:19]
	v_addc_co_u32_e32 v13, vcc, v13, v64, vcc
	global_load_dwordx2 v[65:66], v[20:21], off
	global_load_dwordx2 v[67:68], v[12:13], off
	v_add_co_u32_e32 v20, vcc, s36, v20
	v_addc_co_u32_e32 v21, vcc, v21, v64, vcc
	v_add_co_u32_e32 v12, vcc, s36, v12
	v_addc_co_u32_e32 v13, vcc, v13, v64, vcc
	global_load_dwordx2 v[69:70], v[20:21], off
	global_load_dwordx2 v[71:72], v[12:13], off
	v_add_co_u32_e32 v20, vcc, s36, v20
	v_addc_co_u32_e32 v21, vcc, v21, v64, vcc
	v_add_co_u32_e32 v12, vcc, s36, v12
	;; [unrolled: 6-line block ×3, first 2 shown]
	v_addc_co_u32_e32 v13, vcc, v13, v64, vcc
	v_add_f64 v[10:11], v[10:11], v[97:98]
	global_load_dwordx2 v[79:80], v[20:21], off
	global_load_dwordx2 v[81:82], v[12:13], off
	v_add_co_u32_e32 v20, vcc, s36, v20
	v_addc_co_u32_e32 v21, vcc, v21, v64, vcc
	v_add_co_u32_e32 v12, vcc, s36, v12
	v_add_f64 v[10:11], v[10:11], v[103:104]
	v_addc_co_u32_e32 v13, vcc, v13, v64, vcc
	global_load_dwordx2 v[83:84], v[20:21], off
	global_load_dwordx2 v[85:86], v[12:13], off
	v_add_co_u32_e32 v20, vcc, s36, v20
	v_addc_co_u32_e32 v21, vcc, v21, v64, vcc
	v_add_co_u32_e32 v12, vcc, s36, v12
	v_add_f64 v[10:11], v[10:11], v[107:108]
	v_addc_co_u32_e32 v13, vcc, v13, v64, vcc
	global_load_dwordx2 v[87:88], v[20:21], off
	global_load_dwordx2 v[89:90], v[12:13], off
	v_add_co_u32_e32 v20, vcc, s36, v20
	v_addc_co_u32_e32 v21, vcc, v21, v64, vcc
	v_add_f64 v[10:11], v[10:11], v[111:112]
	global_load_dwordx2 v[20:21], v[20:21], off
	ds_bpermute_b32 v12, v56, v8
	ds_bpermute_b32 v13, v56, v9
	v_add_co_u32_e32 v4, vcc, s30, v4
	v_add_f64 v[10:11], v[10:11], v[14:15]
	s_waitcnt vmcnt(16)
	v_mul_f64 v[14:15], v[22:23], v[18:19]
	s_waitcnt vmcnt(15) lgkmcnt(0)
	v_add_f64 v[12:13], v[24:25], -v[12:13]
	ds_bpermute_b32 v18, v55, v6
	ds_bpermute_b32 v19, v55, v7
	;; [unrolled: 1-line block ×4, first 2 shown]
	v_add_f64 v[10:11], v[10:11], v[75:76]
	s_waitcnt lgkmcnt(2)
	v_fma_f64 v[14:15], v[14:15], v[18:19], v[16:17]
	s_waitcnt vmcnt(14)
	v_mul_f64 v[12:13], v[26:27], v[12:13]
	s_waitcnt vmcnt(13) lgkmcnt(0)
	v_add_f64 v[18:19], v[28:29], -v[24:25]
	ds_bpermute_b32 v16, v56, v6
	ds_bpermute_b32 v17, v56, v7
	;; [unrolled: 1-line block ×4, first 2 shown]
	v_add_f64 v[10:11], v[10:11], v[22:23]
	ds_bpermute_b32 v22, v59, v8
	s_waitcnt lgkmcnt(3)
	v_fma_f64 v[12:13], v[12:13], v[16:17], v[14:15]
	s_waitcnt vmcnt(12)
	v_mul_f64 v[14:15], v[65:66], v[18:19]
	s_waitcnt vmcnt(11) lgkmcnt(1)
	v_add_f64 v[16:17], v[67:68], -v[24:25]
	ds_bpermute_b32 v18, v57, v6
	ds_bpermute_b32 v19, v57, v7
	;; [unrolled: 1-line block ×3, first 2 shown]
	v_add_f64 v[10:11], v[10:11], v[26:27]
	s_waitcnt lgkmcnt(1)
	v_fma_f64 v[12:13], v[14:15], v[18:19], v[12:13]
	s_waitcnt vmcnt(10)
	v_mul_f64 v[14:15], v[69:70], v[16:17]
	s_waitcnt vmcnt(9) lgkmcnt(0)
	v_add_f64 v[16:17], v[71:72], -v[22:23]
	ds_bpermute_b32 v18, v58, v6
	ds_bpermute_b32 v19, v58, v7
	v_add_f64 v[10:11], v[10:11], v[65:66]
	ds_bpermute_b32 v22, v60, v8
	ds_bpermute_b32 v23, v60, v9
	s_waitcnt lgkmcnt(2)
	v_fma_f64 v[12:13], v[14:15], v[18:19], v[12:13]
	s_waitcnt vmcnt(8)
	v_mul_f64 v[14:15], v[73:74], v[16:17]
	ds_bpermute_b32 v16, v59, v6
	s_waitcnt vmcnt(7) lgkmcnt(1)
	v_add_f64 v[18:19], v[77:78], -v[22:23]
	v_add_f64 v[10:11], v[10:11], v[69:70]
	ds_bpermute_b32 v17, v59, v7
	ds_bpermute_b32 v22, v61, v8
	;; [unrolled: 1-line block ×3, first 2 shown]
	s_waitcnt lgkmcnt(2)
	v_fma_f64 v[12:13], v[14:15], v[16:17], v[12:13]
	s_waitcnt vmcnt(6)
	v_mul_f64 v[14:15], v[79:80], v[18:19]
	v_add_f64 v[10:11], v[10:11], v[73:74]
	s_waitcnt vmcnt(5) lgkmcnt(0)
	v_add_f64 v[18:19], v[81:82], -v[22:23]
	ds_bpermute_b32 v16, v60, v6
	ds_bpermute_b32 v17, v60, v7
	;; [unrolled: 1-line block ×6, first 2 shown]
	s_waitcnt lgkmcnt(4)
	v_fma_f64 v[12:13], v[14:15], v[16:17], v[12:13]
	v_add_f64 v[10:11], v[10:11], v[79:80]
	s_waitcnt vmcnt(4)
	v_mul_f64 v[14:15], v[83:84], v[18:19]
	s_waitcnt vmcnt(3) lgkmcnt(2)
	v_add_f64 v[16:17], v[85:86], -v[22:23]
	ds_bpermute_b32 v18, v61, v6
	ds_bpermute_b32 v19, v61, v7
	v_add_f64 v[10:11], v[10:11], v[83:84]
	s_waitcnt lgkmcnt(0)
	v_fma_f64 v[12:13], v[14:15], v[18:19], v[12:13]
	s_waitcnt vmcnt(2)
	v_mul_f64 v[14:15], v[87:88], v[16:17]
	s_waitcnt vmcnt(1)
	v_add_f64 v[8:9], v[89:90], -v[8:9]
	ds_bpermute_b32 v16, v62, v6
	ds_bpermute_b32 v17, v62, v7
	;; [unrolled: 1-line block ×4, first 2 shown]
	v_add_f64 v[10:11], v[10:11], v[87:88]
	s_waitcnt lgkmcnt(2)
	v_fma_f64 v[12:13], v[14:15], v[16:17], v[12:13]
	s_waitcnt vmcnt(0)
	v_mul_f64 v[8:9], v[20:21], v[8:9]
	v_add_f64 v[10:11], v[10:11], v[20:21]
	s_waitcnt lgkmcnt(0)
	v_fma_f64 v[16:17], v[8:9], v[6:7], v[12:13]
	v_mov_b32_e32 v6, s31
	v_addc_co_u32_e32 v5, vcc, v5, v6, vcc
	v_add_co_u32_e32 v2, vcc, s28, v2
	v_mov_b32_e32 v6, s16
	v_addc_co_u32_e32 v3, vcc, 0, v3, vcc
	v_mov_b32_e32 v7, s17
	v_cmp_lt_i64_e32 vcc, s[24:25], v[6:7]
	v_mov_b32_e32 v8, s35
	v_addc_co_u32_e64 v40, s[4:5], v40, v8, s[4:5]
	s_cbranch_vccz .LBB37_10
.LBB37_7:                               ; =>This Inner Loop Header: Depth=1
	v_mov_b32_e32 v6, 0
	v_mov_b32_e32 v8, 0
	;; [unrolled: 1-line block ×4, first 2 shown]
	s_and_saveexec_b64 s[4:5], s[0:1]
	s_cbranch_execz .LBB37_6
; %bb.8:                                ;   in Loop: Header=BB37_7 Depth=1
	v_cmp_gt_i64_e32 vcc, s[16:17], v[2:3]
	v_mov_b32_e32 v8, 0
	v_mov_b32_e32 v6, 0
	v_mov_b32_e32 v9, 0
	v_mov_b32_e32 v7, 0
	s_and_saveexec_b64 s[38:39], vcc
	s_cbranch_execz .LBB37_5
; %bb.9:                                ;   in Loop: Header=BB37_7 Depth=1
	v_mov_b32_e32 v6, s15
	v_add_co_u32_e32 v12, vcc, s14, v4
	v_addc_co_u32_e32 v13, vcc, v6, v5, vcc
	v_mov_b32_e32 v6, s13
	v_add_co_u32_e32 v14, vcc, s12, v4
	v_addc_co_u32_e32 v15, vcc, v6, v5, vcc
	global_load_dwordx2 v[8:9], v[14:15], off
	global_load_dwordx2 v[6:7], v[12:13], off
	s_branch .LBB37_5
.LBB37_10:
	s_load_dword s0, s[26:27], 0xc
	v_mov_b32_e32 v2, 0
	v_mov_b32_e32 v3, s2
	s_mov_b32 s7, 0
	s_waitcnt lgkmcnt(0)
	s_lshr_b32 s0, s0, 16
	v_mad_u64_u32 v[2:3], s[0:1], s0, v3, v[1:2]
	s_lshl_b64 s[0:1], s[6:7], 5
	v_or_b32_e32 v0, s0, v0
	v_mul_lo_u32 v3, v3, s18
	v_mul_lo_u32 v4, v2, s19
	v_mov_b32_e32 v1, s1
	v_lshlrev_b64 v[0:1], 3, v[0:1]
	s_cmp_eq_u64 s[20:21], 0
	s_cbranch_scc1 .LBB37_12
; %bb.11:
	v_mad_u64_u32 v[5:6], s[0:1], v2, s18, 0
	v_mov_b32_e32 v7, s21
	v_add3_u32 v6, v6, v4, v3
	v_lshlrev_b64 v[5:6], 3, v[5:6]
	v_add_co_u32_e32 v5, vcc, s20, v5
	v_addc_co_u32_e32 v6, vcc, v7, v6, vcc
	v_add_co_u32_e32 v5, vcc, v5, v0
	v_addc_co_u32_e32 v6, vcc, v6, v1, vcc
	global_store_dwordx2 v[5:6], v[16:17], off
.LBB37_12:
	s_cmp_eq_u64 s[22:23], 0
	s_cbranch_scc1 .LBB37_14
; %bb.13:
	v_mad_u64_u32 v[5:6], s[0:1], v2, s18, 0
	v_mov_b32_e32 v7, s23
	v_add3_u32 v6, v6, v4, v3
	v_lshlrev_b64 v[2:3], 3, v[5:6]
	v_add_co_u32_e32 v2, vcc, s22, v2
	v_addc_co_u32_e32 v3, vcc, v7, v3, vcc
	v_add_co_u32_e32 v0, vcc, v2, v0
	v_addc_co_u32_e32 v1, vcc, v3, v1, vcc
	global_store_dwordx2 v[0:1], v[10:11], off
.LBB37_14:
	s_endpgm
	.section	.rodata,"a",@progbits
	.p2align	6, 0x0
	.amdhsa_kernel _ZN2at6native12_GLOBAL__N_135GammaBetaBackwardCUDAKernelTemplateIddLj32ELj1ELj32ELb1ELb1ELb0EEEvllPKT_S5_PKT0_S8_PS3_S9_
		.amdhsa_group_segment_fixed_size 0
		.amdhsa_private_segment_fixed_size 0
		.amdhsa_kernarg_size 320
		.amdhsa_user_sgpr_count 6
		.amdhsa_user_sgpr_private_segment_buffer 1
		.amdhsa_user_sgpr_dispatch_ptr 0
		.amdhsa_user_sgpr_queue_ptr 0
		.amdhsa_user_sgpr_kernarg_segment_ptr 1
		.amdhsa_user_sgpr_dispatch_id 0
		.amdhsa_user_sgpr_flat_scratch_init 0
		.amdhsa_user_sgpr_private_segment_size 0
		.amdhsa_uses_dynamic_stack 0
		.amdhsa_system_sgpr_private_segment_wavefront_offset 0
		.amdhsa_system_sgpr_workgroup_id_x 1
		.amdhsa_system_sgpr_workgroup_id_y 1
		.amdhsa_system_sgpr_workgroup_id_z 0
		.amdhsa_system_sgpr_workgroup_info 0
		.amdhsa_system_vgpr_workitem_id 1
		.amdhsa_next_free_vgpr 115
		.amdhsa_next_free_sgpr 40
		.amdhsa_reserve_vcc 1
		.amdhsa_reserve_flat_scratch 0
		.amdhsa_float_round_mode_32 0
		.amdhsa_float_round_mode_16_64 0
		.amdhsa_float_denorm_mode_32 3
		.amdhsa_float_denorm_mode_16_64 3
		.amdhsa_dx10_clamp 1
		.amdhsa_ieee_mode 1
		.amdhsa_fp16_overflow 0
		.amdhsa_exception_fp_ieee_invalid_op 0
		.amdhsa_exception_fp_denorm_src 0
		.amdhsa_exception_fp_ieee_div_zero 0
		.amdhsa_exception_fp_ieee_overflow 0
		.amdhsa_exception_fp_ieee_underflow 0
		.amdhsa_exception_fp_ieee_inexact 0
		.amdhsa_exception_int_div_zero 0
	.end_amdhsa_kernel
	.section	.text._ZN2at6native12_GLOBAL__N_135GammaBetaBackwardCUDAKernelTemplateIddLj32ELj1ELj32ELb1ELb1ELb0EEEvllPKT_S5_PKT0_S8_PS3_S9_,"axG",@progbits,_ZN2at6native12_GLOBAL__N_135GammaBetaBackwardCUDAKernelTemplateIddLj32ELj1ELj32ELb1ELb1ELb0EEEvllPKT_S5_PKT0_S8_PS3_S9_,comdat
.Lfunc_end37:
	.size	_ZN2at6native12_GLOBAL__N_135GammaBetaBackwardCUDAKernelTemplateIddLj32ELj1ELj32ELb1ELb1ELb0EEEvllPKT_S5_PKT0_S8_PS3_S9_, .Lfunc_end37-_ZN2at6native12_GLOBAL__N_135GammaBetaBackwardCUDAKernelTemplateIddLj32ELj1ELj32ELb1ELb1ELb0EEEvllPKT_S5_PKT0_S8_PS3_S9_
                                        ; -- End function
	.set _ZN2at6native12_GLOBAL__N_135GammaBetaBackwardCUDAKernelTemplateIddLj32ELj1ELj32ELb1ELb1ELb0EEEvllPKT_S5_PKT0_S8_PS3_S9_.num_vgpr, 115
	.set _ZN2at6native12_GLOBAL__N_135GammaBetaBackwardCUDAKernelTemplateIddLj32ELj1ELj32ELb1ELb1ELb0EEEvllPKT_S5_PKT0_S8_PS3_S9_.num_agpr, 0
	.set _ZN2at6native12_GLOBAL__N_135GammaBetaBackwardCUDAKernelTemplateIddLj32ELj1ELj32ELb1ELb1ELb0EEEvllPKT_S5_PKT0_S8_PS3_S9_.numbered_sgpr, 40
	.set _ZN2at6native12_GLOBAL__N_135GammaBetaBackwardCUDAKernelTemplateIddLj32ELj1ELj32ELb1ELb1ELb0EEEvllPKT_S5_PKT0_S8_PS3_S9_.num_named_barrier, 0
	.set _ZN2at6native12_GLOBAL__N_135GammaBetaBackwardCUDAKernelTemplateIddLj32ELj1ELj32ELb1ELb1ELb0EEEvllPKT_S5_PKT0_S8_PS3_S9_.private_seg_size, 0
	.set _ZN2at6native12_GLOBAL__N_135GammaBetaBackwardCUDAKernelTemplateIddLj32ELj1ELj32ELb1ELb1ELb0EEEvllPKT_S5_PKT0_S8_PS3_S9_.uses_vcc, 1
	.set _ZN2at6native12_GLOBAL__N_135GammaBetaBackwardCUDAKernelTemplateIddLj32ELj1ELj32ELb1ELb1ELb0EEEvllPKT_S5_PKT0_S8_PS3_S9_.uses_flat_scratch, 0
	.set _ZN2at6native12_GLOBAL__N_135GammaBetaBackwardCUDAKernelTemplateIddLj32ELj1ELj32ELb1ELb1ELb0EEEvllPKT_S5_PKT0_S8_PS3_S9_.has_dyn_sized_stack, 0
	.set _ZN2at6native12_GLOBAL__N_135GammaBetaBackwardCUDAKernelTemplateIddLj32ELj1ELj32ELb1ELb1ELb0EEEvllPKT_S5_PKT0_S8_PS3_S9_.has_recursion, 0
	.set _ZN2at6native12_GLOBAL__N_135GammaBetaBackwardCUDAKernelTemplateIddLj32ELj1ELj32ELb1ELb1ELb0EEEvllPKT_S5_PKT0_S8_PS3_S9_.has_indirect_call, 0
	.section	.AMDGPU.csdata,"",@progbits
; Kernel info:
; codeLenInByte = 4336
; TotalNumSgprs: 44
; NumVgprs: 115
; ScratchSize: 0
; MemoryBound: 0
; FloatMode: 240
; IeeeMode: 1
; LDSByteSize: 0 bytes/workgroup (compile time only)
; SGPRBlocks: 5
; VGPRBlocks: 28
; NumSGPRsForWavesPerEU: 44
; NumVGPRsForWavesPerEU: 115
; Occupancy: 2
; WaveLimiterHint : 0
; COMPUTE_PGM_RSRC2:SCRATCH_EN: 0
; COMPUTE_PGM_RSRC2:USER_SGPR: 6
; COMPUTE_PGM_RSRC2:TRAP_HANDLER: 0
; COMPUTE_PGM_RSRC2:TGID_X_EN: 1
; COMPUTE_PGM_RSRC2:TGID_Y_EN: 1
; COMPUTE_PGM_RSRC2:TGID_Z_EN: 0
; COMPUTE_PGM_RSRC2:TIDIG_COMP_CNT: 1
	.section	.text._ZN2at6native12_GLOBAL__N_135GammaBetaBackwardCUDAKernelTemplateIddLj32ELj1ELj32ELb1ELb0ELb0EEEvllPKT_S5_PKT0_S8_PS3_S9_,"axG",@progbits,_ZN2at6native12_GLOBAL__N_135GammaBetaBackwardCUDAKernelTemplateIddLj32ELj1ELj32ELb1ELb0ELb0EEEvllPKT_S5_PKT0_S8_PS3_S9_,comdat
	.globl	_ZN2at6native12_GLOBAL__N_135GammaBetaBackwardCUDAKernelTemplateIddLj32ELj1ELj32ELb1ELb0ELb0EEEvllPKT_S5_PKT0_S8_PS3_S9_ ; -- Begin function _ZN2at6native12_GLOBAL__N_135GammaBetaBackwardCUDAKernelTemplateIddLj32ELj1ELj32ELb1ELb0ELb0EEEvllPKT_S5_PKT0_S8_PS3_S9_
	.p2align	8
	.type	_ZN2at6native12_GLOBAL__N_135GammaBetaBackwardCUDAKernelTemplateIddLj32ELj1ELj32ELb1ELb0ELb0EEEvllPKT_S5_PKT0_S8_PS3_S9_,@function
_ZN2at6native12_GLOBAL__N_135GammaBetaBackwardCUDAKernelTemplateIddLj32ELj1ELj32ELb1ELb0ELb0EEEvllPKT_S5_PKT0_S8_PS3_S9_: ; @_ZN2at6native12_GLOBAL__N_135GammaBetaBackwardCUDAKernelTemplateIddLj32ELj1ELj32ELb1ELb0ELb0EEEvllPKT_S5_PKT0_S8_PS3_S9_
; %bb.0:
	s_mov_b64 s[42:43], s[2:3]
	s_mov_b64 s[40:41], s[0:1]
	s_add_u32 s40, s40, s8
	s_addc_u32 s41, s41, 0
	buffer_store_dword v1, off, s[40:43], 0 offset:484 ; 4-byte Folded Spill
	s_nop 0
	buffer_store_dword v2, off, s[40:43], 0 offset:488 ; 4-byte Folded Spill
	buffer_store_dword v0, off, s[40:43], 0 offset:44 ; 4-byte Folded Spill
	s_load_dwordx8 s[12:19], s[4:5], 0x0
	s_load_dwordx4 s[20:23], s[4:5], 0x20
	s_mov_b32 s8, s7
	s_lshl_b32 s7, s6, 5
	s_or_b32 s0, s7, 31
	v_mov_b32_e32 v0, s0
	v_mov_b32_e32 v1, 0
	s_lshl_b32 s24, s8, 5
	s_mov_b32 s25, 0
	s_waitcnt lgkmcnt(0)
	v_cmp_le_i64_e32 vcc, s[14:15], v[0:1]
	v_mov_b32_e32 v0, s24
	v_mov_b32_e32 v1, s25
	v_cmp_gt_i64_e64 s[0:1], s[12:13], v[0:1]
	v_cndmask_b32_e64 v0, 0, 1, s[0:1]
	v_cmp_ne_u32_e64 s[0:1], 1, v0
	s_cbranch_vccz .LBB38_144
; %bb.1:
	v_mov_b32_e32 v0, 0
	v_mov_b32_e32 v1, 0
	buffer_store_dword v0, off, s[40:43], 0 offset:8 ; 4-byte Folded Spill
	s_nop 0
	buffer_store_dword v1, off, s[40:43], 0 offset:12 ; 4-byte Folded Spill
	v_mov_b32_e32 v0, 0
	s_and_b64 vcc, exec, s[0:1]
	v_mov_b32_e32 v1, 0
	buffer_store_dword v0, off, s[40:43], 0 ; 4-byte Folded Spill
	s_nop 0
	buffer_store_dword v1, off, s[40:43], 0 offset:4 ; 4-byte Folded Spill
	s_cbranch_vccnz .LBB38_145
; %bb.2:
	buffer_load_dword v0, off, s[40:43], 0 offset:44 ; 4-byte Folded Reload
	v_mov_b32_e32 v10, 0
	v_mov_b32_e32 v8, v10
	s_add_u32 s26, s4, 64
	v_mov_b32_e32 v5, v10
	s_addc_u32 s27, s5, 0
	v_mov_b32_e32 v12, s19
	s_mov_b64 s[30:31], 31
	s_mov_b64 s[34:35], s[24:25]
	s_waitcnt vmcnt(0)
	v_add_u32_e32 v9, s7, v0
	buffer_load_dword v0, off, s[40:43], 0 offset:484 ; 4-byte Folded Reload
	buffer_load_dword v1, off, s[40:43], 0 offset:488 ; 4-byte Folded Reload
	s_load_dword s9, s[4:5], 0x44
	s_waitcnt lgkmcnt(0)
	s_lshl_b32 s9, s9, 5
	s_mul_i32 s10, s15, s9
	s_mul_hi_u32 s11, s14, s9
	s_add_i32 s11, s11, s10
	s_mul_i32 s10, s14, s9
	s_lshl_b64 s[28:29], s[10:11], 3
	s_waitcnt vmcnt(1)
	v_lshlrev_b32_e32 v0, 5, v0
	v_add_co_u32_e32 v3, vcc, s24, v0
	v_addc_co_u32_e64 v4, s[2:3], 0, 0, vcc
	v_mul_lo_u32 v7, s14, v4
	buffer_store_dword v7, off, s[40:43], 0 offset:80 ; 4-byte Folded Spill
	s_nop 0
	buffer_store_dword v8, off, s[40:43], 0 offset:84 ; 4-byte Folded Spill
	v_mul_lo_u32 v6, s15, v3
	s_waitcnt vmcnt(2)
	v_mad_u64_u32 v[1:2], s[2:3], s14, v3, 0
	v_cmp_gt_i64_e64 s[2:3], s[14:15], v[9:10]
	v_lshlrev_b64 v[8:9], 3, v[9:10]
	v_mov_b32_e32 v10, s17
	v_add3_u32 v2, v2, v7, v6
	v_lshlrev_b64 v[6:7], 3, v[1:2]
	v_add_co_u32_e32 v11, vcc, s16, v6
	v_addc_co_u32_e32 v144, vcc, v10, v7, vcc
	v_add_co_u32_e32 v10, vcc, 31, v3
	buffer_store_dword v11, off, s[40:43], 0 offset:16 ; 4-byte Folded Spill
	v_addc_co_u32_e32 v11, vcc, 0, v4, vcc
	v_mul_lo_u32 v13, s15, v10
	v_mul_lo_u32 v14, s14, v11
	v_mad_u64_u32 v[10:11], s[10:11], s14, v10, 0
	v_add_co_u32_e32 v145, vcc, s18, v6
	v_add3_u32 v11, v11, v14, v13
	v_addc_co_u32_e32 v146, vcc, v12, v7, vcc
	v_lshlrev_b64 v[6:7], 3, v[10:11]
	v_mov_b32_e32 v10, s17
	v_add_co_u32_e32 v147, vcc, s16, v6
	v_addc_co_u32_e32 v148, vcc, v10, v7, vcc
	v_add_co_u32_e32 v10, vcc, 30, v3
	v_addc_co_u32_e32 v11, vcc, 0, v4, vcc
	v_mul_lo_u32 v13, s15, v10
	v_mul_lo_u32 v14, s14, v11
	v_mad_u64_u32 v[10:11], s[10:11], s14, v10, 0
	v_add_co_u32_e32 v149, vcc, s18, v6
	v_add3_u32 v11, v11, v14, v13
	v_addc_co_u32_e32 v150, vcc, v12, v7, vcc
	v_lshlrev_b64 v[6:7], 3, v[10:11]
	v_mov_b32_e32 v10, s17
	v_add_co_u32_e32 v151, vcc, s16, v6
	v_addc_co_u32_e32 v152, vcc, v10, v7, vcc
	v_add_co_u32_e32 v10, vcc, 29, v3
	;; [unrolled: 12-line block ×27, first 2 shown]
	v_addc_co_u32_e32 v11, vcc, 0, v4, vcc
	v_mul_lo_u32 v13, s15, v10
	v_mul_lo_u32 v14, s14, v11
	v_mad_u64_u32 v[10:11], s[10:11], s14, v10, 0
	v_add_co_u32_e32 v253, vcc, s18, v6
	v_add3_u32 v11, v11, v14, v13
	v_lshlrev_b64 v[10:11], 3, v[10:11]
	v_addc_co_u32_e32 v254, vcc, v12, v7, vcc
	v_mov_b32_e32 v6, s17
	v_add_co_u32_e32 v255, vcc, s16, v10
	v_addc_co_u32_e32 v7, vcc, v6, v11, vcc
	v_add_co_u32_e32 v12, vcc, 3, v3
	v_addc_co_u32_e32 v13, vcc, 0, v4, vcc
	v_mul_lo_u32 v16, s15, v12
	v_mul_lo_u32 v17, s14, v13
	v_mad_u64_u32 v[14:15], s[10:11], s14, v12, 0
	v_mov_b32_e32 v6, s19
	v_add_co_u32_e32 v12, vcc, s18, v10
	v_add3_u32 v15, v15, v17, v16
	v_addc_co_u32_e32 v13, vcc, v6, v11, vcc
	v_lshlrev_b64 v[10:11], 3, v[14:15]
	v_mov_b32_e32 v6, s17
	v_add_co_u32_e32 v28, vcc, s16, v10
	v_addc_co_u32_e32 v29, vcc, v6, v11, vcc
	v_add_co_u32_e32 v3, vcc, 2, v3
	v_addc_co_u32_e32 v4, vcc, 0, v4, vcc
	v_mul_lo_u32 v14, s15, v3
	v_mul_lo_u32 v15, s14, v4
	v_mad_u64_u32 v[3:4], s[10:11], s14, v3, 0
	v_mov_b32_e32 v6, s19
	v_add_co_u32_e32 v36, vcc, s18, v10
	v_add3_u32 v4, v4, v15, v14
	v_lshlrev_b64 v[3:4], 3, v[3:4]
	v_addc_co_u32_e32 v37, vcc, v6, v11, vcc
	v_mov_b32_e32 v6, s17
	v_add_co_u32_e32 v44, vcc, s16, v3
	v_addc_co_u32_e32 v45, vcc, v6, v4, vcc
	v_mov_b32_e32 v6, s19
	v_add_co_u32_e32 v52, vcc, s18, v3
	;; [unrolled: 3-line block ×3, first 2 shown]
	v_addc_co_u32_e32 v2, vcc, v2, v3, vcc
	v_lshlrev_b64 v[1:2], 3, v[1:2]
	v_mov_b32_e32 v3, s17
	v_add_co_u32_e32 v60, vcc, s16, v1
	v_addc_co_u32_e32 v61, vcc, v3, v2, vcc
	v_mov_b32_e32 v3, s19
	v_add_co_u32_e32 v68, vcc, s18, v1
	v_addc_co_u32_e32 v69, vcc, v3, v2, vcc
	v_mov_b32_e32 v1, 0
	v_mov_b32_e32 v2, 0
	buffer_store_dword v1, off, s[40:43], 0 ; 4-byte Folded Spill
	s_nop 0
	buffer_store_dword v2, off, s[40:43], 0 offset:4 ; 4-byte Folded Spill
	v_mbcnt_lo_u32_b32 v1, -1, 0
	v_mbcnt_hi_u32_b32 v1, -1, v1
	v_lshlrev_b32_e32 v1, 2, v1
	v_and_b32_e32 v6, 0x100, v1
	v_mov_b32_e32 v1, 0
	v_mov_b32_e32 v2, 0
	buffer_store_dword v1, off, s[40:43], 0 offset:8 ; 4-byte Folded Spill
	s_nop 0
	buffer_store_dword v2, off, s[40:43], 0 offset:12 ; 4-byte Folded Spill
	s_branch .LBB38_5
.LBB38_3:                               ;   in Loop: Header=BB38_5 Depth=1
	s_or_b64 exec, exec, s[10:11]
	ds_bpermute_b32 v140, v6, v16
	ds_bpermute_b32 v141, v6, v17
	;; [unrolled: 1-line block ×4, first 2 shown]
	s_waitcnt lgkmcnt(2)
	v_add_f64 v[134:135], v[134:135], -v[140:141]
	buffer_load_dword v140, off, s[40:43], 0 ; 4-byte Folded Reload
	buffer_load_dword v141, off, s[40:43], 0 offset:4 ; 4-byte Folded Reload
	v_mul_f64 v[134:135], v[120:121], v[134:135]
	s_waitcnt vmcnt(0) lgkmcnt(0)
	v_fma_f64 v[34:35], v[134:135], v[34:35], v[140:141]
	buffer_load_dword v134, off, s[40:43], 0 offset:8 ; 4-byte Folded Reload
	buffer_load_dword v135, off, s[40:43], 0 offset:12 ; 4-byte Folded Reload
	ds_bpermute_b32 v140, v6, v16 offset:4
	ds_bpermute_b32 v141, v6, v17 offset:4
	s_waitcnt lgkmcnt(0)
	v_add_f64 v[136:137], v[136:137], -v[140:141]
	v_mul_f64 v[136:137], v[132:133], v[136:137]
	s_waitcnt vmcnt(0)
	v_add_f64 v[120:121], v[134:135], v[120:121]
	ds_bpermute_b32 v134, v6, v18 offset:4
	ds_bpermute_b32 v135, v6, v19 offset:4
	s_waitcnt lgkmcnt(0)
	v_fma_f64 v[34:35], v[136:137], v[134:135], v[34:35]
	ds_bpermute_b32 v134, v6, v16 offset:8
	ds_bpermute_b32 v135, v6, v17 offset:8
	v_add_f64 v[120:121], v[120:121], v[132:133]
	ds_bpermute_b32 v132, v6, v18 offset:8
	ds_bpermute_b32 v133, v6, v19 offset:8
	s_waitcnt lgkmcnt(2)
	v_add_f64 v[130:131], v[130:131], -v[134:135]
	v_add_f64 v[120:121], v[120:121], v[122:123]
	v_mul_f64 v[130:131], v[122:123], v[130:131]
	ds_bpermute_b32 v122, v6, v18 offset:12
	ds_bpermute_b32 v123, v6, v19 offset:12
	v_add_f64 v[120:121], v[120:121], v[126:127]
	s_waitcnt lgkmcnt(2)
	v_fma_f64 v[34:35], v[130:131], v[132:133], v[34:35]
	ds_bpermute_b32 v130, v6, v16 offset:12
	ds_bpermute_b32 v131, v6, v17 offset:12
	s_waitcnt lgkmcnt(0)
	v_add_f64 v[128:129], v[128:129], -v[130:131]
	v_mul_f64 v[128:129], v[126:127], v[128:129]
	ds_bpermute_b32 v126, v6, v16 offset:16
	ds_bpermute_b32 v127, v6, v17 offset:16
	s_waitcnt lgkmcnt(0)
	v_add_f64 v[124:125], v[124:125], -v[126:127]
	v_fma_f64 v[34:35], v[128:129], v[122:123], v[34:35]
	ds_bpermute_b32 v122, v6, v18 offset:16
	ds_bpermute_b32 v123, v6, v19 offset:16
	v_mul_f64 v[124:125], v[114:115], v[124:125]
	v_add_f64 v[114:115], v[120:121], v[114:115]
	ds_bpermute_b32 v120, v6, v18 offset:20
	ds_bpermute_b32 v121, v6, v19 offset:20
	s_waitcnt lgkmcnt(2)
	v_fma_f64 v[34:35], v[124:125], v[122:123], v[34:35]
	ds_bpermute_b32 v122, v6, v16 offset:20
	ds_bpermute_b32 v123, v6, v17 offset:20
	v_add_f64 v[114:115], v[114:115], v[116:117]
	s_waitcnt lgkmcnt(0)
	v_add_f64 v[118:119], v[118:119], -v[122:123]
	v_mul_f64 v[118:119], v[116:117], v[118:119]
	ds_bpermute_b32 v116, v6, v18 offset:24
	ds_bpermute_b32 v117, v6, v19 offset:24
	v_fma_f64 v[34:35], v[118:119], v[120:121], v[34:35]
	ds_bpermute_b32 v118, v6, v16 offset:24
	ds_bpermute_b32 v119, v6, v17 offset:24
	s_waitcnt lgkmcnt(0)
	v_add_f64 v[112:113], v[112:113], -v[118:119]
	v_mul_f64 v[112:113], v[106:107], v[112:113]
	v_add_f64 v[106:107], v[114:115], v[106:107]
	ds_bpermute_b32 v114, v6, v16 offset:28
	ds_bpermute_b32 v115, v6, v17 offset:28
	s_waitcnt lgkmcnt(0)
	v_add_f64 v[110:111], v[110:111], -v[114:115]
	v_fma_f64 v[34:35], v[112:113], v[116:117], v[34:35]
	ds_bpermute_b32 v112, v6, v18 offset:28
	ds_bpermute_b32 v113, v6, v19 offset:28
	v_add_f64 v[106:107], v[106:107], v[108:109]
	v_mul_f64 v[110:111], v[108:109], v[110:111]
	ds_bpermute_b32 v108, v6, v18 offset:32
	ds_bpermute_b32 v109, v6, v19 offset:32
	s_waitcnt lgkmcnt(2)
	v_fma_f64 v[34:35], v[110:111], v[112:113], v[34:35]
	ds_bpermute_b32 v110, v6, v16 offset:32
	ds_bpermute_b32 v111, v6, v17 offset:32
	s_waitcnt lgkmcnt(0)
	v_add_f64 v[3:4], v[3:4], -v[110:111]
	v_mul_f64 v[3:4], v[1:2], v[3:4]
	v_add_f64 v[1:2], v[106:107], v[1:2]
	ds_bpermute_b32 v106, v6, v16 offset:36
	ds_bpermute_b32 v107, v6, v17 offset:36
	s_waitcnt lgkmcnt(0)
	v_add_f64 v[104:105], v[104:105], -v[106:107]
	v_add_f64 v[1:2], v[1:2], v[102:103]
	v_fma_f64 v[3:4], v[3:4], v[108:109], v[34:35]
	ds_bpermute_b32 v34, v6, v18 offset:36
	ds_bpermute_b32 v35, v6, v19 offset:36
	v_mul_f64 v[104:105], v[102:103], v[104:105]
	ds_bpermute_b32 v102, v6, v16 offset:40
	ds_bpermute_b32 v103, v6, v17 offset:40
	v_add_f64 v[1:2], v[1:2], v[94:95]
	s_waitcnt lgkmcnt(0)
	v_add_f64 v[100:101], v[100:101], -v[102:103]
	v_fma_f64 v[3:4], v[104:105], v[34:35], v[3:4]
	ds_bpermute_b32 v34, v6, v18 offset:40
	ds_bpermute_b32 v35, v6, v19 offset:40
	v_add_f64 v[1:2], v[1:2], v[96:97]
	v_mul_f64 v[100:101], v[94:95], v[100:101]
	ds_bpermute_b32 v94, v6, v16 offset:44
	ds_bpermute_b32 v95, v6, v17 offset:44
	v_add_f64 v[1:2], v[1:2], v[86:87]
	s_waitcnt lgkmcnt(0)
	v_add_f64 v[94:95], v[98:99], -v[94:95]
	v_fma_f64 v[3:4], v[100:101], v[34:35], v[3:4]
	ds_bpermute_b32 v34, v6, v18 offset:44
	ds_bpermute_b32 v35, v6, v19 offset:44
	v_add_f64 v[1:2], v[1:2], v[88:89]
	v_mul_f64 v[94:95], v[96:97], v[94:95]
	v_add_f64 v[1:2], v[1:2], v[78:79]
	s_waitcnt lgkmcnt(0)
	v_fma_f64 v[3:4], v[94:95], v[34:35], v[3:4]
	ds_bpermute_b32 v94, v6, v16 offset:48
	ds_bpermute_b32 v95, v6, v17 offset:48
	;; [unrolled: 1-line block ×4, first 2 shown]
	v_add_f64 v[1:2], v[1:2], v[80:81]
	s_waitcnt lgkmcnt(2)
	v_add_f64 v[92:93], v[92:93], -v[94:95]
	v_add_f64 v[1:2], v[1:2], v[70:71]
	v_mul_f64 v[92:93], v[86:87], v[92:93]
	ds_bpermute_b32 v86, v6, v16 offset:52
	ds_bpermute_b32 v87, v6, v17 offset:52
	v_add_f64 v[1:2], v[1:2], v[72:73]
	s_waitcnt lgkmcnt(0)
	v_add_f64 v[86:87], v[90:91], -v[86:87]
	v_fma_f64 v[3:4], v[92:93], v[34:35], v[3:4]
	ds_bpermute_b32 v34, v6, v18 offset:52
	ds_bpermute_b32 v35, v6, v19 offset:52
	v_add_f64 v[1:2], v[1:2], v[62:63]
	v_mul_f64 v[86:87], v[88:89], v[86:87]
	v_add_f64 v[1:2], v[1:2], v[64:65]
	s_waitcnt lgkmcnt(0)
	v_fma_f64 v[3:4], v[86:87], v[34:35], v[3:4]
	ds_bpermute_b32 v86, v6, v16 offset:56
	ds_bpermute_b32 v87, v6, v17 offset:56
	;; [unrolled: 1-line block ×4, first 2 shown]
	s_waitcnt lgkmcnt(2)
	v_add_f64 v[84:85], v[84:85], -v[86:87]
	v_add_f64 v[1:2], v[1:2], v[54:55]
	v_mul_f64 v[84:85], v[78:79], v[84:85]
	ds_bpermute_b32 v78, v6, v16 offset:60
	ds_bpermute_b32 v79, v6, v17 offset:60
	v_add_f64 v[1:2], v[1:2], v[56:57]
	s_waitcnt lgkmcnt(0)
	v_add_f64 v[78:79], v[82:83], -v[78:79]
	v_fma_f64 v[3:4], v[84:85], v[34:35], v[3:4]
	ds_bpermute_b32 v34, v6, v18 offset:60
	ds_bpermute_b32 v35, v6, v19 offset:60
	v_add_f64 v[1:2], v[1:2], v[46:47]
	v_mul_f64 v[78:79], v[80:81], v[78:79]
	v_add_f64 v[1:2], v[1:2], v[48:49]
	s_waitcnt lgkmcnt(0)
	v_fma_f64 v[3:4], v[78:79], v[34:35], v[3:4]
	ds_bpermute_b32 v78, v6, v16 offset:64
	ds_bpermute_b32 v79, v6, v17 offset:64
	ds_bpermute_b32 v34, v6, v18 offset:64
	ds_bpermute_b32 v35, v6, v19 offset:64
	v_add_f64 v[1:2], v[1:2], v[38:39]
	s_waitcnt lgkmcnt(2)
	v_add_f64 v[76:77], v[76:77], -v[78:79]
	v_add_f64 v[1:2], v[1:2], v[40:41]
	v_mul_f64 v[76:77], v[70:71], v[76:77]
	ds_bpermute_b32 v70, v6, v16 offset:68
	ds_bpermute_b32 v71, v6, v17 offset:68
	v_add_f64 v[1:2], v[1:2], v[30:31]
	s_waitcnt lgkmcnt(0)
	v_add_f64 v[70:71], v[74:75], -v[70:71]
	v_fma_f64 v[3:4], v[76:77], v[34:35], v[3:4]
	ds_bpermute_b32 v34, v6, v18 offset:68
	ds_bpermute_b32 v35, v6, v19 offset:68
	v_add_f64 v[1:2], v[1:2], v[32:33]
	v_mul_f64 v[70:71], v[72:73], v[70:71]
	v_add_f64 v[1:2], v[1:2], v[22:23]
	s_waitcnt lgkmcnt(0)
	v_fma_f64 v[3:4], v[70:71], v[34:35], v[3:4]
	ds_bpermute_b32 v70, v6, v16 offset:72
	ds_bpermute_b32 v71, v6, v17 offset:72
	;; [unrolled: 1-line block ×4, first 2 shown]
	s_waitcnt lgkmcnt(2)
	v_add_f64 v[70:71], v[138:139], -v[70:71]
	v_mul_f64 v[70:71], v[62:63], v[70:71]
	ds_bpermute_b32 v62, v6, v16 offset:76
	ds_bpermute_b32 v63, v6, v17 offset:76
	s_waitcnt lgkmcnt(0)
	v_add_f64 v[62:63], v[66:67], -v[62:63]
	v_fma_f64 v[3:4], v[70:71], v[34:35], v[3:4]
	ds_bpermute_b32 v34, v6, v18 offset:76
	ds_bpermute_b32 v35, v6, v19 offset:76
	v_mul_f64 v[62:63], v[64:65], v[62:63]
	s_waitcnt lgkmcnt(0)
	v_fma_f64 v[3:4], v[62:63], v[34:35], v[3:4]
	ds_bpermute_b32 v62, v6, v16 offset:80
	ds_bpermute_b32 v63, v6, v17 offset:80
	ds_bpermute_b32 v34, v6, v18 offset:80
	ds_bpermute_b32 v35, v6, v19 offset:80
	s_waitcnt lgkmcnt(2)
	v_add_f64 v[26:27], v[26:27], -v[62:63]
	v_mul_f64 v[26:27], v[54:55], v[26:27]
	s_waitcnt lgkmcnt(0)
	v_fma_f64 v[3:4], v[26:27], v[34:35], v[3:4]
	ds_bpermute_b32 v34, v6, v16 offset:84
	ds_bpermute_b32 v35, v6, v17 offset:84
	ds_bpermute_b32 v26, v6, v18 offset:84
	ds_bpermute_b32 v27, v6, v19 offset:84
	s_waitcnt lgkmcnt(2)
	v_add_f64 v[34:35], v[58:59], -v[34:35]
	;; [unrolled: 9-line block ×3, first 2 shown]
	buffer_load_dword v34, off, s[40:43], 0 offset:36 ; 4-byte Folded Reload
	buffer_load_dword v35, off, s[40:43], 0 offset:40 ; 4-byte Folded Reload
	v_mul_f64 v[20:21], v[46:47], v[20:21]
	s_waitcnt lgkmcnt(0)
	v_fma_f64 v[3:4], v[20:21], v[26:27], v[3:4]
	ds_bpermute_b32 v26, v6, v16 offset:92
	ds_bpermute_b32 v27, v6, v17 offset:92
	ds_bpermute_b32 v20, v6, v18 offset:92
	ds_bpermute_b32 v21, v6, v19 offset:92
	s_waitcnt lgkmcnt(2)
	v_add_f64 v[26:27], v[50:51], -v[26:27]
	v_mul_f64 v[26:27], v[48:49], v[26:27]
	s_waitcnt lgkmcnt(0)
	v_fma_f64 v[3:4], v[26:27], v[20:21], v[3:4]
	ds_bpermute_b32 v26, v6, v16 offset:96
	ds_bpermute_b32 v27, v6, v17 offset:96
	ds_bpermute_b32 v20, v6, v18 offset:96
	ds_bpermute_b32 v21, v6, v19 offset:96
	s_waitcnt lgkmcnt(2)
	v_add_f64 v[26:27], v[142:143], -v[26:27]
	;; [unrolled: 9-line block ×3, first 2 shown]
	v_mul_f64 v[26:27], v[40:41], v[26:27]
	s_waitcnt lgkmcnt(0)
	v_fma_f64 v[3:4], v[26:27], v[20:21], v[3:4]
	ds_bpermute_b32 v26, v6, v16 offset:104
	ds_bpermute_b32 v27, v6, v17 offset:104
	;; [unrolled: 1-line block ×4, first 2 shown]
	s_waitcnt vmcnt(0) lgkmcnt(2)
	v_add_f64 v[26:27], v[34:35], -v[26:27]
	v_mul_f64 v[26:27], v[30:31], v[26:27]
	buffer_load_dword v30, off, s[40:43], 0 offset:28 ; 4-byte Folded Reload
	buffer_load_dword v31, off, s[40:43], 0 offset:32 ; 4-byte Folded Reload
	s_waitcnt lgkmcnt(0)
	v_fma_f64 v[3:4], v[26:27], v[20:21], v[3:4]
	ds_bpermute_b32 v26, v6, v16 offset:108
	ds_bpermute_b32 v27, v6, v17 offset:108
	;; [unrolled: 1-line block ×4, first 2 shown]
	s_waitcnt vmcnt(0) lgkmcnt(2)
	v_add_f64 v[26:27], v[30:31], -v[26:27]
	buffer_load_dword v30, off, s[40:43], 0 offset:64 ; 4-byte Folded Reload
	buffer_load_dword v31, off, s[40:43], 0 offset:68 ; 4-byte Folded Reload
	v_mul_f64 v[26:27], v[32:33], v[26:27]
	s_waitcnt lgkmcnt(0)
	v_fma_f64 v[3:4], v[26:27], v[20:21], v[3:4]
	ds_bpermute_b32 v26, v6, v16 offset:112
	ds_bpermute_b32 v27, v6, v17 offset:112
	;; [unrolled: 1-line block ×4, first 2 shown]
	s_waitcnt vmcnt(0) lgkmcnt(2)
	v_add_f64 v[26:27], v[30:31], -v[26:27]
	v_mul_f64 v[26:27], v[22:23], v[26:27]
	ds_bpermute_b32 v22, v6, v16 offset:116
	ds_bpermute_b32 v23, v6, v17 offset:116
	s_waitcnt lgkmcnt(2)
	v_fma_f64 v[3:4], v[26:27], v[20:21], v[3:4]
	buffer_load_dword v26, off, s[40:43], 0 offset:56 ; 4-byte Folded Reload
	buffer_load_dword v27, off, s[40:43], 0 offset:60 ; 4-byte Folded Reload
	ds_bpermute_b32 v20, v6, v18 offset:116
	ds_bpermute_b32 v21, v6, v19 offset:116
	s_waitcnt vmcnt(0) lgkmcnt(2)
	v_add_f64 v[22:23], v[26:27], -v[22:23]
	v_mul_f64 v[22:23], v[24:25], v[22:23]
	s_waitcnt lgkmcnt(0)
	v_fma_f64 v[3:4], v[22:23], v[20:21], v[3:4]
	v_add_f64 v[20:21], v[1:2], v[24:25]
	buffer_load_dword v24, off, s[40:43], 0 offset:48 ; 4-byte Folded Reload
	buffer_load_dword v25, off, s[40:43], 0 offset:52 ; 4-byte Folded Reload
	ds_bpermute_b32 v22, v6, v16 offset:120
	ds_bpermute_b32 v23, v6, v17 offset:120
	;; [unrolled: 1-line block ×6, first 2 shown]
	v_add_f64 v[20:21], v[20:21], v[14:15]
	s_waitcnt vmcnt(0) lgkmcnt(4)
	v_add_f64 v[22:23], v[24:25], -v[22:23]
	v_mul_f64 v[22:23], v[14:15], v[22:23]
	s_waitcnt lgkmcnt(2)
	v_fma_f64 v[1:2], v[22:23], v[1:2], v[3:4]
	ds_bpermute_b32 v3, v6, v18 offset:124
	ds_bpermute_b32 v4, v6, v19 offset:124
.LBB38_4:                               ;   in Loop: Header=BB38_5 Depth=1
	buffer_load_dword v14, off, s[40:43], 0 offset:20 ; 4-byte Folded Reload
	buffer_load_dword v15, off, s[40:43], 0 offset:24 ; 4-byte Folded Reload
	s_add_u32 s34, s34, s9
	s_addc_u32 s35, s35, 0
	s_add_u32 s30, s30, s9
	s_addc_u32 s31, 0, s31
	s_waitcnt vmcnt(0) lgkmcnt(2)
	v_add_f64 v[14:15], v[14:15], -v[16:17]
	v_add_f64 v[16:17], v[20:21], v[10:11]
	buffer_store_dword v16, off, s[40:43], 0 offset:8 ; 4-byte Folded Spill
	s_nop 0
	buffer_store_dword v17, off, s[40:43], 0 offset:12 ; 4-byte Folded Spill
	v_mul_f64 v[10:11], v[10:11], v[14:15]
	buffer_load_dword v14, off, s[40:43], 0 offset:16 ; 4-byte Folded Reload
	v_mov_b32_e32 v16, s29
	s_waitcnt lgkmcnt(0)
	v_fma_f64 v[1:2], v[10:11], v[3:4], v[1:2]
	s_waitcnt vmcnt(0)
	v_add_co_u32_e32 v14, vcc, s28, v14
	v_addc_co_u32_e32 v144, vcc, v144, v16, vcc
	v_add_co_u32_e32 v145, vcc, s28, v145
	v_addc_co_u32_e32 v146, vcc, v146, v16, vcc
	;; [unrolled: 2-line block ×63, first 2 shown]
	v_add_co_u32_e32 v68, vcc, s28, v68
	buffer_store_dword v14, off, s[40:43], 0 offset:16 ; 4-byte Folded Spill
	buffer_store_dword v1, off, s[40:43], 0 ; 4-byte Folded Spill
	s_nop 0
	buffer_store_dword v2, off, s[40:43], 0 offset:4 ; 4-byte Folded Spill
	v_addc_co_u32_e32 v69, vcc, v69, v16, vcc
	v_add_co_u32_e32 v0, vcc, s9, v0
	v_mov_b32_e32 v1, s12
	v_addc_co_u32_e32 v5, vcc, 0, v5, vcc
	v_mov_b32_e32 v2, s13
	v_cmp_lt_i64_e32 vcc, s[34:35], v[1:2]
	s_cbranch_vccz .LBB38_145
.LBB38_5:                               ; =>This Inner Loop Header: Depth=1
	s_add_u32 s10, s24, s30
	v_mov_b32_e32 v1, s12
	s_addc_u32 s11, 0, s31
	v_mov_b32_e32 v2, s13
	v_cmp_ge_i64_e32 vcc, s[10:11], v[1:2]
	v_add_co_u32_e64 v14, s[10:11], s24, v0
	v_addc_co_u32_e64 v15, s[10:11], 0, v5, s[10:11]
	s_mov_b64 s[10:11], -1
	s_and_b64 vcc, exec, vcc
                                        ; implicit-def: $vgpr1_vgpr2
                                        ; implicit-def: $vgpr3_vgpr4
                                        ; implicit-def: $vgpr10_vgpr11
                                        ; kill: killed $vgpr1_vgpr2
                                        ; implicit-def: $vgpr16
                                        ; implicit-def: $vgpr20_vgpr21
                                        ; implicit-def: $vgpr1_vgpr2
	s_cbranch_vccz .LBB38_75
; %bb.6:                                ;   in Loop: Header=BB38_5 Depth=1
	s_load_dword s10, s[26:27], 0xc
	buffer_load_dword v1, off, s[40:43], 0 offset:484 ; 4-byte Folded Reload
	buffer_load_dword v2, off, s[40:43], 0 offset:488 ; 4-byte Folded Reload
	;; [unrolled: 1-line block ×3, first 2 shown]
	v_mov_b32_e32 v118, 0
	v_mov_b32_e32 v18, 0
	s_waitcnt lgkmcnt(0)
	s_and_b32 s10, s10, 0xffff
	v_mov_b32_e32 v16, 0
	v_mov_b32_e32 v119, 0
	v_mov_b32_e32 v19, 0
	v_mov_b32_e32 v17, 0
	s_waitcnt vmcnt(0)
	v_mad_u32_u24 v1, v1, s10, v2
	v_and_b32_e32 v1, 63, v1
	v_cmp_gt_u32_e32 vcc, 32, v1
	s_and_saveexec_b64 s[10:11], vcc
	s_cbranch_execz .LBB38_10
; %bb.7:                                ;   in Loop: Header=BB38_5 Depth=1
	v_add_co_u32_e32 v1, vcc, v14, v1
	v_addc_co_u32_e32 v2, vcc, 0, v15, vcc
	v_cmp_gt_i64_e32 vcc, s[12:13], v[1:2]
	v_mov_b32_e32 v16, 0
	v_mov_b32_e32 v18, 0
	;; [unrolled: 1-line block ×4, first 2 shown]
	s_and_saveexec_b64 s[36:37], vcc
	s_cbranch_execz .LBB38_9
; %bb.8:                                ;   in Loop: Header=BB38_5 Depth=1
	v_lshlrev_b64 v[1:2], 3, v[1:2]
	v_mov_b32_e32 v4, s23
	v_add_co_u32_e32 v3, vcc, s22, v1
	v_addc_co_u32_e32 v4, vcc, v4, v2, vcc
	v_mov_b32_e32 v10, s21
	v_add_co_u32_e32 v1, vcc, s20, v1
	v_addc_co_u32_e32 v2, vcc, v10, v2, vcc
	global_load_dwordx2 v[16:17], v[1:2], off
	global_load_dwordx2 v[18:19], v[3:4], off
.LBB38_9:                               ;   in Loop: Header=BB38_5 Depth=1
	s_or_b64 exec, exec, s[36:37]
.LBB38_10:                              ;   in Loop: Header=BB38_5 Depth=1
	s_or_b64 exec, exec, s[10:11]
	v_cmp_gt_i64_e32 vcc, s[12:13], v[14:15]
	v_mov_b32_e32 v140, 0
	v_mov_b32_e32 v141, 0
	s_and_b64 s[36:37], s[2:3], vcc
	s_and_saveexec_b64 s[10:11], s[36:37]
	s_cbranch_execz .LBB38_12
; %bb.11:                               ;   in Loop: Header=BB38_5 Depth=1
	buffer_load_dword v1, off, s[40:43], 0 offset:16 ; 4-byte Folded Reload
	s_waitcnt vmcnt(0)
	v_add_co_u32_e32 v1, vcc, v1, v8
	v_addc_co_u32_e32 v2, vcc, v144, v9, vcc
	global_load_dwordx2 v[118:119], v[1:2], off
	v_add_co_u32_e32 v1, vcc, v145, v8
	v_addc_co_u32_e32 v2, vcc, v146, v9, vcc
	global_load_dwordx2 v[140:141], v[1:2], off
.LBB38_12:                              ;   in Loop: Header=BB38_5 Depth=1
	s_or_b64 exec, exec, s[10:11]
	v_add_co_u32_e32 v1, vcc, 1, v14
	v_addc_co_u32_e32 v2, vcc, 0, v15, vcc
	v_cmp_gt_i64_e32 vcc, s[12:13], v[1:2]
	v_mov_b32_e32 v126, 0
	v_mov_b32_e32 v136, 0
	v_mov_b32_e32 v142, 0
	v_mov_b32_e32 v127, 0
	v_mov_b32_e32 v137, 0
	v_mov_b32_e32 v143, 0
	s_and_b64 s[36:37], s[2:3], vcc
	s_and_saveexec_b64 s[10:11], s[36:37]
	s_cbranch_execz .LBB38_14
; %bb.13:                               ;   in Loop: Header=BB38_5 Depth=1
	v_add_co_u32_e32 v1, vcc, v60, v8
	v_addc_co_u32_e32 v2, vcc, v61, v9, vcc
	global_load_dwordx2 v[136:137], v[1:2], off
	v_add_co_u32_e32 v1, vcc, v68, v8
	v_addc_co_u32_e32 v2, vcc, v69, v9, vcc
	global_load_dwordx2 v[142:143], v[1:2], off
.LBB38_14:                              ;   in Loop: Header=BB38_5 Depth=1
	s_or_b64 exec, exec, s[10:11]
	v_add_co_u32_e32 v1, vcc, 2, v14
	v_addc_co_u32_e32 v2, vcc, 0, v15, vcc
	v_cmp_gt_i64_e32 vcc, s[12:13], v[1:2]
	v_mov_b32_e32 v138, 0
	v_mov_b32_e32 v139, 0
	s_and_b64 s[36:37], s[2:3], vcc
	s_and_saveexec_b64 s[10:11], s[36:37]
	s_cbranch_execz .LBB38_16
; %bb.15:                               ;   in Loop: Header=BB38_5 Depth=1
	v_add_co_u32_e32 v1, vcc, v44, v8
	v_addc_co_u32_e32 v2, vcc, v45, v9, vcc
	global_load_dwordx2 v[126:127], v[1:2], off
	v_add_co_u32_e32 v1, vcc, v52, v8
	v_addc_co_u32_e32 v2, vcc, v53, v9, vcc
	global_load_dwordx2 v[138:139], v[1:2], off
.LBB38_16:                              ;   in Loop: Header=BB38_5 Depth=1
	s_or_b64 exec, exec, s[10:11]
	v_add_co_u32_e32 v1, vcc, 3, v14
	v_addc_co_u32_e32 v2, vcc, 0, v15, vcc
	v_cmp_gt_i64_e32 vcc, s[12:13], v[1:2]
	v_mov_b32_e32 v120, 0
	v_mov_b32_e32 v132, 0
	v_mov_b32_e32 v134, 0
	v_mov_b32_e32 v121, 0
	v_mov_b32_e32 v133, 0
	v_mov_b32_e32 v135, 0
	s_and_b64 s[36:37], s[2:3], vcc
	s_and_saveexec_b64 s[10:11], s[36:37]
	s_cbranch_execz .LBB38_18
; %bb.17:                               ;   in Loop: Header=BB38_5 Depth=1
	v_add_co_u32_e32 v1, vcc, v28, v8
	v_addc_co_u32_e32 v2, vcc, v29, v9, vcc
	global_load_dwordx2 v[132:133], v[1:2], off
	v_add_co_u32_e32 v1, vcc, v36, v8
	v_addc_co_u32_e32 v2, vcc, v37, v9, vcc
	global_load_dwordx2 v[134:135], v[1:2], off
.LBB38_18:                              ;   in Loop: Header=BB38_5 Depth=1
	s_or_b64 exec, exec, s[10:11]
	v_add_co_u32_e32 v1, vcc, 4, v14
	v_addc_co_u32_e32 v2, vcc, 0, v15, vcc
	v_cmp_gt_i64_e32 vcc, s[12:13], v[1:2]
	v_mov_b32_e32 v130, 0
	v_mov_b32_e32 v131, 0
	s_and_b64 s[36:37], s[2:3], vcc
	s_and_saveexec_b64 s[10:11], s[36:37]
	s_cbranch_execz .LBB38_20
; %bb.19:                               ;   in Loop: Header=BB38_5 Depth=1
	v_add_co_u32_e32 v1, vcc, v255, v8
	v_addc_co_u32_e32 v2, vcc, v7, v9, vcc
	global_load_dwordx2 v[120:121], v[1:2], off
	v_add_co_u32_e32 v1, vcc, v12, v8
	v_addc_co_u32_e32 v2, vcc, v13, v9, vcc
	global_load_dwordx2 v[130:131], v[1:2], off
.LBB38_20:                              ;   in Loop: Header=BB38_5 Depth=1
	;; [unrolled: 38-line block ×12, first 2 shown]
	s_or_b64 exec, exec, s[10:11]
	v_add_co_u32_e32 v10, vcc, 25, v14
	v_addc_co_u32_e32 v11, vcc, 0, v15, vcc
	v_cmp_gt_i64_e32 vcc, s[12:13], v[10:11]
	v_mov_b32_e32 v30, 0
	v_mov_b32_e32 v42, 0
	v_mov_b32_e32 v10, 0
	v_mov_b32_e32 v31, 0
	v_mov_b32_e32 v43, 0
	v_mov_b32_e32 v11, 0
	s_and_b64 s[36:37], s[2:3], vcc
	buffer_store_dword v10, off, s[40:43], 0 offset:48 ; 4-byte Folded Spill
	s_nop 0
	buffer_store_dword v11, off, s[40:43], 0 offset:52 ; 4-byte Folded Spill
	s_and_saveexec_b64 s[10:11], s[36:37]
	s_cbranch_execz .LBB38_62
; %bb.61:                               ;   in Loop: Header=BB38_5 Depth=1
	v_add_co_u32_e32 v10, vcc, v171, v8
	v_addc_co_u32_e32 v11, vcc, v172, v9, vcc
	global_load_dwordx2 v[42:43], v[10:11], off
	v_add_co_u32_e32 v10, vcc, v173, v8
	v_addc_co_u32_e32 v11, vcc, v174, v9, vcc
	global_load_dwordx2 v[10:11], v[10:11], off
	s_waitcnt vmcnt(0)
	buffer_store_dword v10, off, s[40:43], 0 offset:48 ; 4-byte Folded Spill
	s_nop 0
	buffer_store_dword v11, off, s[40:43], 0 offset:52 ; 4-byte Folded Spill
.LBB38_62:                              ;   in Loop: Header=BB38_5 Depth=1
	s_or_b64 exec, exec, s[10:11]
	v_add_co_u32_e32 v10, vcc, 26, v14
	v_addc_co_u32_e32 v11, vcc, 0, v15, vcc
	v_cmp_gt_i64_e32 vcc, s[12:13], v[10:11]
	v_mov_b32_e32 v10, 0
	v_mov_b32_e32 v11, 0
	s_and_b64 s[36:37], s[2:3], vcc
	buffer_store_dword v10, off, s[40:43], 0 offset:36 ; 4-byte Folded Spill
	s_nop 0
	buffer_store_dword v11, off, s[40:43], 0 offset:40 ; 4-byte Folded Spill
	s_and_saveexec_b64 s[10:11], s[36:37]
	s_cbranch_execz .LBB38_64
; %bb.63:                               ;   in Loop: Header=BB38_5 Depth=1
	v_add_co_u32_e32 v10, vcc, v167, v8
	v_addc_co_u32_e32 v11, vcc, v168, v9, vcc
	global_load_dwordx2 v[30:31], v[10:11], off
	v_add_co_u32_e32 v10, vcc, v169, v8
	v_addc_co_u32_e32 v11, vcc, v170, v9, vcc
	global_load_dwordx2 v[10:11], v[10:11], off
	s_waitcnt vmcnt(0)
	buffer_store_dword v10, off, s[40:43], 0 offset:36 ; 4-byte Folded Spill
	s_nop 0
	buffer_store_dword v11, off, s[40:43], 0 offset:40 ; 4-byte Folded Spill
.LBB38_64:                              ;   in Loop: Header=BB38_5 Depth=1
	s_or_b64 exec, exec, s[10:11]
	v_add_co_u32_e32 v10, vcc, 27, v14
	v_addc_co_u32_e32 v11, vcc, 0, v15, vcc
	v_cmp_gt_i64_e32 vcc, s[12:13], v[10:11]
	v_mov_b32_e32 v24, 0
	v_mov_b32_e32 v34, 0
	;; [unrolled: 1-line block ×6, first 2 shown]
	s_and_b64 s[36:37], s[2:3], vcc
	buffer_store_dword v10, off, s[40:43], 0 offset:28 ; 4-byte Folded Spill
	s_nop 0
	buffer_store_dword v11, off, s[40:43], 0 offset:32 ; 4-byte Folded Spill
	s_and_saveexec_b64 s[10:11], s[36:37]
	s_cbranch_execz .LBB38_66
; %bb.65:                               ;   in Loop: Header=BB38_5 Depth=1
	v_add_co_u32_e32 v10, vcc, v163, v8
	v_addc_co_u32_e32 v11, vcc, v164, v9, vcc
	global_load_dwordx2 v[34:35], v[10:11], off
	v_add_co_u32_e32 v10, vcc, v165, v8
	v_addc_co_u32_e32 v11, vcc, v166, v9, vcc
	global_load_dwordx2 v[10:11], v[10:11], off
	s_waitcnt vmcnt(0)
	buffer_store_dword v10, off, s[40:43], 0 offset:28 ; 4-byte Folded Spill
	s_nop 0
	buffer_store_dword v11, off, s[40:43], 0 offset:32 ; 4-byte Folded Spill
.LBB38_66:                              ;   in Loop: Header=BB38_5 Depth=1
	s_or_b64 exec, exec, s[10:11]
	v_add_co_u32_e32 v10, vcc, 28, v14
	v_addc_co_u32_e32 v11, vcc, 0, v15, vcc
	v_cmp_gt_i64_e32 vcc, s[12:13], v[10:11]
	v_mov_b32_e32 v40, 0
	v_mov_b32_e32 v41, 0
	s_and_b64 s[36:37], s[2:3], vcc
	s_and_saveexec_b64 s[10:11], s[36:37]
	s_cbranch_execz .LBB38_68
; %bb.67:                               ;   in Loop: Header=BB38_5 Depth=1
	v_add_co_u32_e32 v10, vcc, v159, v8
	v_addc_co_u32_e32 v11, vcc, v160, v9, vcc
	global_load_dwordx2 v[24:25], v[10:11], off
	v_add_co_u32_e32 v10, vcc, v161, v8
	v_addc_co_u32_e32 v11, vcc, v162, v9, vcc
	global_load_dwordx2 v[40:41], v[10:11], off
.LBB38_68:                              ;   in Loop: Header=BB38_5 Depth=1
	s_or_b64 exec, exec, s[10:11]
	v_add_co_u32_e32 v10, vcc, 29, v14
	v_addc_co_u32_e32 v11, vcc, 0, v15, vcc
	v_cmp_gt_i64_e32 vcc, s[12:13], v[10:11]
	v_mov_b32_e32 v20, 0
	v_mov_b32_e32 v26, 0
	;; [unrolled: 1-line block ×6, first 2 shown]
	s_and_b64 s[36:37], s[2:3], vcc
	s_and_saveexec_b64 s[10:11], s[36:37]
	s_cbranch_execz .LBB38_70
; %bb.69:                               ;   in Loop: Header=BB38_5 Depth=1
	v_add_co_u32_e32 v10, vcc, v155, v8
	v_addc_co_u32_e32 v11, vcc, v156, v9, vcc
	global_load_dwordx2 v[26:27], v[10:11], off
	v_add_co_u32_e32 v10, vcc, v157, v8
	v_addc_co_u32_e32 v11, vcc, v158, v9, vcc
	global_load_dwordx2 v[22:23], v[10:11], off
.LBB38_70:                              ;   in Loop: Header=BB38_5 Depth=1
	s_or_b64 exec, exec, s[10:11]
	v_add_co_u32_e32 v10, vcc, 30, v14
	v_addc_co_u32_e32 v11, vcc, 0, v15, vcc
	v_cmp_gt_i64_e32 vcc, s[12:13], v[10:11]
	v_mov_b32_e32 v10, 0
	v_mov_b32_e32 v11, 0
	s_and_b64 s[36:37], s[2:3], vcc
	s_and_saveexec_b64 s[10:11], s[36:37]
	s_cbranch_execz .LBB38_72
; %bb.71:                               ;   in Loop: Header=BB38_5 Depth=1
	v_add_co_u32_e32 v10, vcc, v151, v8
	v_addc_co_u32_e32 v11, vcc, v152, v9, vcc
	global_load_dwordx2 v[20:21], v[10:11], off
	v_add_co_u32_e32 v10, vcc, v153, v8
	v_addc_co_u32_e32 v11, vcc, v154, v9, vcc
	global_load_dwordx2 v[10:11], v[10:11], off
.LBB38_72:                              ;   in Loop: Header=BB38_5 Depth=1
	s_or_b64 exec, exec, s[10:11]
	s_waitcnt vmcnt(0)
	buffer_store_dword v40, off, s[40:43], 0 offset:72 ; 4-byte Folded Spill
	s_nop 0
	buffer_store_dword v41, off, s[40:43], 0 offset:76 ; 4-byte Folded Spill
	buffer_store_dword v22, off, s[40:43], 0 offset:64 ; 4-byte Folded Spill
	s_nop 0
	buffer_store_dword v23, off, s[40:43], 0 offset:68 ; 4-byte Folded Spill
	;; [unrolled: 3-line block ×3, first 2 shown]
	v_add_co_u32_e32 v10, vcc, 31, v14
	v_addc_co_u32_e32 v11, vcc, 0, v15, vcc
	v_cmp_gt_i64_e32 vcc, s[12:13], v[10:11]
	v_mov_b32_e32 v10, 0
	v_mov_b32_e32 v22, 0
	;; [unrolled: 1-line block ×4, first 2 shown]
	s_and_b64 s[36:37], s[2:3], vcc
	buffer_store_dword v22, off, s[40:43], 0 offset:20 ; 4-byte Folded Spill
	s_nop 0
	buffer_store_dword v23, off, s[40:43], 0 offset:24 ; 4-byte Folded Spill
	s_and_saveexec_b64 s[10:11], s[36:37]
	s_cbranch_execz .LBB38_74
; %bb.73:                               ;   in Loop: Header=BB38_5 Depth=1
	v_add_co_u32_e32 v10, vcc, v147, v8
	v_addc_co_u32_e32 v11, vcc, v148, v9, vcc
	v_add_co_u32_e32 v40, vcc, v149, v8
	v_addc_co_u32_e32 v41, vcc, v150, v9, vcc
	global_load_dwordx2 v[10:11], v[10:11], off
	s_nop 0
	global_load_dwordx2 v[22:23], v[40:41], off
	s_waitcnt vmcnt(0)
	buffer_store_dword v22, off, s[40:43], 0 offset:20 ; 4-byte Folded Spill
	s_nop 0
	buffer_store_dword v23, off, s[40:43], 0 offset:24 ; 4-byte Folded Spill
.LBB38_74:                              ;   in Loop: Header=BB38_5 Depth=1
	s_or_b64 exec, exec, s[10:11]
	ds_bpermute_b32 v22, v6, v16
	ds_bpermute_b32 v23, v6, v17
	;; [unrolled: 1-line block ×4, first 2 shown]
	s_mov_b64 s[10:11], 0
	s_waitcnt lgkmcnt(2)
	v_add_f64 v[22:23], v[140:141], -v[22:23]
	buffer_load_dword v140, off, s[40:43], 0 ; 4-byte Folded Reload
	buffer_load_dword v141, off, s[40:43], 0 offset:4 ; 4-byte Folded Reload
	v_mul_f64 v[22:23], v[118:119], v[22:23]
	s_waitcnt vmcnt(0) lgkmcnt(0)
	v_fma_f64 v[22:23], v[22:23], v[40:41], v[140:141]
	buffer_load_dword v40, off, s[40:43], 0 offset:8 ; 4-byte Folded Reload
	buffer_load_dword v41, off, s[40:43], 0 offset:12 ; 4-byte Folded Reload
	ds_bpermute_b32 v140, v6, v16 offset:4
	ds_bpermute_b32 v141, v6, v17 offset:4
	s_waitcnt lgkmcnt(0)
	v_add_f64 v[140:141], v[142:143], -v[140:141]
	v_mul_f64 v[140:141], v[136:137], v[140:141]
	s_waitcnt vmcnt(0)
	v_add_f64 v[40:41], v[40:41], v[118:119]
	ds_bpermute_b32 v118, v6, v18 offset:4
	ds_bpermute_b32 v119, v6, v19 offset:4
	s_waitcnt lgkmcnt(0)
	v_fma_f64 v[22:23], v[140:141], v[118:119], v[22:23]
	v_add_f64 v[40:41], v[40:41], v[136:137]
	ds_bpermute_b32 v136, v6, v16 offset:8
	ds_bpermute_b32 v137, v6, v17 offset:8
	;; [unrolled: 1-line block ×4, first 2 shown]
	s_waitcnt lgkmcnt(2)
	v_add_f64 v[136:137], v[138:139], -v[136:137]
	v_add_f64 v[40:41], v[40:41], v[126:127]
	v_mul_f64 v[136:137], v[126:127], v[136:137]
	ds_bpermute_b32 v126, v6, v16 offset:12
	ds_bpermute_b32 v127, v6, v17 offset:12
	v_add_f64 v[40:41], v[40:41], v[132:133]
	s_waitcnt lgkmcnt(0)
	v_add_f64 v[126:127], v[134:135], -v[126:127]
	v_fma_f64 v[22:23], v[136:137], v[118:119], v[22:23]
	ds_bpermute_b32 v118, v6, v18 offset:12
	ds_bpermute_b32 v119, v6, v19 offset:12
	v_add_f64 v[40:41], v[40:41], v[120:121]
	v_mul_f64 v[126:127], v[132:133], v[126:127]
	v_add_f64 v[40:41], v[40:41], v[124:125]
	s_waitcnt lgkmcnt(0)
	v_fma_f64 v[22:23], v[126:127], v[118:119], v[22:23]
	ds_bpermute_b32 v126, v6, v16 offset:16
	ds_bpermute_b32 v127, v6, v17 offset:16
	;; [unrolled: 1-line block ×4, first 2 shown]
	v_add_f64 v[40:41], v[40:41], v[110:111]
	s_waitcnt lgkmcnt(2)
	v_add_f64 v[126:127], v[130:131], -v[126:127]
	v_add_f64 v[40:41], v[40:41], v[114:115]
	v_mul_f64 v[126:127], v[120:121], v[126:127]
	ds_bpermute_b32 v120, v6, v16 offset:20
	ds_bpermute_b32 v121, v6, v17 offset:20
	v_add_f64 v[40:41], v[40:41], v[102:103]
	s_waitcnt lgkmcnt(0)
	v_add_f64 v[120:121], v[128:129], -v[120:121]
	v_fma_f64 v[22:23], v[126:127], v[118:119], v[22:23]
	ds_bpermute_b32 v118, v6, v18 offset:20
	ds_bpermute_b32 v119, v6, v19 offset:20
	v_add_f64 v[40:41], v[40:41], v[106:107]
	v_mul_f64 v[120:121], v[124:125], v[120:121]
	v_add_f64 v[40:41], v[40:41], v[94:95]
	s_waitcnt lgkmcnt(0)
	v_fma_f64 v[22:23], v[120:121], v[118:119], v[22:23]
	ds_bpermute_b32 v120, v6, v16 offset:24
	ds_bpermute_b32 v121, v6, v17 offset:24
	;; [unrolled: 1-line block ×4, first 2 shown]
	s_waitcnt lgkmcnt(2)
	v_add_f64 v[120:121], v[122:123], -v[120:121]
	v_add_f64 v[40:41], v[40:41], v[98:99]
	v_mul_f64 v[120:121], v[110:111], v[120:121]
	ds_bpermute_b32 v110, v6, v18 offset:28
	ds_bpermute_b32 v111, v6, v19 offset:28
	v_add_f64 v[40:41], v[40:41], v[86:87]
	s_waitcnt lgkmcnt(2)
	v_fma_f64 v[22:23], v[120:121], v[118:119], v[22:23]
	ds_bpermute_b32 v118, v6, v16 offset:28
	ds_bpermute_b32 v119, v6, v17 offset:28
	v_add_f64 v[40:41], v[40:41], v[90:91]
	s_waitcnt lgkmcnt(0)
	v_add_f64 v[116:117], v[116:117], -v[118:119]
	v_add_f64 v[40:41], v[40:41], v[78:79]
	v_mul_f64 v[116:117], v[114:115], v[116:117]
	ds_bpermute_b32 v114, v6, v16 offset:32
	ds_bpermute_b32 v115, v6, v17 offset:32
	v_add_f64 v[40:41], v[40:41], v[82:83]
	s_waitcnt lgkmcnt(0)
	v_add_f64 v[112:113], v[112:113], -v[114:115]
	v_fma_f64 v[22:23], v[116:117], v[110:111], v[22:23]
	ds_bpermute_b32 v110, v6, v18 offset:32
	ds_bpermute_b32 v111, v6, v19 offset:32
	v_add_f64 v[40:41], v[40:41], v[70:71]
	v_mul_f64 v[112:113], v[102:103], v[112:113]
	ds_bpermute_b32 v102, v6, v18 offset:36
	ds_bpermute_b32 v103, v6, v19 offset:36
	v_add_f64 v[40:41], v[40:41], v[74:75]
	s_waitcnt lgkmcnt(2)
	v_fma_f64 v[22:23], v[112:113], v[110:111], v[22:23]
	ds_bpermute_b32 v110, v6, v16 offset:36
	ds_bpermute_b32 v111, v6, v17 offset:36
	v_add_f64 v[40:41], v[40:41], v[62:63]
	s_waitcnt lgkmcnt(0)
	v_add_f64 v[108:109], v[108:109], -v[110:111]
	v_mul_f64 v[108:109], v[106:107], v[108:109]
	ds_bpermute_b32 v106, v6, v16 offset:40
	ds_bpermute_b32 v107, v6, v17 offset:40
	s_waitcnt lgkmcnt(0)
	v_add_f64 v[104:105], v[104:105], -v[106:107]
	v_fma_f64 v[22:23], v[108:109], v[102:103], v[22:23]
	ds_bpermute_b32 v102, v6, v18 offset:40
	ds_bpermute_b32 v103, v6, v19 offset:40
	v_mul_f64 v[104:105], v[94:95], v[104:105]
	ds_bpermute_b32 v94, v6, v18 offset:44
	ds_bpermute_b32 v95, v6, v19 offset:44
	s_waitcnt lgkmcnt(2)
	v_fma_f64 v[22:23], v[104:105], v[102:103], v[22:23]
	ds_bpermute_b32 v102, v6, v16 offset:44
	ds_bpermute_b32 v103, v6, v17 offset:44
	s_waitcnt lgkmcnt(0)
	v_add_f64 v[100:101], v[100:101], -v[102:103]
	v_mul_f64 v[100:101], v[98:99], v[100:101]
	ds_bpermute_b32 v98, v6, v16 offset:48
	ds_bpermute_b32 v99, v6, v17 offset:48
	s_waitcnt lgkmcnt(0)
	v_add_f64 v[96:97], v[96:97], -v[98:99]
	v_fma_f64 v[22:23], v[100:101], v[94:95], v[22:23]
	ds_bpermute_b32 v94, v6, v18 offset:48
	ds_bpermute_b32 v95, v6, v19 offset:48
	v_mul_f64 v[96:97], v[86:87], v[96:97]
	ds_bpermute_b32 v86, v6, v18 offset:52
	ds_bpermute_b32 v87, v6, v19 offset:52
	s_waitcnt lgkmcnt(2)
	v_fma_f64 v[22:23], v[96:97], v[94:95], v[22:23]
	ds_bpermute_b32 v94, v6, v16 offset:52
	ds_bpermute_b32 v95, v6, v17 offset:52
	;; [unrolled: 17-line block ×5, first 2 shown]
	s_waitcnt lgkmcnt(0)
	v_add_f64 v[3:4], v[3:4], -v[70:71]
	v_mul_f64 v[3:4], v[66:67], v[3:4]
	v_fma_f64 v[3:4], v[3:4], v[62:63], v[22:23]
	ds_bpermute_b32 v62, v6, v16 offset:80
	ds_bpermute_b32 v63, v6, v17 offset:80
	v_add_f64 v[22:23], v[40:41], v[66:67]
	ds_bpermute_b32 v40, v6, v18 offset:80
	ds_bpermute_b32 v41, v6, v19 offset:80
	s_waitcnt lgkmcnt(2)
	v_add_f64 v[62:63], v[64:65], -v[62:63]
	v_add_f64 v[22:23], v[22:23], v[54:55]
	v_mul_f64 v[62:63], v[54:55], v[62:63]
	ds_bpermute_b32 v54, v6, v16 offset:84
	ds_bpermute_b32 v55, v6, v17 offset:84
	v_add_f64 v[22:23], v[22:23], v[58:59]
	s_waitcnt lgkmcnt(0)
	v_add_f64 v[32:33], v[32:33], -v[54:55]
	v_fma_f64 v[3:4], v[62:63], v[40:41], v[3:4]
	ds_bpermute_b32 v40, v6, v18 offset:84
	ds_bpermute_b32 v41, v6, v19 offset:84
	v_add_f64 v[22:23], v[22:23], v[46:47]
	v_mul_f64 v[32:33], v[58:59], v[32:33]
	s_waitcnt lgkmcnt(0)
	v_fma_f64 v[3:4], v[32:33], v[40:41], v[3:4]
	ds_bpermute_b32 v40, v6, v16 offset:88
	ds_bpermute_b32 v41, v6, v17 offset:88
	;; [unrolled: 1-line block ×4, first 2 shown]
	s_waitcnt lgkmcnt(2)
	v_add_f64 v[40:41], v[56:57], -v[40:41]
	v_mul_f64 v[40:41], v[46:47], v[40:41]
	s_waitcnt lgkmcnt(0)
	v_fma_f64 v[3:4], v[40:41], v[32:33], v[3:4]
	ds_bpermute_b32 v40, v6, v16 offset:92
	ds_bpermute_b32 v41, v6, v17 offset:92
	;; [unrolled: 1-line block ×4, first 2 shown]
	s_waitcnt lgkmcnt(2)
	v_add_f64 v[1:2], v[1:2], -v[40:41]
	v_mul_f64 v[1:2], v[50:51], v[1:2]
	s_waitcnt lgkmcnt(0)
	v_fma_f64 v[1:2], v[1:2], v[32:33], v[3:4]
	ds_bpermute_b32 v32, v6, v16 offset:96
	ds_bpermute_b32 v33, v6, v17 offset:96
	v_add_f64 v[3:4], v[22:23], v[50:51]
	ds_bpermute_b32 v22, v6, v18 offset:96
	ds_bpermute_b32 v23, v6, v19 offset:96
	s_waitcnt lgkmcnt(2)
	v_add_f64 v[32:33], v[48:49], -v[32:33]
	v_add_f64 v[3:4], v[3:4], v[38:39]
	v_mul_f64 v[32:33], v[38:39], v[32:33]
	buffer_load_dword v38, off, s[40:43], 0 offset:48 ; 4-byte Folded Reload
	buffer_load_dword v39, off, s[40:43], 0 offset:52 ; 4-byte Folded Reload
	v_add_f64 v[3:4], v[3:4], v[42:43]
	s_waitcnt lgkmcnt(0)
	v_fma_f64 v[1:2], v[32:33], v[22:23], v[1:2]
	ds_bpermute_b32 v32, v6, v16 offset:100
	ds_bpermute_b32 v33, v6, v17 offset:100
	;; [unrolled: 1-line block ×4, first 2 shown]
	v_add_f64 v[3:4], v[3:4], v[30:31]
	v_add_f64 v[3:4], v[3:4], v[34:35]
	;; [unrolled: 1-line block ×4, first 2 shown]
	s_waitcnt vmcnt(0) lgkmcnt(2)
	v_add_f64 v[32:33], v[38:39], -v[32:33]
	buffer_load_dword v38, off, s[40:43], 0 offset:36 ; 4-byte Folded Reload
	buffer_load_dword v39, off, s[40:43], 0 offset:40 ; 4-byte Folded Reload
	v_mul_f64 v[32:33], v[42:43], v[32:33]
	s_waitcnt lgkmcnt(0)
	v_fma_f64 v[1:2], v[32:33], v[22:23], v[1:2]
	ds_bpermute_b32 v32, v6, v16 offset:104
	ds_bpermute_b32 v33, v6, v17 offset:104
	;; [unrolled: 1-line block ×4, first 2 shown]
	s_waitcnt vmcnt(0) lgkmcnt(2)
	v_add_f64 v[32:33], v[38:39], -v[32:33]
	v_mul_f64 v[32:33], v[30:31], v[32:33]
	ds_bpermute_b32 v30, v6, v16 offset:108
	ds_bpermute_b32 v31, v6, v17 offset:108
	s_waitcnt lgkmcnt(2)
	v_fma_f64 v[1:2], v[32:33], v[22:23], v[1:2]
	buffer_load_dword v32, off, s[40:43], 0 offset:28 ; 4-byte Folded Reload
	buffer_load_dword v33, off, s[40:43], 0 offset:32 ; 4-byte Folded Reload
	ds_bpermute_b32 v22, v6, v18 offset:108
	ds_bpermute_b32 v23, v6, v19 offset:108
	s_waitcnt vmcnt(0) lgkmcnt(2)
	v_add_f64 v[30:31], v[32:33], -v[30:31]
	buffer_load_dword v32, off, s[40:43], 0 offset:72 ; 4-byte Folded Reload
	buffer_load_dword v33, off, s[40:43], 0 offset:76 ; 4-byte Folded Reload
	v_mul_f64 v[30:31], v[34:35], v[30:31]
	s_waitcnt lgkmcnt(0)
	v_fma_f64 v[1:2], v[30:31], v[22:23], v[1:2]
	ds_bpermute_b32 v30, v6, v16 offset:112
	ds_bpermute_b32 v31, v6, v17 offset:112
	;; [unrolled: 1-line block ×4, first 2 shown]
	s_waitcnt vmcnt(0) lgkmcnt(2)
	v_add_f64 v[30:31], v[32:33], -v[30:31]
	v_mul_f64 v[30:31], v[24:25], v[30:31]
	ds_bpermute_b32 v24, v6, v16 offset:116
	ds_bpermute_b32 v25, v6, v17 offset:116
	s_waitcnt lgkmcnt(2)
	v_fma_f64 v[1:2], v[30:31], v[22:23], v[1:2]
	buffer_load_dword v30, off, s[40:43], 0 offset:64 ; 4-byte Folded Reload
	buffer_load_dword v31, off, s[40:43], 0 offset:68 ; 4-byte Folded Reload
	ds_bpermute_b32 v22, v6, v18 offset:116
	ds_bpermute_b32 v23, v6, v19 offset:116
	s_waitcnt vmcnt(0) lgkmcnt(2)
	v_add_f64 v[24:25], v[30:31], -v[24:25]
	v_mul_f64 v[24:25], v[26:27], v[24:25]
	buffer_load_dword v26, off, s[40:43], 0 offset:56 ; 4-byte Folded Reload
	buffer_load_dword v27, off, s[40:43], 0 offset:60 ; 4-byte Folded Reload
	s_waitcnt lgkmcnt(0)
	v_fma_f64 v[1:2], v[24:25], v[22:23], v[1:2]
	ds_bpermute_b32 v24, v6, v16 offset:120
	ds_bpermute_b32 v25, v6, v17 offset:120
	;; [unrolled: 1-line block ×6, first 2 shown]
	s_waitcnt vmcnt(0) lgkmcnt(4)
	v_add_f64 v[24:25], v[26:27], -v[24:25]
	v_mul_f64 v[24:25], v[20:21], v[24:25]
	v_add_f64 v[20:21], v[3:4], v[20:21]
	ds_bpermute_b32 v3, v6, v18 offset:124
	ds_bpermute_b32 v4, v6, v19 offset:124
	s_waitcnt lgkmcnt(4)
	v_fma_f64 v[1:2], v[24:25], v[22:23], v[1:2]
.LBB38_75:                              ;   in Loop: Header=BB38_5 Depth=1
	s_and_b64 vcc, exec, s[10:11]
	s_cbranch_vccz .LBB38_4
; %bb.76:                               ;   in Loop: Header=BB38_5 Depth=1
	s_load_dword s10, s[26:27], 0x0
	buffer_load_dword v1, off, s[40:43], 0 offset:80 ; 4-byte Folded Reload
	buffer_load_dword v2, off, s[40:43], 0 offset:84 ; 4-byte Folded Reload
	v_mov_b32_e32 v120, 0
	v_mov_b32_e32 v18, 0
	s_waitcnt lgkmcnt(0)
	v_mov_b32_e32 v16, 0
	s_cmp_lt_u32 s6, s10
	s_cselect_b32 s10, 12, 18
	s_add_u32 s10, s26, s10
	s_addc_u32 s11, s27, 0
	v_mov_b32_e32 v121, 0
	v_mov_b32_e32 v19, 0
	;; [unrolled: 1-line block ×3, first 2 shown]
	s_waitcnt vmcnt(0)
	global_load_ushort v1, v2, s[10:11]
	s_nop 0
	buffer_load_dword v2, off, s[40:43], 0 offset:484 ; 4-byte Folded Reload
	buffer_load_dword v3, off, s[40:43], 0 offset:488 ; 4-byte Folded Reload
	;; [unrolled: 1-line block ×3, first 2 shown]
	s_waitcnt vmcnt(0)
	v_mad_u32_u24 v1, v2, v1, v3
	v_and_b32_e32 v1, 63, v1
	v_cmp_gt_u32_e32 vcc, 32, v1
	s_and_saveexec_b64 s[10:11], vcc
	s_cbranch_execz .LBB38_80
; %bb.77:                               ;   in Loop: Header=BB38_5 Depth=1
	v_add_co_u32_e32 v1, vcc, v14, v1
	v_addc_co_u32_e32 v2, vcc, 0, v15, vcc
	v_cmp_gt_i64_e32 vcc, s[12:13], v[1:2]
	v_mov_b32_e32 v16, 0
	v_mov_b32_e32 v18, 0
	;; [unrolled: 1-line block ×4, first 2 shown]
	s_and_saveexec_b64 s[36:37], vcc
	s_cbranch_execz .LBB38_79
; %bb.78:                               ;   in Loop: Header=BB38_5 Depth=1
	v_lshlrev_b64 v[1:2], 3, v[1:2]
	v_mov_b32_e32 v4, s23
	v_add_co_u32_e32 v3, vcc, s22, v1
	v_addc_co_u32_e32 v4, vcc, v4, v2, vcc
	v_mov_b32_e32 v10, s21
	v_add_co_u32_e32 v1, vcc, s20, v1
	v_addc_co_u32_e32 v2, vcc, v10, v2, vcc
	global_load_dwordx2 v[16:17], v[1:2], off
	global_load_dwordx2 v[18:19], v[3:4], off
.LBB38_79:                              ;   in Loop: Header=BB38_5 Depth=1
	s_or_b64 exec, exec, s[36:37]
.LBB38_80:                              ;   in Loop: Header=BB38_5 Depth=1
	s_or_b64 exec, exec, s[10:11]
	v_mov_b32_e32 v134, 0
	v_mov_b32_e32 v135, 0
	s_and_saveexec_b64 s[10:11], s[2:3]
	s_cbranch_execz .LBB38_82
; %bb.81:                               ;   in Loop: Header=BB38_5 Depth=1
	buffer_load_dword v1, off, s[40:43], 0 offset:16 ; 4-byte Folded Reload
	s_waitcnt vmcnt(0)
	v_add_co_u32_e32 v1, vcc, v1, v8
	v_addc_co_u32_e32 v2, vcc, v144, v9, vcc
	global_load_dwordx2 v[120:121], v[1:2], off
	v_add_co_u32_e32 v1, vcc, v145, v8
	v_addc_co_u32_e32 v2, vcc, v146, v9, vcc
	global_load_dwordx2 v[134:135], v[1:2], off
.LBB38_82:                              ;   in Loop: Header=BB38_5 Depth=1
	s_or_b64 exec, exec, s[10:11]
	v_mov_b32_e32 v122, 0
	v_mov_b32_e32 v132, 0
	v_mov_b32_e32 v136, 0
	v_mov_b32_e32 v123, 0
	v_mov_b32_e32 v133, 0
	v_mov_b32_e32 v137, 0
	s_and_saveexec_b64 s[10:11], s[2:3]
	s_cbranch_execz .LBB38_84
; %bb.83:                               ;   in Loop: Header=BB38_5 Depth=1
	v_add_co_u32_e32 v1, vcc, v60, v8
	v_addc_co_u32_e32 v2, vcc, v61, v9, vcc
	global_load_dwordx2 v[132:133], v[1:2], off
	v_add_co_u32_e32 v1, vcc, v68, v8
	v_addc_co_u32_e32 v2, vcc, v69, v9, vcc
	global_load_dwordx2 v[136:137], v[1:2], off
.LBB38_84:                              ;   in Loop: Header=BB38_5 Depth=1
	s_or_b64 exec, exec, s[10:11]
	v_mov_b32_e32 v130, 0
	v_mov_b32_e32 v131, 0
	s_and_saveexec_b64 s[10:11], s[2:3]
	s_cbranch_execz .LBB38_86
; %bb.85:                               ;   in Loop: Header=BB38_5 Depth=1
	v_add_co_u32_e32 v1, vcc, v44, v8
	v_addc_co_u32_e32 v2, vcc, v45, v9, vcc
	global_load_dwordx2 v[122:123], v[1:2], off
	v_add_co_u32_e32 v1, vcc, v52, v8
	v_addc_co_u32_e32 v2, vcc, v53, v9, vcc
	global_load_dwordx2 v[130:131], v[1:2], off
.LBB38_86:                              ;   in Loop: Header=BB38_5 Depth=1
	s_or_b64 exec, exec, s[10:11]
	v_mov_b32_e32 v114, 0
	v_mov_b32_e32 v126, 0
	v_mov_b32_e32 v128, 0
	v_mov_b32_e32 v115, 0
	v_mov_b32_e32 v127, 0
	v_mov_b32_e32 v129, 0
	s_and_saveexec_b64 s[10:11], s[2:3]
	s_cbranch_execz .LBB38_88
; %bb.87:                               ;   in Loop: Header=BB38_5 Depth=1
	v_add_co_u32_e32 v1, vcc, v28, v8
	v_addc_co_u32_e32 v2, vcc, v29, v9, vcc
	global_load_dwordx2 v[126:127], v[1:2], off
	v_add_co_u32_e32 v1, vcc, v36, v8
	v_addc_co_u32_e32 v2, vcc, v37, v9, vcc
	global_load_dwordx2 v[128:129], v[1:2], off
.LBB38_88:                              ;   in Loop: Header=BB38_5 Depth=1
	s_or_b64 exec, exec, s[10:11]
	v_mov_b32_e32 v124, 0
	v_mov_b32_e32 v125, 0
	s_and_saveexec_b64 s[10:11], s[2:3]
	s_cbranch_execz .LBB38_90
; %bb.89:                               ;   in Loop: Header=BB38_5 Depth=1
	v_add_co_u32_e32 v1, vcc, v255, v8
	v_addc_co_u32_e32 v2, vcc, v7, v9, vcc
	global_load_dwordx2 v[114:115], v[1:2], off
	v_add_co_u32_e32 v1, vcc, v12, v8
	v_addc_co_u32_e32 v2, vcc, v13, v9, vcc
	global_load_dwordx2 v[124:125], v[1:2], off
.LBB38_90:                              ;   in Loop: Header=BB38_5 Depth=1
	s_or_b64 exec, exec, s[10:11]
	v_mov_b32_e32 v106, 0
	v_mov_b32_e32 v116, 0
	v_mov_b32_e32 v118, 0
	v_mov_b32_e32 v107, 0
	v_mov_b32_e32 v117, 0
	v_mov_b32_e32 v119, 0
	s_and_saveexec_b64 s[10:11], s[2:3]
	s_cbranch_execz .LBB38_92
; %bb.91:                               ;   in Loop: Header=BB38_5 Depth=1
	v_add_co_u32_e32 v1, vcc, v251, v8
	v_addc_co_u32_e32 v2, vcc, v252, v9, vcc
	global_load_dwordx2 v[116:117], v[1:2], off
	v_add_co_u32_e32 v1, vcc, v253, v8
	v_addc_co_u32_e32 v2, vcc, v254, v9, vcc
	global_load_dwordx2 v[118:119], v[1:2], off
.LBB38_92:                              ;   in Loop: Header=BB38_5 Depth=1
	s_or_b64 exec, exec, s[10:11]
	v_mov_b32_e32 v112, 0
	v_mov_b32_e32 v113, 0
	s_and_saveexec_b64 s[10:11], s[2:3]
	s_cbranch_execz .LBB38_94
; %bb.93:                               ;   in Loop: Header=BB38_5 Depth=1
	v_add_co_u32_e32 v1, vcc, v247, v8
	v_addc_co_u32_e32 v2, vcc, v248, v9, vcc
	global_load_dwordx2 v[106:107], v[1:2], off
	v_add_co_u32_e32 v1, vcc, v249, v8
	v_addc_co_u32_e32 v2, vcc, v250, v9, vcc
	global_load_dwordx2 v[112:113], v[1:2], off
.LBB38_94:                              ;   in Loop: Header=BB38_5 Depth=1
	s_or_b64 exec, exec, s[10:11]
	v_mov_b32_e32 v1, 0
	v_mov_b32_e32 v108, 0
	;; [unrolled: 1-line block ×6, first 2 shown]
	s_and_saveexec_b64 s[10:11], s[2:3]
	s_cbranch_execz .LBB38_96
; %bb.95:                               ;   in Loop: Header=BB38_5 Depth=1
	v_add_co_u32_e32 v3, vcc, v243, v8
	v_addc_co_u32_e32 v4, vcc, v244, v9, vcc
	global_load_dwordx2 v[108:109], v[3:4], off
	v_add_co_u32_e32 v3, vcc, v245, v8
	v_addc_co_u32_e32 v4, vcc, v246, v9, vcc
	global_load_dwordx2 v[110:111], v[3:4], off
.LBB38_96:                              ;   in Loop: Header=BB38_5 Depth=1
	s_or_b64 exec, exec, s[10:11]
	v_mov_b32_e32 v3, 0
	v_mov_b32_e32 v4, 0
	s_and_saveexec_b64 s[10:11], s[2:3]
	s_cbranch_execz .LBB38_98
; %bb.97:                               ;   in Loop: Header=BB38_5 Depth=1
	v_add_co_u32_e32 v1, vcc, v239, v8
	v_addc_co_u32_e32 v2, vcc, v240, v9, vcc
	v_add_co_u32_e32 v3, vcc, v241, v8
	v_addc_co_u32_e32 v4, vcc, v242, v9, vcc
	global_load_dwordx2 v[1:2], v[1:2], off
	s_nop 0
	global_load_dwordx2 v[3:4], v[3:4], off
.LBB38_98:                              ;   in Loop: Header=BB38_5 Depth=1
	s_or_b64 exec, exec, s[10:11]
	v_mov_b32_e32 v94, 0
	v_mov_b32_e32 v102, 0
	;; [unrolled: 1-line block ×6, first 2 shown]
	s_and_saveexec_b64 s[10:11], s[2:3]
	s_cbranch_execz .LBB38_100
; %bb.99:                               ;   in Loop: Header=BB38_5 Depth=1
	v_add_co_u32_e32 v10, vcc, v235, v8
	v_addc_co_u32_e32 v11, vcc, v236, v9, vcc
	global_load_dwordx2 v[102:103], v[10:11], off
	v_add_co_u32_e32 v10, vcc, v237, v8
	v_addc_co_u32_e32 v11, vcc, v238, v9, vcc
	global_load_dwordx2 v[104:105], v[10:11], off
.LBB38_100:                             ;   in Loop: Header=BB38_5 Depth=1
	s_or_b64 exec, exec, s[10:11]
	v_mov_b32_e32 v100, 0
	v_mov_b32_e32 v101, 0
	s_and_saveexec_b64 s[10:11], s[2:3]
	s_cbranch_execz .LBB38_102
; %bb.101:                              ;   in Loop: Header=BB38_5 Depth=1
	v_add_co_u32_e32 v10, vcc, v231, v8
	v_addc_co_u32_e32 v11, vcc, v232, v9, vcc
	global_load_dwordx2 v[94:95], v[10:11], off
	v_add_co_u32_e32 v10, vcc, v233, v8
	v_addc_co_u32_e32 v11, vcc, v234, v9, vcc
	global_load_dwordx2 v[100:101], v[10:11], off
.LBB38_102:                             ;   in Loop: Header=BB38_5 Depth=1
	s_or_b64 exec, exec, s[10:11]
	v_mov_b32_e32 v86, 0
	v_mov_b32_e32 v96, 0
	v_mov_b32_e32 v98, 0
	v_mov_b32_e32 v87, 0
	v_mov_b32_e32 v97, 0
	v_mov_b32_e32 v99, 0
	s_and_saveexec_b64 s[10:11], s[2:3]
	s_cbranch_execz .LBB38_104
; %bb.103:                              ;   in Loop: Header=BB38_5 Depth=1
	v_add_co_u32_e32 v10, vcc, v227, v8
	v_addc_co_u32_e32 v11, vcc, v228, v9, vcc
	global_load_dwordx2 v[96:97], v[10:11], off
	v_add_co_u32_e32 v10, vcc, v229, v8
	v_addc_co_u32_e32 v11, vcc, v230, v9, vcc
	global_load_dwordx2 v[98:99], v[10:11], off
.LBB38_104:                             ;   in Loop: Header=BB38_5 Depth=1
	s_or_b64 exec, exec, s[10:11]
	v_mov_b32_e32 v92, 0
	v_mov_b32_e32 v93, 0
	s_and_saveexec_b64 s[10:11], s[2:3]
	s_cbranch_execz .LBB38_106
; %bb.105:                              ;   in Loop: Header=BB38_5 Depth=1
	v_add_co_u32_e32 v10, vcc, v223, v8
	v_addc_co_u32_e32 v11, vcc, v224, v9, vcc
	global_load_dwordx2 v[86:87], v[10:11], off
	v_add_co_u32_e32 v10, vcc, v225, v8
	v_addc_co_u32_e32 v11, vcc, v226, v9, vcc
	global_load_dwordx2 v[92:93], v[10:11], off
.LBB38_106:                             ;   in Loop: Header=BB38_5 Depth=1
	s_or_b64 exec, exec, s[10:11]
	v_mov_b32_e32 v78, 0
	v_mov_b32_e32 v88, 0
	v_mov_b32_e32 v90, 0
	v_mov_b32_e32 v79, 0
	v_mov_b32_e32 v89, 0
	v_mov_b32_e32 v91, 0
	s_and_saveexec_b64 s[10:11], s[2:3]
	s_cbranch_execz .LBB38_108
; %bb.107:                              ;   in Loop: Header=BB38_5 Depth=1
	v_add_co_u32_e32 v10, vcc, v219, v8
	v_addc_co_u32_e32 v11, vcc, v220, v9, vcc
	global_load_dwordx2 v[88:89], v[10:11], off
	v_add_co_u32_e32 v10, vcc, v221, v8
	v_addc_co_u32_e32 v11, vcc, v222, v9, vcc
	global_load_dwordx2 v[90:91], v[10:11], off
.LBB38_108:                             ;   in Loop: Header=BB38_5 Depth=1
	;; [unrolled: 30-line block ×8, first 2 shown]
	s_or_b64 exec, exec, s[10:11]
	v_mov_b32_e32 v10, 0
	v_mov_b32_e32 v11, 0
	buffer_store_dword v10, off, s[40:43], 0 offset:36 ; 4-byte Folded Spill
	s_nop 0
	buffer_store_dword v11, off, s[40:43], 0 offset:40 ; 4-byte Folded Spill
	s_and_saveexec_b64 s[10:11], s[2:3]
	s_cbranch_execz .LBB38_134
; %bb.133:                              ;   in Loop: Header=BB38_5 Depth=1
	v_add_co_u32_e32 v10, vcc, v167, v8
	v_addc_co_u32_e32 v11, vcc, v168, v9, vcc
	global_load_dwordx2 v[30:31], v[10:11], off
	v_add_co_u32_e32 v10, vcc, v169, v8
	v_addc_co_u32_e32 v11, vcc, v170, v9, vcc
	global_load_dwordx2 v[10:11], v[10:11], off
	s_waitcnt vmcnt(0)
	buffer_store_dword v10, off, s[40:43], 0 offset:36 ; 4-byte Folded Spill
	s_nop 0
	buffer_store_dword v11, off, s[40:43], 0 offset:40 ; 4-byte Folded Spill
.LBB38_134:                             ;   in Loop: Header=BB38_5 Depth=1
	s_or_b64 exec, exec, s[10:11]
	v_mov_b32_e32 v22, 0
	v_mov_b32_e32 v32, 0
	;; [unrolled: 1-line block ×6, first 2 shown]
	buffer_store_dword v10, off, s[40:43], 0 offset:28 ; 4-byte Folded Spill
	s_nop 0
	buffer_store_dword v11, off, s[40:43], 0 offset:32 ; 4-byte Folded Spill
	s_and_saveexec_b64 s[10:11], s[2:3]
	s_cbranch_execz .LBB38_136
; %bb.135:                              ;   in Loop: Header=BB38_5 Depth=1
	v_add_co_u32_e32 v10, vcc, v163, v8
	v_addc_co_u32_e32 v11, vcc, v164, v9, vcc
	global_load_dwordx2 v[32:33], v[10:11], off
	v_add_co_u32_e32 v10, vcc, v165, v8
	v_addc_co_u32_e32 v11, vcc, v166, v9, vcc
	global_load_dwordx2 v[10:11], v[10:11], off
	s_waitcnt vmcnt(0)
	buffer_store_dword v10, off, s[40:43], 0 offset:28 ; 4-byte Folded Spill
	s_nop 0
	buffer_store_dword v11, off, s[40:43], 0 offset:32 ; 4-byte Folded Spill
.LBB38_136:                             ;   in Loop: Header=BB38_5 Depth=1
	s_or_b64 exec, exec, s[10:11]
	v_mov_b32_e32 v140, 0
	v_mov_b32_e32 v141, 0
	s_and_saveexec_b64 s[10:11], s[2:3]
	s_cbranch_execz .LBB38_138
; %bb.137:                              ;   in Loop: Header=BB38_5 Depth=1
	v_add_co_u32_e32 v10, vcc, v159, v8
	v_addc_co_u32_e32 v11, vcc, v160, v9, vcc
	global_load_dwordx2 v[22:23], v[10:11], off
	v_add_co_u32_e32 v10, vcc, v161, v8
	v_addc_co_u32_e32 v11, vcc, v162, v9, vcc
	global_load_dwordx2 v[140:141], v[10:11], off
.LBB38_138:                             ;   in Loop: Header=BB38_5 Depth=1
	s_or_b64 exec, exec, s[10:11]
	v_mov_b32_e32 v14, 0
	v_mov_b32_e32 v24, 0
	v_mov_b32_e32 v34, 0
	v_mov_b32_e32 v15, 0
	v_mov_b32_e32 v25, 0
	v_mov_b32_e32 v35, 0
	s_and_saveexec_b64 s[10:11], s[2:3]
	s_cbranch_execz .LBB38_140
; %bb.139:                              ;   in Loop: Header=BB38_5 Depth=1
	v_add_co_u32_e32 v10, vcc, v155, v8
	v_addc_co_u32_e32 v11, vcc, v156, v9, vcc
	global_load_dwordx2 v[24:25], v[10:11], off
	v_add_co_u32_e32 v10, vcc, v157, v8
	v_addc_co_u32_e32 v11, vcc, v158, v9, vcc
	global_load_dwordx2 v[34:35], v[10:11], off
.LBB38_140:                             ;   in Loop: Header=BB38_5 Depth=1
	s_or_b64 exec, exec, s[10:11]
	v_mov_b32_e32 v10, 0
	v_mov_b32_e32 v11, 0
	s_and_saveexec_b64 s[10:11], s[2:3]
	s_cbranch_execz .LBB38_142
; %bb.141:                              ;   in Loop: Header=BB38_5 Depth=1
	v_add_co_u32_e32 v10, vcc, v151, v8
	v_addc_co_u32_e32 v11, vcc, v152, v9, vcc
	global_load_dwordx2 v[14:15], v[10:11], off
	v_add_co_u32_e32 v10, vcc, v153, v8
	v_addc_co_u32_e32 v11, vcc, v154, v9, vcc
	global_load_dwordx2 v[10:11], v[10:11], off
.LBB38_142:                             ;   in Loop: Header=BB38_5 Depth=1
	s_or_b64 exec, exec, s[10:11]
	s_waitcnt vmcnt(0)
	buffer_store_dword v140, off, s[40:43], 0 offset:64 ; 4-byte Folded Spill
	s_nop 0
	buffer_store_dword v141, off, s[40:43], 0 offset:68 ; 4-byte Folded Spill
	buffer_store_dword v34, off, s[40:43], 0 offset:56 ; 4-byte Folded Spill
	s_nop 0
	buffer_store_dword v35, off, s[40:43], 0 offset:60 ; 4-byte Folded Spill
	;; [unrolled: 3-line block ×3, first 2 shown]
	v_mov_b32_e32 v10, 0
	v_mov_b32_e32 v34, 0
	;; [unrolled: 1-line block ×4, first 2 shown]
	buffer_store_dword v34, off, s[40:43], 0 offset:20 ; 4-byte Folded Spill
	s_nop 0
	buffer_store_dword v35, off, s[40:43], 0 offset:24 ; 4-byte Folded Spill
	s_and_saveexec_b64 s[10:11], s[2:3]
	s_cbranch_execz .LBB38_3
; %bb.143:                              ;   in Loop: Header=BB38_5 Depth=1
	v_add_co_u32_e32 v10, vcc, v147, v8
	v_addc_co_u32_e32 v11, vcc, v148, v9, vcc
	v_add_co_u32_e32 v34, vcc, v149, v8
	v_addc_co_u32_e32 v35, vcc, v150, v9, vcc
	global_load_dwordx2 v[10:11], v[10:11], off
	s_nop 0
	global_load_dwordx2 v[34:35], v[34:35], off
	s_waitcnt vmcnt(0)
	buffer_store_dword v34, off, s[40:43], 0 offset:20 ; 4-byte Folded Spill
	s_nop 0
	buffer_store_dword v35, off, s[40:43], 0 offset:24 ; 4-byte Folded Spill
	s_branch .LBB38_3
.LBB38_144:
                                        ; implicit-def: $vgpr0_vgpr1
                                        ; kill: killed $vgpr0_vgpr1
                                        ; implicit-def: $vgpr0_vgpr1
                                        ; kill: killed $vgpr0_vgpr1
	s_branch .LBB38_146
.LBB38_145:
	s_cbranch_execnz .LBB38_225
.LBB38_146:
	v_mov_b32_e32 v0, 0
	v_mov_b32_e32 v1, 0
	buffer_store_dword v0, off, s[40:43], 0 offset:8 ; 4-byte Folded Spill
	s_nop 0
	buffer_store_dword v1, off, s[40:43], 0 offset:12 ; 4-byte Folded Spill
	v_mov_b32_e32 v0, 0
	s_and_b64 vcc, exec, s[0:1]
	v_mov_b32_e32 v1, 0
	buffer_store_dword v0, off, s[40:43], 0 ; 4-byte Folded Spill
	s_nop 0
	buffer_store_dword v1, off, s[40:43], 0 offset:4 ; 4-byte Folded Spill
	s_cbranch_vccnz .LBB38_225
; %bb.147:
	buffer_load_dword v0, off, s[40:43], 0 offset:484 ; 4-byte Folded Reload
	buffer_load_dword v1, off, s[40:43], 0 offset:488 ; 4-byte Folded Reload
	s_add_u32 s2, s4, 64
	s_addc_u32 s3, s5, 0
	v_mov_b32_e32 v128, s17
	v_mov_b32_e32 v130, s19
	;; [unrolled: 1-line block ×5, first 2 shown]
	s_waitcnt vmcnt(1)
	v_mov_b32_e32 v7, v0
	v_lshlrev_b32_e32 v136, 5, v7
	v_add_co_u32_e32 v0, vcc, s24, v136
	v_addc_co_u32_e64 v4, s[0:1], 0, 0, vcc
	s_waitcnt vmcnt(0)
	v_mul_lo_u32 v1, s15, v0
	v_mul_lo_u32 v5, s14, v4
	v_mad_u64_u32 v[2:3], s[0:1], s14, v0, 0
	s_lshl_b64 s[0:1], s[24:25], 3
	v_add3_u32 v3, v3, v5, v1
	v_lshlrev_b64 v[5:6], 3, v[2:3]
	v_mov_b32_e32 v1, s17
	v_add_co_u32_e32 v8, vcc, s16, v5
	v_addc_co_u32_e32 v1, vcc, v1, v6, vcc
	buffer_store_dword v1, off, s[40:43], 0 offset:20 ; 4-byte Folded Spill
	v_mov_b32_e32 v1, s19
	v_add_co_u32_e32 v5, vcc, s18, v5
	v_addc_co_u32_e32 v1, vcc, v1, v6, vcc
	buffer_store_dword v1, off, s[40:43], 0 offset:36 ; 4-byte Folded Spill
	v_lshlrev_b32_e32 v1, 8, v7
	buffer_store_dword v5, off, s[40:43], 0 offset:28 ; 4-byte Folded Spill
	v_mov_b32_e32 v6, s1
	v_add_co_u32_e32 v5, vcc, s0, v1
	v_addc_co_u32_e32 v6, vcc, 0, v6, vcc
	v_add_co_u32_e32 v1, vcc, 8, v5
	v_addc_co_u32_e32 v9, vcc, 0, v6, vcc
	v_add_co_u32_e32 v16, vcc, 16, v5
	buffer_store_dword v8, off, s[40:43], 0 offset:16 ; 4-byte Folded Spill
	v_mad_u64_u32 v[7:8], s[0:1], s14, v1, v[127:128]
	v_mul_lo_u32 v14, s14, v9
	v_mul_lo_u32 v15, s15, v1
	v_mad_u64_u32 v[9:10], s[0:1], s14, v1, v[129:130]
	v_addc_co_u32_e32 v1, vcc, 0, v6, vcc
	v_mul_lo_u32 v21, s14, v1
	v_add_co_u32_e32 v1, vcc, s14, v2
	v_addc_co_u32_e32 v2, vcc, v3, v13, vcc
	v_add_co_u32_e32 v3, vcc, 24, v5
	v_mul_lo_u32 v22, s15, v16
	v_mad_u64_u32 v[11:12], s[0:1], s14, v16, v[127:128]
	v_add3_u32 v8, v15, v8, v14
	v_add3_u32 v10, v15, v10, v14
	v_mad_u64_u32 v[13:14], s[0:1], s14, v16, v[129:130]
	v_addc_co_u32_e32 v15, vcc, 0, v6, vcc
	v_mul_lo_u32 v23, s14, v15
	v_mul_lo_u32 v24, s15, v3
	v_mad_u64_u32 v[15:16], s[0:1], s14, v3, v[127:128]
	v_mad_u64_u32 v[17:18], s[0:1], s14, v3, v[129:130]
	v_add_co_u32_e32 v3, vcc, 32, v5
	v_addc_co_u32_e32 v19, vcc, 0, v6, vcc
	v_add3_u32 v12, v22, v12, v21
	v_mul_lo_u32 v29, s14, v19
	v_mul_lo_u32 v30, s15, v3
	v_mad_u64_u32 v[19:20], s[0:1], s14, v3, v[127:128]
	v_add3_u32 v14, v22, v14, v21
	v_mad_u64_u32 v[21:22], s[0:1], s14, v3, v[129:130]
	v_add_co_u32_e32 v3, vcc, 40, v5
	v_add3_u32 v16, v24, v16, v23
	v_add3_u32 v18, v24, v18, v23
	v_addc_co_u32_e32 v23, vcc, 0, v6, vcc
	v_mul_lo_u32 v31, s14, v23
	v_mul_lo_u32 v32, s15, v3
	v_mad_u64_u32 v[23:24], s[0:1], s14, v3, v[127:128]
	v_mad_u64_u32 v[25:26], s[0:1], s14, v3, v[129:130]
	v_add_co_u32_e32 v3, vcc, 48, v5
	v_addc_co_u32_e32 v27, vcc, 0, v6, vcc
	v_add3_u32 v20, v30, v20, v29
	v_mul_lo_u32 v37, s14, v27
	v_mul_lo_u32 v38, s15, v3
	v_mad_u64_u32 v[27:28], s[0:1], s14, v3, v[127:128]
	v_add3_u32 v22, v30, v22, v29
	v_mad_u64_u32 v[29:30], s[0:1], s14, v3, v[129:130]
	v_add_co_u32_e32 v3, vcc, 56, v5
	v_add3_u32 v24, v32, v24, v31
	v_add3_u32 v26, v32, v26, v31
	v_addc_co_u32_e32 v31, vcc, 0, v6, vcc
	v_mul_lo_u32 v39, s14, v31
	v_mul_lo_u32 v40, s15, v3
	v_mad_u64_u32 v[31:32], s[0:1], s14, v3, v[127:128]
	v_mad_u64_u32 v[33:34], s[0:1], s14, v3, v[129:130]
	v_add_co_u32_e32 v3, vcc, 64, v5
	v_addc_co_u32_e32 v35, vcc, 0, v6, vcc
	v_add3_u32 v28, v38, v28, v37
	v_mul_lo_u32 v45, s14, v35
	v_mad_u64_u32 v[35:36], s[0:1], s14, v3, v[127:128]
	v_add3_u32 v30, v38, v30, v37
	v_mad_u64_u32 v[37:38], s[0:1], s14, v3, v[129:130]
	s_movk_i32 s0, 0x48
	v_mul_lo_u32 v46, s15, v3
	v_add_co_u32_e32 v3, vcc, s0, v5
	v_add3_u32 v32, v40, v32, v39
	v_add3_u32 v34, v40, v34, v39
	v_addc_co_u32_e32 v39, vcc, 0, v6, vcc
	v_mul_lo_u32 v47, s14, v39
	v_mad_u64_u32 v[39:40], s[0:1], s14, v3, v[127:128]
	v_mad_u64_u32 v[41:42], s[0:1], s14, v3, v[129:130]
	s_movk_i32 s0, 0x50
	v_mul_lo_u32 v48, s15, v3
	v_add_co_u32_e32 v3, vcc, s0, v5
	v_addc_co_u32_e32 v43, vcc, 0, v6, vcc
	v_add3_u32 v36, v46, v36, v45
	v_mul_lo_u32 v53, s14, v43
	v_mad_u64_u32 v[43:44], s[0:1], s14, v3, v[127:128]
	v_add3_u32 v38, v46, v38, v45
	v_mad_u64_u32 v[45:46], s[0:1], s14, v3, v[129:130]
	s_movk_i32 s0, 0x58
	v_mul_lo_u32 v54, s15, v3
	v_add_co_u32_e32 v3, vcc, s0, v5
	v_add3_u32 v40, v48, v40, v47
	v_add3_u32 v42, v48, v42, v47
	v_addc_co_u32_e32 v47, vcc, 0, v6, vcc
	v_mul_lo_u32 v55, s14, v47
	v_mad_u64_u32 v[47:48], s[0:1], s14, v3, v[127:128]
	v_mad_u64_u32 v[49:50], s[0:1], s14, v3, v[129:130]
	s_movk_i32 s0, 0x60
	v_mul_lo_u32 v56, s15, v3
	;; [unrolled: 18-line block ×11, first 2 shown]
	v_add_co_u32_e32 v3, vcc, s0, v5
	v_addc_co_u32_e32 v123, vcc, 0, v6, vcc
	v_add3_u32 v116, v126, v116, v125
	v_mul_lo_u32 v133, s14, v123
	v_mad_u64_u32 v[123:124], s[0:1], s14, v3, v[127:128]
	v_add3_u32 v118, v126, v118, v125
	v_mad_u64_u32 v[125:126], s[0:1], s14, v3, v[129:130]
	s_movk_i32 s0, 0xf8
	v_mul_lo_u32 v134, s15, v3
	v_add_co_u32_e32 v3, vcc, s0, v5
	v_addc_co_u32_e32 v5, vcc, 0, v6, vcc
	v_add3_u32 v120, v132, v120, v131
	v_add3_u32 v122, v132, v122, v131
	v_mul_lo_u32 v131, s14, v5
	v_add_co_u32_e32 v5, vcc, 31, v0
	v_addc_co_u32_e32 v6, vcc, 0, v4, vcc
	v_mul_lo_u32 v132, s14, v6
	v_mul_lo_u32 v135, s15, v5
	v_mad_u64_u32 v[5:6], s[0:1], s14, v5, 0
	v_mad_u64_u32 v[127:128], s[0:1], s14, v3, v[127:128]
	;; [unrolled: 1-line block ×3, first 2 shown]
	v_mul_lo_u32 v3, s15, v3
	v_add3_u32 v6, v6, v132, v135
	v_lshlrev_b64 v[5:6], 3, v[5:6]
	v_add3_u32 v124, v134, v124, v133
	v_add3_u32 v128, v3, v128, v131
	;; [unrolled: 1-line block ×3, first 2 shown]
	v_mov_b32_e32 v3, s17
	v_add_co_u32_e32 v131, vcc, s16, v5
	v_addc_co_u32_e32 v3, vcc, v3, v6, vcc
	buffer_store_dword v131, off, s[40:43], 0 offset:48 ; 4-byte Folded Spill
	v_add_co_u32_e32 v131, vcc, 30, v0
	v_addc_co_u32_e32 v132, vcc, 0, v4, vcc
	v_add3_u32 v126, v134, v126, v133
	v_mul_lo_u32 v133, s14, v132
	v_mul_lo_u32 v134, s15, v131
	v_mad_u64_u32 v[131:132], s[0:1], s14, v131, 0
	buffer_store_dword v3, off, s[40:43], 0 offset:56 ; 4-byte Folded Spill
	v_mov_b32_e32 v3, s19
	v_add_co_u32_e32 v5, vcc, s18, v5
	v_add3_u32 v132, v132, v133, v134
	buffer_store_dword v5, off, s[40:43], 0 offset:64 ; 4-byte Folded Spill
	v_addc_co_u32_e32 v3, vcc, v3, v6, vcc
	v_lshlrev_b64 v[5:6], 3, v[131:132]
	buffer_store_dword v3, off, s[40:43], 0 offset:72 ; 4-byte Folded Spill
	v_mov_b32_e32 v3, s17
	v_add_co_u32_e32 v131, vcc, s16, v5
	v_addc_co_u32_e32 v3, vcc, v3, v6, vcc
	buffer_store_dword v131, off, s[40:43], 0 offset:80 ; 4-byte Folded Spill
	v_add_co_u32_e32 v131, vcc, 29, v0
	v_addc_co_u32_e32 v132, vcc, 0, v4, vcc
	v_mul_lo_u32 v133, s14, v132
	v_mul_lo_u32 v134, s15, v131
	v_mad_u64_u32 v[131:132], s[0:1], s14, v131, 0
	buffer_store_dword v3, off, s[40:43], 0 offset:88 ; 4-byte Folded Spill
	v_mov_b32_e32 v3, s19
	v_add_co_u32_e32 v5, vcc, s18, v5
	v_add3_u32 v132, v132, v133, v134
	buffer_store_dword v5, off, s[40:43], 0 offset:92 ; 4-byte Folded Spill
	v_addc_co_u32_e32 v3, vcc, v3, v6, vcc
	v_lshlrev_b64 v[5:6], 3, v[131:132]
	buffer_store_dword v3, off, s[40:43], 0 offset:96 ; 4-byte Folded Spill
	v_mov_b32_e32 v3, s17
	v_add_co_u32_e32 v131, vcc, s16, v5
	v_addc_co_u32_e32 v3, vcc, v3, v6, vcc
	buffer_store_dword v131, off, s[40:43], 0 offset:100 ; 4-byte Folded Spill
	v_add_co_u32_e32 v131, vcc, 28, v0
	v_addc_co_u32_e32 v132, vcc, 0, v4, vcc
	;; [unrolled: 17-line block ×25, first 2 shown]
	v_mul_lo_u32 v133, s14, v132
	v_mul_lo_u32 v134, s15, v131
	v_mad_u64_u32 v[131:132], s[0:1], s14, v131, 0
	buffer_store_dword v3, off, s[40:43], 0 offset:472 ; 4-byte Folded Spill
	v_mov_b32_e32 v3, s19
	v_add_co_u32_e32 v5, vcc, s18, v5
	v_add3_u32 v132, v132, v133, v134
	buffer_store_dword v5, off, s[40:43], 0 offset:476 ; 4-byte Folded Spill
	v_addc_co_u32_e32 v3, vcc, v3, v6, vcc
	v_lshlrev_b64 v[5:6], 3, v[131:132]
	buffer_store_dword v3, off, s[40:43], 0 offset:480 ; 4-byte Folded Spill
	v_mov_b32_e32 v3, s17
	v_add_co_u32_e32 v165, vcc, s16, v5
	v_addc_co_u32_e32 v166, vcc, v3, v6, vcc
	v_add_co_u32_e32 v131, vcc, 4, v0
	v_addc_co_u32_e32 v132, vcc, 0, v4, vcc
	v_mul_lo_u32 v133, s14, v132
	v_mul_lo_u32 v134, s15, v131
	v_mad_u64_u32 v[131:132], s[0:1], s14, v131, 0
	v_mov_b32_e32 v3, s19
	v_add_co_u32_e32 v189, vcc, s18, v5
	v_add3_u32 v132, v132, v133, v134
	v_addc_co_u32_e32 v190, vcc, v3, v6, vcc
	v_lshlrev_b64 v[5:6], 3, v[131:132]
	v_mov_b32_e32 v3, s17
	v_add_co_u32_e32 v169, vcc, s16, v5
	v_addc_co_u32_e32 v170, vcc, v3, v6, vcc
	v_mov_b32_e32 v3, s19
	v_add_co_u32_e32 v173, vcc, s18, v5
	v_addc_co_u32_e32 v174, vcc, v3, v6, vcc
	v_add_co_u32_e32 v3, vcc, 3, v0
	v_addc_co_u32_e32 v5, vcc, 0, v4, vcc
	v_mul_lo_u32 v131, s14, v5
	v_mul_lo_u32 v132, s15, v3
	v_mad_u64_u32 v[5:6], s[0:1], s14, v3, 0
	v_mov_b32_e32 v3, s17
	v_add3_u32 v6, v6, v131, v132
	v_lshlrev_b64 v[5:6], 3, v[5:6]
	v_add_co_u32_e32 v177, vcc, s16, v5
	v_addc_co_u32_e32 v178, vcc, v3, v6, vcc
	v_mov_b32_e32 v3, s19
	v_add_co_u32_e32 v193, vcc, s18, v5
	v_addc_co_u32_e32 v194, vcc, v3, v6, vcc
	v_add_co_u32_e32 v0, vcc, 2, v0
	v_addc_co_u32_e32 v3, vcc, 0, v4, vcc
	v_mul_lo_u32 v5, s14, v3
	v_mul_lo_u32 v6, s15, v0
	v_mad_u64_u32 v[3:4], s[0:1], s14, v0, 0
	v_mov_b32_e32 v0, s17
	s_load_dword s0, s[4:5], 0x44
	v_add3_u32 v4, v4, v5, v6
	v_lshlrev_b64 v[3:4], 3, v[3:4]
	v_add_co_u32_e32 v181, vcc, s16, v3
	v_addc_co_u32_e32 v182, vcc, v0, v4, vcc
	v_mov_b32_e32 v0, s19
	v_add_co_u32_e32 v185, vcc, s18, v3
	v_addc_co_u32_e32 v186, vcc, v0, v4, vcc
	v_lshlrev_b64 v[0:1], 3, v[1:2]
	v_mov_b32_e32 v2, s17
	v_add_co_u32_e32 v197, vcc, s16, v0
	v_addc_co_u32_e32 v198, vcc, v2, v1, vcc
	v_mov_b32_e32 v2, s19
	v_add_co_u32_e32 v0, vcc, s18, v0
	v_addc_co_u32_e32 v5, vcc, v2, v1, vcc
	buffer_load_dword v1, off, s[40:43], 0 offset:44 ; 4-byte Folded Reload
	v_mov_b32_e32 v3, 0
	s_mov_b64 s[16:17], 31
	s_mov_b64 s[18:19], s[24:25]
	v_mov_b32_e32 v255, v3
	s_waitcnt vmcnt(0)
	v_add_u32_e32 v2, s7, v1
	v_mbcnt_lo_u32_b32 v1, -1, 0
	v_mbcnt_hi_u32_b32 v1, -1, v1
	v_lshlrev_b32_e32 v1, 2, v1
	v_and_b32_e32 v6, 0x100, v1
	v_mov_b32_e32 v1, v3
	buffer_store_dword v0, off, s[40:43], 0 offset:616 ; 4-byte Folded Spill
	s_nop 0
	buffer_store_dword v1, off, s[40:43], 0 offset:620 ; 4-byte Folded Spill
	v_lshlrev_b64 v[133:134], 3, v[2:3]
	v_mov_b32_e32 v1, 0
	s_waitcnt lgkmcnt(0)
	s_lshl_b32 s7, s0, 5
	v_mov_b32_e32 v2, 0
	s_mul_i32 s0, s15, s7
	s_mul_hi_u32 s1, s14, s7
	buffer_store_dword v1, off, s[40:43], 0 ; 4-byte Folded Spill
	s_nop 0
	buffer_store_dword v2, off, s[40:43], 0 offset:4 ; 4-byte Folded Spill
	s_add_i32 s1, s1, s0
	s_mul_i32 s0, s14, s7
	v_mov_b32_e32 v1, 0
	s_lshl_b64 s[10:11], s[0:1], 3
	v_mov_b32_e32 v2, 0
	buffer_store_dword v1, off, s[40:43], 0 offset:8 ; 4-byte Folded Spill
	s_nop 0
	buffer_store_dword v2, off, s[40:43], 0 offset:12 ; 4-byte Folded Spill
	s_branch .LBB38_151
.LBB38_148:                             ;   in Loop: Header=BB38_151 Depth=1
	s_or_b64 exec, exec, s[26:27]
.LBB38_149:                             ;   in Loop: Header=BB38_151 Depth=1
	s_or_b64 exec, exec, s[0:1]
	buffer_load_dword v3, off, s[40:43], 0 offset:16 ; 4-byte Folded Reload
	buffer_load_dword v4, off, s[40:43], 0 offset:20 ; 4-byte Folded Reload
	s_waitcnt vmcnt(3)
	ds_bpermute_b32 v229, v6, v1
	ds_bpermute_b32 v230, v6, v2
	ds_bpermute_b32 v233, v6, v1 offset:4
	ds_bpermute_b32 v234, v6, v2 offset:4
	s_waitcnt vmcnt(2)
	ds_bpermute_b32 v235, v6, v131
	ds_bpermute_b32 v236, v6, v132
	ds_bpermute_b32 v237, v6, v131 offset:4
	ds_bpermute_b32 v238, v6, v132 offset:4
	s_waitcnt vmcnt(1)
	v_add_co_u32_e32 v3, vcc, v3, v133
	s_waitcnt vmcnt(0)
	v_addc_co_u32_e32 v4, vcc, v4, v134, vcc
	global_load_dwordx2 v[139:140], v[3:4], off
	s_nop 0
	buffer_load_dword v3, off, s[40:43], 0 offset:28 ; 4-byte Folded Reload
	buffer_load_dword v4, off, s[40:43], 0 offset:36 ; 4-byte Folded Reload
	s_waitcnt vmcnt(1)
	v_add_co_u32_e32 v3, vcc, v3, v133
	s_waitcnt vmcnt(0)
	v_addc_co_u32_e32 v4, vcc, v4, v134, vcc
	global_load_dwordx2 v[141:142], v[3:4], off
	v_add_co_u32_e32 v3, vcc, v7, v133
	v_addc_co_u32_e32 v4, vcc, v8, v134, vcc
	global_load_dwordx2 v[143:144], v[3:4], off
	v_add_co_u32_e32 v3, vcc, v9, v133
	v_addc_co_u32_e32 v4, vcc, v10, v134, vcc
	global_load_dwordx2 v[145:146], v[3:4], off
	v_add_co_u32_e32 v3, vcc, v11, v133
	v_addc_co_u32_e32 v4, vcc, v12, v134, vcc
	global_load_dwordx2 v[147:148], v[3:4], off
	v_add_co_u32_e32 v3, vcc, v13, v133
	v_addc_co_u32_e32 v4, vcc, v14, v134, vcc
	global_load_dwordx2 v[149:150], v[3:4], off
	v_add_co_u32_e32 v3, vcc, v15, v133
	v_addc_co_u32_e32 v4, vcc, v16, v134, vcc
	global_load_dwordx2 v[151:152], v[3:4], off
	v_add_co_u32_e32 v3, vcc, v17, v133
	v_addc_co_u32_e32 v4, vcc, v18, v134, vcc
	global_load_dwordx2 v[153:154], v[3:4], off
	v_add_co_u32_e32 v3, vcc, v19, v133
	v_addc_co_u32_e32 v4, vcc, v20, v134, vcc
	global_load_dwordx2 v[155:156], v[3:4], off
	v_add_co_u32_e32 v3, vcc, v21, v133
	v_addc_co_u32_e32 v4, vcc, v22, v134, vcc
	global_load_dwordx2 v[157:158], v[3:4], off
	v_add_co_u32_e32 v3, vcc, v23, v133
	v_addc_co_u32_e32 v4, vcc, v24, v134, vcc
	global_load_dwordx2 v[159:160], v[3:4], off
	v_add_co_u32_e32 v3, vcc, v25, v133
	v_addc_co_u32_e32 v4, vcc, v26, v134, vcc
	global_load_dwordx2 v[161:162], v[3:4], off
	v_add_co_u32_e32 v3, vcc, v27, v133
	v_addc_co_u32_e32 v4, vcc, v28, v134, vcc
	global_load_dwordx2 v[163:164], v[3:4], off
	v_add_co_u32_e32 v3, vcc, v29, v133
	v_addc_co_u32_e32 v4, vcc, v30, v134, vcc
	global_load_dwordx2 v[167:168], v[3:4], off
	v_add_co_u32_e32 v3, vcc, v31, v133
	v_addc_co_u32_e32 v4, vcc, v32, v134, vcc
	global_load_dwordx2 v[171:172], v[3:4], off
	v_add_co_u32_e32 v3, vcc, v33, v133
	v_addc_co_u32_e32 v4, vcc, v34, v134, vcc
	global_load_dwordx2 v[175:176], v[3:4], off
	v_add_co_u32_e32 v3, vcc, v35, v133
	v_addc_co_u32_e32 v4, vcc, v36, v134, vcc
	global_load_dwordx2 v[179:180], v[3:4], off
	v_add_co_u32_e32 v3, vcc, v37, v133
	v_addc_co_u32_e32 v4, vcc, v38, v134, vcc
	global_load_dwordx2 v[183:184], v[3:4], off
	v_add_co_u32_e32 v3, vcc, v39, v133
	v_addc_co_u32_e32 v4, vcc, v40, v134, vcc
	global_load_dwordx2 v[187:188], v[3:4], off
	v_add_co_u32_e32 v3, vcc, v41, v133
	v_addc_co_u32_e32 v4, vcc, v42, v134, vcc
	global_load_dwordx2 v[191:192], v[3:4], off
	v_add_co_u32_e32 v3, vcc, v43, v133
	v_addc_co_u32_e32 v4, vcc, v44, v134, vcc
	global_load_dwordx2 v[195:196], v[3:4], off
	v_add_co_u32_e32 v3, vcc, v45, v133
	v_addc_co_u32_e32 v4, vcc, v46, v134, vcc
	global_load_dwordx2 v[199:200], v[3:4], off
	v_add_co_u32_e32 v3, vcc, v47, v133
	v_addc_co_u32_e32 v4, vcc, v48, v134, vcc
	global_load_dwordx2 v[203:204], v[3:4], off
	v_add_co_u32_e32 v3, vcc, v49, v133
	v_addc_co_u32_e32 v4, vcc, v50, v134, vcc
	global_load_dwordx2 v[205:206], v[3:4], off
	v_add_co_u32_e32 v3, vcc, v51, v133
	v_addc_co_u32_e32 v4, vcc, v52, v134, vcc
	global_load_dwordx2 v[207:208], v[3:4], off
	v_add_co_u32_e32 v3, vcc, v53, v133
	v_addc_co_u32_e32 v4, vcc, v54, v134, vcc
	global_load_dwordx2 v[209:210], v[3:4], off
	v_add_co_u32_e32 v3, vcc, v55, v133
	v_addc_co_u32_e32 v4, vcc, v56, v134, vcc
	global_load_dwordx2 v[211:212], v[3:4], off
	v_add_co_u32_e32 v3, vcc, v57, v133
	v_addc_co_u32_e32 v4, vcc, v58, v134, vcc
	global_load_dwordx2 v[213:214], v[3:4], off
	v_add_co_u32_e32 v3, vcc, v59, v133
	v_addc_co_u32_e32 v4, vcc, v60, v134, vcc
	global_load_dwordx2 v[215:216], v[3:4], off
	v_add_co_u32_e32 v3, vcc, v61, v133
	v_addc_co_u32_e32 v4, vcc, v62, v134, vcc
	global_load_dwordx2 v[217:218], v[3:4], off
	v_add_co_u32_e32 v3, vcc, v63, v133
	v_addc_co_u32_e32 v4, vcc, v64, v134, vcc
	global_load_dwordx2 v[219:220], v[3:4], off
	v_add_co_u32_e32 v3, vcc, v65, v133
	v_addc_co_u32_e32 v4, vcc, v66, v134, vcc
	global_load_dwordx2 v[221:222], v[3:4], off
	v_add_co_u32_e32 v3, vcc, v67, v133
	v_addc_co_u32_e32 v4, vcc, v68, v134, vcc
	global_load_dwordx2 v[137:138], v[3:4], off
	v_add_co_u32_e32 v3, vcc, v69, v133
	v_addc_co_u32_e32 v4, vcc, v70, v134, vcc
	global_load_dwordx2 v[223:224], v[3:4], off
	v_add_co_u32_e32 v3, vcc, v71, v133
	v_addc_co_u32_e32 v4, vcc, v72, v134, vcc
	global_load_dwordx2 v[135:136], v[3:4], off
	v_add_co_u32_e32 v3, vcc, v73, v133
	v_addc_co_u32_e32 v4, vcc, v74, v134, vcc
	global_load_dwordx2 v[225:226], v[3:4], off
	v_add_co_u32_e32 v3, vcc, v75, v133
	v_addc_co_u32_e32 v4, vcc, v76, v134, vcc
	v_add_co_u32_e32 v227, vcc, v77, v133
	v_addc_co_u32_e32 v228, vcc, v78, v134, vcc
	v_add_co_u32_e32 v231, vcc, v79, v133
	v_addc_co_u32_e32 v232, vcc, v80, v134, vcc
	s_waitcnt vmcnt(34) lgkmcnt(6)
	v_add_f64 v[141:142], v[141:142], -v[229:230]
	v_add_co_u32_e32 v229, vcc, v81, v133
	v_addc_co_u32_e32 v230, vcc, v82, v134, vcc
	s_waitcnt vmcnt(32) lgkmcnt(4)
	v_add_f64 v[145:146], v[145:146], -v[233:234]
	v_add_co_u32_e32 v233, vcc, v83, v133
	v_addc_co_u32_e32 v234, vcc, v84, v134, vcc
	global_load_dwordx2 v[3:4], v[3:4], off
	v_mul_f64 v[141:142], v[139:140], v[141:142]
	global_load_dwordx2 v[227:228], v[227:228], off
	v_mul_f64 v[145:146], v[143:144], v[145:146]
	global_load_dwordx2 v[231:232], v[231:232], off
	s_nop 0
	global_load_dwordx2 v[229:230], v[229:230], off
	s_nop 0
	global_load_dwordx2 v[233:234], v[233:234], off
	s_nop 0
	buffer_load_dword v201, off, s[40:43], 0 ; 4-byte Folded Reload
	buffer_load_dword v202, off, s[40:43], 0 offset:4 ; 4-byte Folded Reload
	s_waitcnt vmcnt(0) lgkmcnt(2)
	v_fma_f64 v[141:142], v[141:142], v[235:236], v[201:202]
	buffer_load_dword v201, off, s[40:43], 0 offset:8 ; 4-byte Folded Reload
	buffer_load_dword v202, off, s[40:43], 0 offset:12 ; 4-byte Folded Reload
	ds_bpermute_b32 v235, v6, v1 offset:8
	ds_bpermute_b32 v236, v6, v2 offset:8
	s_waitcnt lgkmcnt(0)
	v_add_f64 v[149:150], v[149:150], -v[235:236]
	v_fma_f64 v[141:142], v[145:146], v[237:238], v[141:142]
	ds_bpermute_b32 v145, v6, v1 offset:12
	ds_bpermute_b32 v146, v6, v2 offset:12
	v_add_co_u32_e32 v235, vcc, v85, v133
	v_addc_co_u32_e32 v236, vcc, v86, v134, vcc
	v_mul_f64 v[149:150], v[147:148], v[149:150]
	s_waitcnt lgkmcnt(0)
	v_add_f64 v[145:146], v[153:154], -v[145:146]
	global_load_dwordx2 v[235:236], v[235:236], off
	v_add_co_u32_e32 v153, vcc, v87, v133
	v_addc_co_u32_e32 v154, vcc, v88, v134, vcc
	global_load_dwordx2 v[153:154], v[153:154], off
	v_mul_f64 v[145:146], v[151:152], v[145:146]
	s_waitcnt vmcnt(2)
	v_add_f64 v[139:140], v[201:202], v[139:140]
	v_add_f64 v[139:140], v[139:140], v[143:144]
	ds_bpermute_b32 v143, v6, v131 offset:8
	ds_bpermute_b32 v144, v6, v132 offset:8
	s_waitcnt lgkmcnt(0)
	v_fma_f64 v[141:142], v[149:150], v[143:144], v[141:142]
	ds_bpermute_b32 v143, v6, v1 offset:16
	ds_bpermute_b32 v144, v6, v2 offset:16
	v_add_f64 v[139:140], v[139:140], v[147:148]
	ds_bpermute_b32 v147, v6, v131 offset:12
	ds_bpermute_b32 v148, v6, v132 offset:12
	v_add_co_u32_e32 v149, vcc, v89, v133
	s_waitcnt lgkmcnt(2)
	v_add_f64 v[143:144], v[157:158], -v[143:144]
	v_addc_co_u32_e32 v150, vcc, v90, v134, vcc
	s_waitcnt lgkmcnt(0)
	v_fma_f64 v[141:142], v[145:146], v[147:148], v[141:142]
	ds_bpermute_b32 v145, v6, v1 offset:20
	ds_bpermute_b32 v146, v6, v2 offset:20
	;; [unrolled: 1-line block ×4, first 2 shown]
	v_mul_f64 v[143:144], v[155:156], v[143:144]
	v_add_f64 v[139:140], v[139:140], v[151:152]
	s_waitcnt lgkmcnt(2)
	v_add_f64 v[145:146], v[161:162], -v[145:146]
	v_add_co_u32_e32 v151, vcc, v91, v133
	v_addc_co_u32_e32 v152, vcc, v92, v134, vcc
	global_load_dwordx2 v[149:150], v[149:150], off
	s_waitcnt lgkmcnt(0)
	v_fma_f64 v[141:142], v[143:144], v[147:148], v[141:142]
	ds_bpermute_b32 v143, v6, v1 offset:24
	ds_bpermute_b32 v144, v6, v2 offset:24
	v_mul_f64 v[145:146], v[159:160], v[145:146]
	ds_bpermute_b32 v147, v6, v131 offset:20
	ds_bpermute_b32 v148, v6, v132 offset:20
	v_add_f64 v[139:140], v[139:140], v[155:156]
	s_waitcnt lgkmcnt(2)
	v_add_f64 v[143:144], v[167:168], -v[143:144]
	v_add_co_u32_e32 v155, vcc, v93, v133
	v_addc_co_u32_e32 v156, vcc, v94, v134, vcc
	s_waitcnt lgkmcnt(0)
	v_fma_f64 v[141:142], v[145:146], v[147:148], v[141:142]
	ds_bpermute_b32 v145, v6, v1 offset:28
	ds_bpermute_b32 v146, v6, v2 offset:28
	v_mul_f64 v[143:144], v[163:164], v[143:144]
	ds_bpermute_b32 v147, v6, v131 offset:24
	ds_bpermute_b32 v148, v6, v132 offset:24
	v_add_f64 v[139:140], v[139:140], v[159:160]
	s_waitcnt lgkmcnt(2)
	v_add_f64 v[145:146], v[175:176], -v[145:146]
	global_load_dwordx2 v[155:156], v[155:156], off
	v_add_co_u32_e32 v157, vcc, v95, v133
	s_waitcnt lgkmcnt(0)
	v_fma_f64 v[141:142], v[143:144], v[147:148], v[141:142]
	ds_bpermute_b32 v143, v6, v1 offset:32
	ds_bpermute_b32 v144, v6, v2 offset:32
	;; [unrolled: 1-line block ×3, first 2 shown]
	v_mul_f64 v[145:146], v[171:172], v[145:146]
	ds_bpermute_b32 v148, v6, v132 offset:28
	v_add_f64 v[139:140], v[139:140], v[163:164]
	s_waitcnt lgkmcnt(2)
	v_add_f64 v[143:144], v[183:184], -v[143:144]
	global_load_dwordx2 v[151:152], v[151:152], off
	v_addc_co_u32_e32 v158, vcc, v96, v134, vcc
	v_add_co_u32_e32 v159, vcc, v97, v133
	s_waitcnt lgkmcnt(0)
	v_fma_f64 v[141:142], v[145:146], v[147:148], v[141:142]
	ds_bpermute_b32 v145, v6, v1 offset:36
	ds_bpermute_b32 v146, v6, v2 offset:36
	v_mul_f64 v[143:144], v[179:180], v[143:144]
	ds_bpermute_b32 v147, v6, v131 offset:32
	ds_bpermute_b32 v148, v6, v132 offset:32
	v_add_f64 v[139:140], v[139:140], v[171:172]
	s_waitcnt lgkmcnt(2)
	v_add_f64 v[145:146], v[191:192], -v[145:146]
	v_addc_co_u32_e32 v160, vcc, v98, v134, vcc
	global_load_dwordx2 v[159:160], v[159:160], off
	s_waitcnt lgkmcnt(0)
	v_fma_f64 v[141:142], v[143:144], v[147:148], v[141:142]
	ds_bpermute_b32 v143, v6, v1 offset:40
	ds_bpermute_b32 v144, v6, v2 offset:40
	;; [unrolled: 1-line block ×3, first 2 shown]
	v_mul_f64 v[145:146], v[187:188], v[145:146]
	ds_bpermute_b32 v148, v6, v132 offset:36
	v_add_f64 v[139:140], v[139:140], v[179:180]
	s_waitcnt lgkmcnt(2)
	v_add_f64 v[143:144], v[199:200], -v[143:144]
	v_add_co_u32_e32 v161, vcc, v99, v133
	v_addc_co_u32_e32 v162, vcc, v100, v134, vcc
	s_waitcnt lgkmcnt(0)
	v_fma_f64 v[141:142], v[145:146], v[147:148], v[141:142]
	ds_bpermute_b32 v145, v6, v1 offset:44
	ds_bpermute_b32 v146, v6, v2 offset:44
	v_mul_f64 v[143:144], v[195:196], v[143:144]
	ds_bpermute_b32 v147, v6, v131 offset:40
	ds_bpermute_b32 v148, v6, v132 offset:40
	v_add_f64 v[139:140], v[139:140], v[187:188]
	s_waitcnt lgkmcnt(2)
	v_add_f64 v[145:146], v[205:206], -v[145:146]
	v_add_co_u32_e32 v163, vcc, v101, v133
	v_addc_co_u32_e32 v164, vcc, v102, v134, vcc
	s_waitcnt lgkmcnt(0)
	v_fma_f64 v[141:142], v[143:144], v[147:148], v[141:142]
	ds_bpermute_b32 v143, v6, v1 offset:48
	ds_bpermute_b32 v144, v6, v2 offset:48
	v_mul_f64 v[145:146], v[203:204], v[145:146]
	ds_bpermute_b32 v147, v6, v131 offset:44
	ds_bpermute_b32 v148, v6, v132 offset:44
	v_add_f64 v[139:140], v[139:140], v[195:196]
	s_waitcnt lgkmcnt(2)
	v_add_f64 v[143:144], v[209:210], -v[143:144]
	global_load_dwordx2 v[157:158], v[157:158], off
	v_add_co_u32_e32 v167, vcc, v103, v133
	s_waitcnt lgkmcnt(0)
	v_fma_f64 v[141:142], v[145:146], v[147:148], v[141:142]
	ds_bpermute_b32 v145, v6, v1 offset:52
	ds_bpermute_b32 v146, v6, v2 offset:52
	;; [unrolled: 1-line block ×3, first 2 shown]
	v_mul_f64 v[143:144], v[207:208], v[143:144]
	ds_bpermute_b32 v148, v6, v132 offset:48
	v_add_f64 v[139:140], v[139:140], v[203:204]
	s_waitcnt lgkmcnt(2)
	v_add_f64 v[145:146], v[213:214], -v[145:146]
	global_load_dwordx2 v[163:164], v[163:164], off
	v_addc_co_u32_e32 v168, vcc, v104, v134, vcc
	v_add_co_u32_e32 v171, vcc, v105, v133
	s_waitcnt lgkmcnt(0)
	v_fma_f64 v[141:142], v[143:144], v[147:148], v[141:142]
	ds_bpermute_b32 v143, v6, v1 offset:56
	ds_bpermute_b32 v144, v6, v2 offset:56
	v_mul_f64 v[145:146], v[211:212], v[145:146]
	ds_bpermute_b32 v147, v6, v131 offset:52
	ds_bpermute_b32 v148, v6, v132 offset:52
	v_add_f64 v[139:140], v[139:140], v[207:208]
	s_waitcnt lgkmcnt(2)
	v_add_f64 v[143:144], v[217:218], -v[143:144]
	v_addc_co_u32_e32 v172, vcc, v106, v134, vcc
	global_load_dwordx2 v[161:162], v[161:162], off
	s_waitcnt lgkmcnt(0)
	v_fma_f64 v[141:142], v[145:146], v[147:148], v[141:142]
	ds_bpermute_b32 v145, v6, v1 offset:60
	ds_bpermute_b32 v146, v6, v2 offset:60
	;; [unrolled: 1-line block ×3, first 2 shown]
	v_mul_f64 v[143:144], v[215:216], v[143:144]
	ds_bpermute_b32 v148, v6, v132 offset:56
	v_add_f64 v[139:140], v[139:140], v[211:212]
	s_waitcnt lgkmcnt(2)
	v_add_f64 v[145:146], v[221:222], -v[145:146]
	global_load_dwordx2 v[171:172], v[171:172], off
	v_add_co_u32_e32 v175, vcc, v107, v133
	v_addc_co_u32_e32 v176, vcc, v108, v134, vcc
	s_waitcnt lgkmcnt(0)
	v_fma_f64 v[141:142], v[143:144], v[147:148], v[141:142]
	ds_bpermute_b32 v143, v6, v1 offset:64
	ds_bpermute_b32 v144, v6, v2 offset:64
	v_mul_f64 v[145:146], v[219:220], v[145:146]
	ds_bpermute_b32 v147, v6, v131 offset:60
	ds_bpermute_b32 v148, v6, v132 offset:60
	v_add_f64 v[139:140], v[139:140], v[215:216]
	s_waitcnt lgkmcnt(2)
	v_add_f64 v[143:144], v[223:224], -v[143:144]
	v_add_co_u32_e32 v179, vcc, v109, v133
	v_addc_co_u32_e32 v180, vcc, v110, v134, vcc
	s_waitcnt lgkmcnt(0)
	v_fma_f64 v[141:142], v[145:146], v[147:148], v[141:142]
	ds_bpermute_b32 v145, v6, v1 offset:68
	ds_bpermute_b32 v146, v6, v2 offset:68
	v_mul_f64 v[143:144], v[137:138], v[143:144]
	ds_bpermute_b32 v147, v6, v131 offset:64
	ds_bpermute_b32 v148, v6, v132 offset:64
	v_add_f64 v[139:140], v[139:140], v[219:220]
	s_waitcnt lgkmcnt(2)
	v_add_f64 v[145:146], v[225:226], -v[145:146]
	global_load_dwordx2 v[167:168], v[167:168], off
	v_add_co_u32_e32 v183, vcc, v111, v133
	s_waitcnt lgkmcnt(0)
	v_fma_f64 v[141:142], v[143:144], v[147:148], v[141:142]
	ds_bpermute_b32 v143, v6, v1 offset:72
	ds_bpermute_b32 v144, v6, v2 offset:72
	v_add_f64 v[137:138], v[139:140], v[137:138]
	v_mul_f64 v[145:146], v[135:136], v[145:146]
	ds_bpermute_b32 v139, v6, v131 offset:68
	ds_bpermute_b32 v140, v6, v132 offset:68
	s_waitcnt lgkmcnt(2)
	v_add_f64 v[143:144], v[227:228], -v[143:144]
	global_load_dwordx2 v[179:180], v[179:180], off
	v_addc_co_u32_e32 v184, vcc, v112, v134, vcc
	v_add_f64 v[135:136], v[137:138], v[135:136]
	s_waitcnt lgkmcnt(0)
	v_fma_f64 v[139:140], v[145:146], v[139:140], v[141:142]
	ds_bpermute_b32 v141, v6, v1 offset:76
	ds_bpermute_b32 v142, v6, v2 offset:76
	v_mul_f64 v[143:144], v[3:4], v[143:144]
	ds_bpermute_b32 v137, v6, v131 offset:72
	ds_bpermute_b32 v138, v6, v132 offset:72
	v_add_co_u32_e32 v187, vcc, v113, v133
	s_waitcnt lgkmcnt(2)
	v_add_f64 v[141:142], v[229:230], -v[141:142]
	v_addc_co_u32_e32 v188, vcc, v114, v134, vcc
	s_waitcnt lgkmcnt(0)
	v_fma_f64 v[137:138], v[143:144], v[137:138], v[139:140]
	ds_bpermute_b32 v139, v6, v1 offset:80
	ds_bpermute_b32 v140, v6, v2 offset:80
	global_load_dwordx2 v[175:176], v[175:176], off
	v_add_co_u32_e32 v191, vcc, v115, v133
	global_load_dwordx2 v[187:188], v[187:188], off
	v_mul_f64 v[141:142], v[231:232], v[141:142]
	s_waitcnt vmcnt(13) lgkmcnt(0)
	v_add_f64 v[139:140], v[235:236], -v[139:140]
	v_addc_co_u32_e32 v192, vcc, v116, v134, vcc
	v_add_co_u32_e32 v147, vcc, v117, v133
	v_add_f64 v[3:4], v[135:136], v[3:4]
	ds_bpermute_b32 v135, v6, v131 offset:76
	ds_bpermute_b32 v136, v6, v132 offset:76
	v_addc_co_u32_e32 v148, vcc, v118, v134, vcc
	global_load_dwordx2 v[183:184], v[183:184], off
	v_mul_f64 v[139:140], v[233:234], v[139:140]
	global_load_dwordx2 v[147:148], v[147:148], off
	s_waitcnt lgkmcnt(0)
	v_fma_f64 v[135:136], v[141:142], v[135:136], v[137:138]
	v_add_co_u32_e32 v145, vcc, v119, v133
	v_addc_co_u32_e32 v146, vcc, v120, v134, vcc
	v_add_co_u32_e32 v143, vcc, v121, v133
	ds_bpermute_b32 v141, v6, v131 offset:80
	ds_bpermute_b32 v142, v6, v132 offset:80
	v_addc_co_u32_e32 v144, vcc, v122, v134, vcc
	global_load_dwordx2 v[191:192], v[191:192], off
	ds_bpermute_b32 v137, v6, v1 offset:84
	global_load_dwordx2 v[195:196], v[143:144], off
	ds_bpermute_b32 v138, v6, v2 offset:84
	s_waitcnt lgkmcnt(2)
	v_fma_f64 v[135:136], v[139:140], v[141:142], v[135:136]
	ds_bpermute_b32 v139, v6, v1 offset:88
	ds_bpermute_b32 v140, v6, v2 offset:88
	v_add_co_u32_e32 v143, vcc, v123, v133
	v_addc_co_u32_e32 v144, vcc, v124, v134, vcc
	s_waitcnt vmcnt(15) lgkmcnt(2)
	v_add_f64 v[137:138], v[149:150], -v[137:138]
	global_load_dwordx2 v[149:150], v[143:144], off
	v_add_co_u32_e32 v143, vcc, v125, v133
	v_addc_co_u32_e32 v144, vcc, v126, v134, vcc
	global_load_dwordx2 v[145:146], v[145:146], off
	s_waitcnt vmcnt(16) lgkmcnt(0)
	v_add_f64 v[139:140], v[155:156], -v[139:140]
	global_load_dwordx2 v[155:156], v[143:144], off
	v_add_f64 v[3:4], v[3:4], v[231:232]
	v_mul_f64 v[137:138], v[153:154], v[137:138]
	ds_bpermute_b32 v141, v6, v131 offset:84
	ds_bpermute_b32 v142, v6, v132 offset:84
	v_add_co_u32_e32 v143, vcc, v127, v133
	s_waitcnt vmcnt(16)
	v_mul_f64 v[139:140], v[151:152], v[139:140]
	v_addc_co_u32_e32 v144, vcc, v128, v134, vcc
	v_add_f64 v[3:4], v[3:4], v[233:234]
	s_waitcnt lgkmcnt(0)
	v_fma_f64 v[135:136], v[137:138], v[141:142], v[135:136]
	ds_bpermute_b32 v141, v6, v1 offset:92
	ds_bpermute_b32 v142, v6, v2 offset:92
	;; [unrolled: 1-line block ×4, first 2 shown]
	v_add_f64 v[3:4], v[3:4], v[153:154]
	s_waitcnt vmcnt(15) lgkmcnt(2)
	v_add_f64 v[153:154], v[159:160], -v[141:142]
	global_load_dwordx2 v[141:142], v[143:144], off
	v_add_co_u32_e32 v143, vcc, v129, v133
	v_addc_co_u32_e32 v144, vcc, v130, v134, vcc
	global_load_dwordx2 v[143:144], v[143:144], off
	s_waitcnt lgkmcnt(0)
	v_fma_f64 v[135:136], v[139:140], v[137:138], v[135:136]
	ds_bpermute_b32 v137, v6, v1 offset:96
	ds_bpermute_b32 v138, v6, v2 offset:96
	v_add_f64 v[3:4], v[3:4], v[151:152]
	s_waitcnt vmcnt(16)
	v_mul_f64 v[151:152], v[157:158], v[153:154]
	ds_bpermute_b32 v139, v6, v131 offset:92
	ds_bpermute_b32 v140, v6, v132 offset:92
	s_waitcnt vmcnt(15) lgkmcnt(2)
	v_add_f64 v[137:138], v[163:164], -v[137:138]
	ds_bpermute_b32 v153, v6, v1 offset:100
	ds_bpermute_b32 v154, v6, v2 offset:100
	v_add_f64 v[3:4], v[3:4], v[157:158]
	s_waitcnt lgkmcnt(2)
	v_fma_f64 v[135:136], v[151:152], v[139:140], v[135:136]
	ds_bpermute_b32 v139, v6, v131 offset:96
	s_waitcnt vmcnt(13) lgkmcnt(1)
	v_add_f64 v[151:152], v[171:172], -v[153:154]
	v_mul_f64 v[137:138], v[161:162], v[137:138]
	ds_bpermute_b32 v140, v6, v132 offset:96
	ds_bpermute_b32 v153, v6, v1 offset:104
	ds_bpermute_b32 v154, v6, v2 offset:104
	v_add_f64 v[3:4], v[3:4], v[161:162]
	s_waitcnt lgkmcnt(2)
	v_fma_f64 v[135:136], v[137:138], v[139:140], v[135:136]
	s_waitcnt vmcnt(12)
	v_mul_f64 v[137:138], v[167:168], v[151:152]
	s_waitcnt vmcnt(11) lgkmcnt(0)
	v_add_f64 v[151:152], v[179:180], -v[153:154]
	ds_bpermute_b32 v139, v6, v131 offset:100
	ds_bpermute_b32 v140, v6, v132 offset:100
	ds_bpermute_b32 v153, v6, v1 offset:108
	ds_bpermute_b32 v154, v6, v2 offset:108
	v_add_f64 v[3:4], v[3:4], v[167:168]
	s_waitcnt lgkmcnt(2)
	v_fma_f64 v[135:136], v[137:138], v[139:140], v[135:136]
	s_waitcnt vmcnt(10)
	v_mul_f64 v[137:138], v[175:176], v[151:152]
	s_waitcnt vmcnt(9) lgkmcnt(0)
	v_add_f64 v[151:152], v[187:188], -v[153:154]
	ds_bpermute_b32 v139, v6, v131 offset:104
	;; [unrolled: 11-line block ×4, first 2 shown]
	ds_bpermute_b32 v140, v6, v132 offset:112
	ds_bpermute_b32 v151, v6, v1 offset:120
	;; [unrolled: 1-line block ×3, first 2 shown]
	v_add_f64 v[3:4], v[3:4], v[191:192]
	ds_bpermute_b32 v1, v6, v1 offset:124
	s_waitcnt lgkmcnt(3)
	v_fma_f64 v[135:136], v[137:138], v[139:140], v[135:136]
	s_waitcnt vmcnt(3)
	v_mul_f64 v[137:138], v[145:146], v[147:148]
	s_waitcnt vmcnt(2) lgkmcnt(1)
	v_add_f64 v[139:140], v[155:156], -v[151:152]
	ds_bpermute_b32 v147, v6, v131 offset:116
	ds_bpermute_b32 v148, v6, v132 offset:116
	;; [unrolled: 1-line block ×3, first 2 shown]
	s_waitcnt lgkmcnt(1)
	v_fma_f64 v[135:136], v[137:138], v[147:148], v[135:136]
	v_mul_f64 v[137:138], v[149:150], v[139:140]
	v_add_f64 v[139:140], v[3:4], v[145:146]
	ds_bpermute_b32 v3, v6, v131 offset:120
	ds_bpermute_b32 v4, v6, v132 offset:120
	;; [unrolled: 1-line block ×4, first 2 shown]
	s_waitcnt lgkmcnt(2)
	v_fma_f64 v[3:4], v[137:138], v[3:4], v[135:136]
	v_add_f64 v[145:146], v[139:140], v[149:150]
.LBB38_150:                             ;   in Loop: Header=BB38_151 Depth=1
	s_waitcnt vmcnt(0) lgkmcnt(0)
	v_add_f64 v[1:2], v[143:144], -v[1:2]
	s_add_u32 s18, s18, s7
	s_addc_u32 s19, s19, 0
	s_add_u32 s16, s16, s7
	s_addc_u32 s17, 0, s17
	v_mul_f64 v[1:2], v[141:142], v[1:2]
	v_fma_f64 v[1:2], v[1:2], v[131:132], v[3:4]
	buffer_store_dword v1, off, s[40:43], 0 ; 4-byte Folded Spill
	s_nop 0
	buffer_store_dword v2, off, s[40:43], 0 offset:4 ; 4-byte Folded Spill
	v_add_f64 v[1:2], v[145:146], v[141:142]
	buffer_store_dword v1, off, s[40:43], 0 offset:8 ; 4-byte Folded Spill
	s_nop 0
	buffer_store_dword v2, off, s[40:43], 0 offset:12 ; 4-byte Folded Spill
	buffer_load_dword v1, off, s[40:43], 0 offset:16 ; 4-byte Folded Reload
	s_nop 0
	buffer_load_dword v2, off, s[40:43], 0 offset:20 ; 4-byte Folded Reload
	buffer_load_dword v136, off, s[40:43], 0 offset:492 ; 4-byte Folded Reload
	s_waitcnt vmcnt(2)
	v_add_co_u32_e32 v1, vcc, s10, v1
	buffer_store_dword v1, off, s[40:43], 0 offset:16 ; 4-byte Folded Spill
	v_mov_b32_e32 v1, s11
	s_waitcnt vmcnt(2)
	v_addc_co_u32_e32 v2, vcc, v2, v1, vcc
	buffer_store_dword v2, off, s[40:43], 0 offset:20 ; 4-byte Folded Spill
	buffer_load_dword v2, off, s[40:43], 0 offset:28 ; 4-byte Folded Reload
	s_waitcnt vmcnt(0)
	v_add_co_u32_e32 v2, vcc, s10, v2
	buffer_store_dword v2, off, s[40:43], 0 offset:28 ; 4-byte Folded Spill
	buffer_load_dword v2, off, s[40:43], 0 offset:36 ; 4-byte Folded Reload
	s_waitcnt vmcnt(0)
	v_addc_co_u32_e32 v2, vcc, v2, v1, vcc
	v_add_co_u32_e32 v136, vcc, s7, v136
	v_addc_co_u32_e32 v255, vcc, 0, v255, vcc
	v_add_co_u32_e32 v7, vcc, s10, v7
	;; [unrolled: 2-line block ×23, first 2 shown]
	v_addc_co_u32_e32 v92, vcc, v92, v1, vcc
	buffer_store_dword v2, off, s[40:43], 0 offset:36 ; 4-byte Folded Spill
	v_add_co_u32_e32 v95, vcc, s10, v95
	buffer_load_dword v2, off, s[40:43], 0 offset:48 ; 4-byte Folded Reload
	v_addc_co_u32_e32 v96, vcc, v96, v1, vcc
	v_add_co_u32_e32 v99, vcc, s10, v99
	v_addc_co_u32_e32 v100, vcc, v100, v1, vcc
	v_add_co_u32_e32 v103, vcc, s10, v103
	;; [unrolled: 2-line block ×39, first 2 shown]
	v_addc_co_u32_e32 v130, vcc, v130, v1, vcc
	s_waitcnt vmcnt(0)
	v_add_co_u32_e32 v2, vcc, s10, v2
	buffer_store_dword v2, off, s[40:43], 0 offset:48 ; 4-byte Folded Spill
	buffer_load_dword v2, off, s[40:43], 0 offset:56 ; 4-byte Folded Reload
	s_waitcnt vmcnt(0)
	v_addc_co_u32_e32 v2, vcc, v2, v1, vcc
	buffer_store_dword v2, off, s[40:43], 0 offset:56 ; 4-byte Folded Spill
	buffer_load_dword v2, off, s[40:43], 0 offset:64 ; 4-byte Folded Reload
	s_waitcnt vmcnt(0)
	v_add_co_u32_e32 v2, vcc, s10, v2
	buffer_store_dword v2, off, s[40:43], 0 offset:64 ; 4-byte Folded Spill
	buffer_load_dword v2, off, s[40:43], 0 offset:72 ; 4-byte Folded Reload
	s_waitcnt vmcnt(0)
	v_addc_co_u32_e32 v2, vcc, v2, v1, vcc
	buffer_store_dword v2, off, s[40:43], 0 offset:72 ; 4-byte Folded Spill
	buffer_load_dword v2, off, s[40:43], 0 offset:80 ; 4-byte Folded Reload
	;; [unrolled: 8-line block ×51, first 2 shown]
	s_waitcnt vmcnt(0)
	v_add_co_u32_e32 v2, vcc, s10, v2
	buffer_store_dword v2, off, s[40:43], 0 offset:476 ; 4-byte Folded Spill
	buffer_load_dword v2, off, s[40:43], 0 offset:480 ; 4-byte Folded Reload
	s_waitcnt vmcnt(0)
	v_addc_co_u32_e32 v2, vcc, v2, v1, vcc
	v_add_co_u32_e32 v165, vcc, s10, v165
	v_addc_co_u32_e32 v166, vcc, v166, v1, vcc
	v_add_co_u32_e32 v189, vcc, s10, v189
	;; [unrolled: 2-line block ×10, first 2 shown]
	buffer_store_dword v2, off, s[40:43], 0 offset:480 ; 4-byte Folded Spill
	v_addc_co_u32_e32 v5, vcc, v5, v1, vcc
	v_mov_b32_e32 v1, s12
	v_mov_b32_e32 v2, s13
	v_cmp_ge_i64_e32 vcc, s[18:19], v[1:2]
	s_cbranch_vccnz .LBB38_225
.LBB38_151:                             ; =>This Inner Loop Header: Depth=1
	s_add_u32 s0, s24, s16
	v_mov_b32_e32 v1, s12
	s_addc_u32 s1, 0, s17
	v_mov_b32_e32 v2, s13
	v_cmp_ge_i64_e32 vcc, s[0:1], v[1:2]
	v_add_co_u32_e64 v135, s[0:1], s24, v136
	buffer_store_dword v136, off, s[40:43], 0 offset:492 ; 4-byte Folded Spill
	v_addc_co_u32_e64 v136, s[0:1], 0, v255, s[0:1]
	s_mov_b64 s[0:1], -1
	s_and_b64 vcc, exec, vcc
                                        ; implicit-def: $vgpr131_vgpr132
                                        ; implicit-def: $vgpr141_vgpr142
                                        ; implicit-def: $vgpr143_vgpr144
                                        ; implicit-def: $vgpr1
                                        ; implicit-def: $vgpr145_vgpr146
                                        ; implicit-def: $vgpr3_vgpr4
	s_cbranch_vccz .LBB38_221
; %bb.152:                              ;   in Loop: Header=BB38_151 Depth=1
	s_load_dword s0, s[2:3], 0xc
	buffer_load_dword v1, off, s[40:43], 0 offset:484 ; 4-byte Folded Reload
	buffer_load_dword v2, off, s[40:43], 0 offset:488 ; 4-byte Folded Reload
	;; [unrolled: 1-line block ×3, first 2 shown]
	v_mov_b32_e32 v245, 0
	v_mov_b32_e32 v139, 0
	s_waitcnt lgkmcnt(0)
	s_and_b32 s0, s0, 0xffff
	v_mov_b32_e32 v137, 0
	v_mov_b32_e32 v246, 0
	;; [unrolled: 1-line block ×4, first 2 shown]
	s_waitcnt vmcnt(0)
	v_mad_u32_u24 v1, v1, s0, v2
	v_and_b32_e32 v1, 63, v1
	v_cmp_gt_u32_e32 vcc, 32, v1
	s_and_saveexec_b64 s[0:1], vcc
	s_cbranch_execz .LBB38_156
; %bb.153:                              ;   in Loop: Header=BB38_151 Depth=1
	v_add_co_u32_e32 v1, vcc, v135, v1
	v_addc_co_u32_e32 v2, vcc, 0, v136, vcc
	v_cmp_gt_i64_e32 vcc, s[12:13], v[1:2]
	v_mov_b32_e32 v137, 0
	v_mov_b32_e32 v139, 0
	;; [unrolled: 1-line block ×4, first 2 shown]
	s_and_saveexec_b64 s[26:27], vcc
	s_cbranch_execz .LBB38_155
; %bb.154:                              ;   in Loop: Header=BB38_151 Depth=1
	v_lshlrev_b64 v[1:2], 3, v[1:2]
	v_mov_b32_e32 v4, s23
	v_add_co_u32_e32 v3, vcc, s22, v1
	v_addc_co_u32_e32 v4, vcc, v4, v2, vcc
	v_mov_b32_e32 v131, s21
	v_add_co_u32_e32 v1, vcc, s20, v1
	v_addc_co_u32_e32 v2, vcc, v131, v2, vcc
	global_load_dwordx2 v[137:138], v[1:2], off
	global_load_dwordx2 v[139:140], v[3:4], off
.LBB38_155:                             ;   in Loop: Header=BB38_151 Depth=1
	s_or_b64 exec, exec, s[26:27]
.LBB38_156:                             ;   in Loop: Header=BB38_151 Depth=1
	s_or_b64 exec, exec, s[0:1]
	v_cmp_gt_i64_e32 vcc, s[12:13], v[135:136]
	v_mov_b32_e32 v161, 0
	v_mov_b32_e32 v162, 0
	s_and_saveexec_b64 s[0:1], vcc
	s_cbranch_execz .LBB38_158
; %bb.157:                              ;   in Loop: Header=BB38_151 Depth=1
	buffer_load_dword v1, off, s[40:43], 0 offset:16 ; 4-byte Folded Reload
	buffer_load_dword v2, off, s[40:43], 0 offset:20 ; 4-byte Folded Reload
	s_waitcnt vmcnt(1)
	v_add_co_u32_e32 v1, vcc, v1, v133
	s_waitcnt vmcnt(0)
	v_addc_co_u32_e32 v2, vcc, v2, v134, vcc
	global_load_dwordx2 v[245:246], v[1:2], off
	s_nop 0
	buffer_load_dword v1, off, s[40:43], 0 offset:28 ; 4-byte Folded Reload
	buffer_load_dword v2, off, s[40:43], 0 offset:36 ; 4-byte Folded Reload
	s_waitcnt vmcnt(1)
	v_add_co_u32_e32 v1, vcc, v1, v133
	s_waitcnt vmcnt(0)
	v_addc_co_u32_e32 v2, vcc, v2, v134, vcc
	global_load_dwordx2 v[161:162], v[1:2], off
.LBB38_158:                             ;   in Loop: Header=BB38_151 Depth=1
	s_or_b64 exec, exec, s[0:1]
	v_add_co_u32_e32 v1, vcc, 1, v135
	v_addc_co_u32_e32 v2, vcc, 0, v136, vcc
	v_cmp_gt_i64_e32 vcc, s[12:13], v[1:2]
	v_mov_b32_e32 v253, 0
	v_mov_b32_e32 v157, 0
	;; [unrolled: 1-line block ×6, first 2 shown]
	s_and_saveexec_b64 s[0:1], vcc
	s_cbranch_execz .LBB38_160
; %bb.159:                              ;   in Loop: Header=BB38_151 Depth=1
	v_add_co_u32_e32 v1, vcc, v197, v133
	v_addc_co_u32_e32 v2, vcc, v198, v134, vcc
	global_load_dwordx2 v[157:158], v[1:2], off
	v_add_co_u32_e32 v1, vcc, v0, v133
	v_addc_co_u32_e32 v2, vcc, v5, v134, vcc
	global_load_dwordx2 v[3:4], v[1:2], off
.LBB38_160:                             ;   in Loop: Header=BB38_151 Depth=1
	s_or_b64 exec, exec, s[0:1]
	v_add_co_u32_e32 v1, vcc, 2, v135
	v_addc_co_u32_e32 v2, vcc, 0, v136, vcc
	v_cmp_gt_i64_e32 vcc, s[12:13], v[1:2]
	v_mov_b32_e32 v153, 0
	v_mov_b32_e32 v154, 0
	s_and_saveexec_b64 s[0:1], vcc
	s_cbranch_execz .LBB38_162
; %bb.161:                              ;   in Loop: Header=BB38_151 Depth=1
	v_add_co_u32_e32 v1, vcc, v181, v133
	v_addc_co_u32_e32 v2, vcc, v182, v134, vcc
	global_load_dwordx2 v[253:254], v[1:2], off
	v_add_co_u32_e32 v1, vcc, v185, v133
	v_addc_co_u32_e32 v2, vcc, v186, v134, vcc
	global_load_dwordx2 v[153:154], v[1:2], off
.LBB38_162:                             ;   in Loop: Header=BB38_151 Depth=1
	s_or_b64 exec, exec, s[0:1]
	v_add_co_u32_e32 v1, vcc, 3, v135
	v_addc_co_u32_e32 v2, vcc, 0, v136, vcc
	v_cmp_gt_i64_e32 vcc, s[12:13], v[1:2]
	v_mov_b32_e32 v243, 0
	v_mov_b32_e32 v147, 0
	;; [unrolled: 1-line block ×6, first 2 shown]
	s_and_saveexec_b64 s[0:1], vcc
	s_cbranch_execz .LBB38_164
; %bb.163:                              ;   in Loop: Header=BB38_151 Depth=1
	v_add_co_u32_e32 v1, vcc, v177, v133
	v_addc_co_u32_e32 v2, vcc, v178, v134, vcc
	global_load_dwordx2 v[147:148], v[1:2], off
	v_add_co_u32_e32 v1, vcc, v193, v133
	v_addc_co_u32_e32 v2, vcc, v194, v134, vcc
	global_load_dwordx2 v[1:2], v[1:2], off
.LBB38_164:                             ;   in Loop: Header=BB38_151 Depth=1
	s_or_b64 exec, exec, s[0:1]
	v_add_co_u32_e32 v131, vcc, 4, v135
	v_addc_co_u32_e32 v132, vcc, 0, v136, vcc
	v_cmp_gt_i64_e32 vcc, s[12:13], v[131:132]
	v_mov_b32_e32 v131, 0
	v_mov_b32_e32 v132, 0
	s_and_saveexec_b64 s[0:1], vcc
	s_cbranch_execz .LBB38_166
; %bb.165:                              ;   in Loop: Header=BB38_151 Depth=1
	v_add_co_u32_e32 v131, vcc, v169, v133
	v_addc_co_u32_e32 v132, vcc, v170, v134, vcc
	global_load_dwordx2 v[243:244], v[131:132], off
	v_add_co_u32_e32 v131, vcc, v173, v133
	v_addc_co_u32_e32 v132, vcc, v174, v134, vcc
	global_load_dwordx2 v[131:132], v[131:132], off
.LBB38_166:                             ;   in Loop: Header=BB38_151 Depth=1
	s_or_b64 exec, exec, s[0:1]
	v_add_co_u32_e32 v141, vcc, 5, v135
	v_addc_co_u32_e32 v142, vcc, 0, v136, vcc
	v_cmp_gt_i64_e32 vcc, s[12:13], v[141:142]
	v_mov_b32_e32 v235, 0
	v_mov_b32_e32 v249, 0
	;; [unrolled: 1-line block ×6, first 2 shown]
	s_and_saveexec_b64 s[0:1], vcc
	s_cbranch_execz .LBB38_168
; %bb.167:                              ;   in Loop: Header=BB38_151 Depth=1
	v_add_co_u32_e32 v141, vcc, v165, v133
	v_addc_co_u32_e32 v142, vcc, v166, v134, vcc
	global_load_dwordx2 v[249:250], v[141:142], off
	v_add_co_u32_e32 v141, vcc, v189, v133
	v_addc_co_u32_e32 v142, vcc, v190, v134, vcc
	global_load_dwordx2 v[251:252], v[141:142], off
.LBB38_168:                             ;   in Loop: Header=BB38_151 Depth=1
	s_or_b64 exec, exec, s[0:1]
	v_add_co_u32_e32 v141, vcc, 6, v135
	v_addc_co_u32_e32 v142, vcc, 0, v136, vcc
	v_cmp_gt_i64_e32 vcc, s[12:13], v[141:142]
	v_mov_b32_e32 v247, 0
	v_mov_b32_e32 v248, 0
	s_and_saveexec_b64 s[0:1], vcc
	s_cbranch_execz .LBB38_170
; %bb.169:                              ;   in Loop: Header=BB38_151 Depth=1
	buffer_load_dword v141, off, s[40:43], 0 offset:468 ; 4-byte Folded Reload
	buffer_load_dword v142, off, s[40:43], 0 offset:472 ; 4-byte Folded Reload
	s_waitcnt vmcnt(1)
	v_add_co_u32_e32 v141, vcc, v141, v133
	s_waitcnt vmcnt(0)
	v_addc_co_u32_e32 v142, vcc, v142, v134, vcc
	global_load_dwordx2 v[235:236], v[141:142], off
	s_nop 0
	buffer_load_dword v141, off, s[40:43], 0 offset:476 ; 4-byte Folded Reload
	buffer_load_dword v142, off, s[40:43], 0 offset:480 ; 4-byte Folded Reload
	s_waitcnt vmcnt(1)
	v_add_co_u32_e32 v141, vcc, v141, v133
	s_waitcnt vmcnt(0)
	v_addc_co_u32_e32 v142, vcc, v142, v134, vcc
	global_load_dwordx2 v[247:248], v[141:142], off
.LBB38_170:                             ;   in Loop: Header=BB38_151 Depth=1
	s_or_b64 exec, exec, s[0:1]
	v_add_co_u32_e32 v141, vcc, 7, v135
	v_addc_co_u32_e32 v142, vcc, 0, v136, vcc
	v_cmp_gt_i64_e32 vcc, s[12:13], v[141:142]
	v_mov_b32_e32 v227, 0
	v_mov_b32_e32 v239, 0
	v_mov_b32_e32 v241, 0
	v_mov_b32_e32 v228, 0
	v_mov_b32_e32 v240, 0
	v_mov_b32_e32 v242, 0
	s_and_saveexec_b64 s[0:1], vcc
	s_cbranch_execz .LBB38_172
; %bb.171:                              ;   in Loop: Header=BB38_151 Depth=1
	buffer_load_dword v141, off, s[40:43], 0 offset:452 ; 4-byte Folded Reload
	buffer_load_dword v142, off, s[40:43], 0 offset:456 ; 4-byte Folded Reload
	s_waitcnt vmcnt(1)
	v_add_co_u32_e32 v141, vcc, v141, v133
	s_waitcnt vmcnt(0)
	v_addc_co_u32_e32 v142, vcc, v142, v134, vcc
	global_load_dwordx2 v[239:240], v[141:142], off
	s_nop 0
	buffer_load_dword v141, off, s[40:43], 0 offset:460 ; 4-byte Folded Reload
	buffer_load_dword v142, off, s[40:43], 0 offset:464 ; 4-byte Folded Reload
	s_waitcnt vmcnt(1)
	v_add_co_u32_e32 v141, vcc, v141, v133
	s_waitcnt vmcnt(0)
	v_addc_co_u32_e32 v142, vcc, v142, v134, vcc
	global_load_dwordx2 v[241:242], v[141:142], off
.LBB38_172:                             ;   in Loop: Header=BB38_151 Depth=1
	s_or_b64 exec, exec, s[0:1]
	v_add_co_u32_e32 v141, vcc, 8, v135
	v_addc_co_u32_e32 v142, vcc, 0, v136, vcc
	v_cmp_gt_i64_e32 vcc, s[12:13], v[141:142]
	v_mov_b32_e32 v237, 0
	v_mov_b32_e32 v238, 0
	s_and_saveexec_b64 s[0:1], vcc
	s_cbranch_execz .LBB38_174
; %bb.173:                              ;   in Loop: Header=BB38_151 Depth=1
	buffer_load_dword v141, off, s[40:43], 0 offset:436 ; 4-byte Folded Reload
	buffer_load_dword v142, off, s[40:43], 0 offset:440 ; 4-byte Folded Reload
	s_waitcnt vmcnt(1)
	v_add_co_u32_e32 v141, vcc, v141, v133
	s_waitcnt vmcnt(0)
	v_addc_co_u32_e32 v142, vcc, v142, v134, vcc
	global_load_dwordx2 v[227:228], v[141:142], off
	s_nop 0
	buffer_load_dword v141, off, s[40:43], 0 offset:444 ; 4-byte Folded Reload
	buffer_load_dword v142, off, s[40:43], 0 offset:448 ; 4-byte Folded Reload
	s_waitcnt vmcnt(1)
	v_add_co_u32_e32 v141, vcc, v141, v133
	s_waitcnt vmcnt(0)
	v_addc_co_u32_e32 v142, vcc, v142, v134, vcc
	global_load_dwordx2 v[237:238], v[141:142], off
.LBB38_174:                             ;   in Loop: Header=BB38_151 Depth=1
	s_or_b64 exec, exec, s[0:1]
	v_add_co_u32_e32 v141, vcc, 9, v135
	v_addc_co_u32_e32 v142, vcc, 0, v136, vcc
	v_cmp_gt_i64_e32 vcc, s[12:13], v[141:142]
	v_mov_b32_e32 v219, 0
	v_mov_b32_e32 v231, 0
	v_mov_b32_e32 v233, 0
	v_mov_b32_e32 v220, 0
	v_mov_b32_e32 v232, 0
	v_mov_b32_e32 v234, 0
	s_and_saveexec_b64 s[0:1], vcc
	s_cbranch_execz .LBB38_176
; %bb.175:                              ;   in Loop: Header=BB38_151 Depth=1
	buffer_load_dword v141, off, s[40:43], 0 offset:420 ; 4-byte Folded Reload
	buffer_load_dword v142, off, s[40:43], 0 offset:424 ; 4-byte Folded Reload
	s_waitcnt vmcnt(1)
	v_add_co_u32_e32 v141, vcc, v141, v133
	s_waitcnt vmcnt(0)
	v_addc_co_u32_e32 v142, vcc, v142, v134, vcc
	global_load_dwordx2 v[231:232], v[141:142], off
	s_nop 0
	buffer_load_dword v141, off, s[40:43], 0 offset:428 ; 4-byte Folded Reload
	buffer_load_dword v142, off, s[40:43], 0 offset:432 ; 4-byte Folded Reload
	s_waitcnt vmcnt(1)
	v_add_co_u32_e32 v141, vcc, v141, v133
	s_waitcnt vmcnt(0)
	v_addc_co_u32_e32 v142, vcc, v142, v134, vcc
	global_load_dwordx2 v[233:234], v[141:142], off
.LBB38_176:                             ;   in Loop: Header=BB38_151 Depth=1
	;; [unrolled: 54-line block ×5, first 2 shown]
	s_or_b64 exec, exec, s[0:1]
	v_add_co_u32_e32 v141, vcc, 16, v135
	v_addc_co_u32_e32 v142, vcc, 0, v136, vcc
	v_cmp_gt_i64_e32 vcc, s[12:13], v[141:142]
	v_mov_b32_e32 v141, 0
	v_mov_b32_e32 v142, 0
	buffer_store_dword v141, off, s[40:43], 0 offset:576 ; 4-byte Folded Spill
	s_nop 0
	buffer_store_dword v142, off, s[40:43], 0 offset:580 ; 4-byte Folded Spill
	s_and_saveexec_b64 s[0:1], vcc
	s_cbranch_execz .LBB38_190
; %bb.189:                              ;   in Loop: Header=BB38_151 Depth=1
	buffer_load_dword v141, off, s[40:43], 0 offset:308 ; 4-byte Folded Reload
	buffer_load_dword v142, off, s[40:43], 0 offset:312 ; 4-byte Folded Reload
	s_waitcnt vmcnt(1)
	v_add_co_u32_e32 v141, vcc, v141, v133
	s_waitcnt vmcnt(0)
	v_addc_co_u32_e32 v142, vcc, v142, v134, vcc
	global_load_dwordx2 v[195:196], v[141:142], off
	s_nop 0
	buffer_load_dword v141, off, s[40:43], 0 offset:316 ; 4-byte Folded Reload
	buffer_load_dword v142, off, s[40:43], 0 offset:320 ; 4-byte Folded Reload
	s_waitcnt vmcnt(1)
	v_add_co_u32_e32 v141, vcc, v141, v133
	s_waitcnt vmcnt(0)
	v_addc_co_u32_e32 v142, vcc, v142, v134, vcc
	global_load_dwordx2 v[141:142], v[141:142], off
	s_waitcnt vmcnt(0)
	buffer_store_dword v141, off, s[40:43], 0 offset:576 ; 4-byte Folded Spill
	s_nop 0
	buffer_store_dword v142, off, s[40:43], 0 offset:580 ; 4-byte Folded Spill
.LBB38_190:                             ;   in Loop: Header=BB38_151 Depth=1
	s_or_b64 exec, exec, s[0:1]
	v_add_co_u32_e32 v141, vcc, 17, v135
	v_addc_co_u32_e32 v142, vcc, 0, v136, vcc
	v_cmp_gt_i64_e32 vcc, s[12:13], v[141:142]
	v_mov_b32_e32 v187, 0
	v_mov_b32_e32 v199, 0
	;; [unrolled: 1-line block ×6, first 2 shown]
	buffer_store_dword v141, off, s[40:43], 0 offset:568 ; 4-byte Folded Spill
	s_nop 0
	buffer_store_dword v142, off, s[40:43], 0 offset:572 ; 4-byte Folded Spill
	s_and_saveexec_b64 s[0:1], vcc
	s_cbranch_execz .LBB38_192
; %bb.191:                              ;   in Loop: Header=BB38_151 Depth=1
	buffer_load_dword v141, off, s[40:43], 0 offset:292 ; 4-byte Folded Reload
	buffer_load_dword v142, off, s[40:43], 0 offset:296 ; 4-byte Folded Reload
	s_waitcnt vmcnt(1)
	v_add_co_u32_e32 v141, vcc, v141, v133
	s_waitcnt vmcnt(0)
	v_addc_co_u32_e32 v142, vcc, v142, v134, vcc
	global_load_dwordx2 v[199:200], v[141:142], off
	s_nop 0
	buffer_load_dword v141, off, s[40:43], 0 offset:300 ; 4-byte Folded Reload
	buffer_load_dword v142, off, s[40:43], 0 offset:304 ; 4-byte Folded Reload
	s_waitcnt vmcnt(1)
	v_add_co_u32_e32 v141, vcc, v141, v133
	s_waitcnt vmcnt(0)
	v_addc_co_u32_e32 v142, vcc, v142, v134, vcc
	global_load_dwordx2 v[141:142], v[141:142], off
	s_waitcnt vmcnt(0)
	buffer_store_dword v141, off, s[40:43], 0 offset:568 ; 4-byte Folded Spill
	s_nop 0
	buffer_store_dword v142, off, s[40:43], 0 offset:572 ; 4-byte Folded Spill
.LBB38_192:                             ;   in Loop: Header=BB38_151 Depth=1
	s_or_b64 exec, exec, s[0:1]
	v_add_co_u32_e32 v141, vcc, 18, v135
	v_addc_co_u32_e32 v142, vcc, 0, v136, vcc
	v_cmp_gt_i64_e32 vcc, s[12:13], v[141:142]
	v_mov_b32_e32 v141, 0
	v_mov_b32_e32 v142, 0
	buffer_store_dword v141, off, s[40:43], 0 offset:560 ; 4-byte Folded Spill
	s_nop 0
	buffer_store_dword v142, off, s[40:43], 0 offset:564 ; 4-byte Folded Spill
	s_and_saveexec_b64 s[0:1], vcc
	s_cbranch_execz .LBB38_194
; %bb.193:                              ;   in Loop: Header=BB38_151 Depth=1
	buffer_load_dword v141, off, s[40:43], 0 offset:276 ; 4-byte Folded Reload
	buffer_load_dword v142, off, s[40:43], 0 offset:280 ; 4-byte Folded Reload
	s_waitcnt vmcnt(1)
	v_add_co_u32_e32 v141, vcc, v141, v133
	s_waitcnt vmcnt(0)
	v_addc_co_u32_e32 v142, vcc, v142, v134, vcc
	global_load_dwordx2 v[187:188], v[141:142], off
	s_nop 0
	buffer_load_dword v141, off, s[40:43], 0 offset:284 ; 4-byte Folded Reload
	buffer_load_dword v142, off, s[40:43], 0 offset:288 ; 4-byte Folded Reload
	s_waitcnt vmcnt(1)
	v_add_co_u32_e32 v141, vcc, v141, v133
	s_waitcnt vmcnt(0)
	v_addc_co_u32_e32 v142, vcc, v142, v134, vcc
	global_load_dwordx2 v[141:142], v[141:142], off
	s_waitcnt vmcnt(0)
	buffer_store_dword v141, off, s[40:43], 0 offset:560 ; 4-byte Folded Spill
	s_nop 0
	buffer_store_dword v142, off, s[40:43], 0 offset:564 ; 4-byte Folded Spill
.LBB38_194:                             ;   in Loop: Header=BB38_151 Depth=1
	s_or_b64 exec, exec, s[0:1]
	v_add_co_u32_e32 v141, vcc, 19, v135
	v_addc_co_u32_e32 v142, vcc, 0, v136, vcc
	v_cmp_gt_i64_e32 vcc, s[12:13], v[141:142]
	v_mov_b32_e32 v179, 0
	v_mov_b32_e32 v191, 0
	;; [unrolled: 1-line block ×6, first 2 shown]
	buffer_store_dword v141, off, s[40:43], 0 offset:552 ; 4-byte Folded Spill
	s_nop 0
	buffer_store_dword v142, off, s[40:43], 0 offset:556 ; 4-byte Folded Spill
	s_and_saveexec_b64 s[0:1], vcc
	s_cbranch_execz .LBB38_196
; %bb.195:                              ;   in Loop: Header=BB38_151 Depth=1
	buffer_load_dword v141, off, s[40:43], 0 offset:260 ; 4-byte Folded Reload
	buffer_load_dword v142, off, s[40:43], 0 offset:264 ; 4-byte Folded Reload
	s_waitcnt vmcnt(1)
	v_add_co_u32_e32 v141, vcc, v141, v133
	s_waitcnt vmcnt(0)
	v_addc_co_u32_e32 v142, vcc, v142, v134, vcc
	global_load_dwordx2 v[191:192], v[141:142], off
	s_nop 0
	buffer_load_dword v141, off, s[40:43], 0 offset:268 ; 4-byte Folded Reload
	buffer_load_dword v142, off, s[40:43], 0 offset:272 ; 4-byte Folded Reload
	s_waitcnt vmcnt(1)
	v_add_co_u32_e32 v141, vcc, v141, v133
	s_waitcnt vmcnt(0)
	v_addc_co_u32_e32 v142, vcc, v142, v134, vcc
	global_load_dwordx2 v[141:142], v[141:142], off
	s_waitcnt vmcnt(0)
	buffer_store_dword v141, off, s[40:43], 0 offset:552 ; 4-byte Folded Spill
	s_nop 0
	buffer_store_dword v142, off, s[40:43], 0 offset:556 ; 4-byte Folded Spill
.LBB38_196:                             ;   in Loop: Header=BB38_151 Depth=1
	s_or_b64 exec, exec, s[0:1]
	v_add_co_u32_e32 v141, vcc, 20, v135
	v_addc_co_u32_e32 v142, vcc, 0, v136, vcc
	v_cmp_gt_i64_e32 vcc, s[12:13], v[141:142]
	v_mov_b32_e32 v141, 0
	v_mov_b32_e32 v142, 0
	buffer_store_dword v141, off, s[40:43], 0 offset:544 ; 4-byte Folded Spill
	s_nop 0
	buffer_store_dword v142, off, s[40:43], 0 offset:548 ; 4-byte Folded Spill
	s_and_saveexec_b64 s[0:1], vcc
	s_cbranch_execz .LBB38_198
; %bb.197:                              ;   in Loop: Header=BB38_151 Depth=1
	buffer_load_dword v141, off, s[40:43], 0 offset:244 ; 4-byte Folded Reload
	buffer_load_dword v142, off, s[40:43], 0 offset:248 ; 4-byte Folded Reload
	s_waitcnt vmcnt(1)
	v_add_co_u32_e32 v141, vcc, v141, v133
	s_waitcnt vmcnt(0)
	v_addc_co_u32_e32 v142, vcc, v142, v134, vcc
	global_load_dwordx2 v[179:180], v[141:142], off
	s_nop 0
	buffer_load_dword v141, off, s[40:43], 0 offset:252 ; 4-byte Folded Reload
	buffer_load_dword v142, off, s[40:43], 0 offset:256 ; 4-byte Folded Reload
	s_waitcnt vmcnt(1)
	v_add_co_u32_e32 v141, vcc, v141, v133
	s_waitcnt vmcnt(0)
	v_addc_co_u32_e32 v142, vcc, v142, v134, vcc
	global_load_dwordx2 v[141:142], v[141:142], off
	s_waitcnt vmcnt(0)
	buffer_store_dword v141, off, s[40:43], 0 offset:544 ; 4-byte Folded Spill
	s_nop 0
	buffer_store_dword v142, off, s[40:43], 0 offset:548 ; 4-byte Folded Spill
.LBB38_198:                             ;   in Loop: Header=BB38_151 Depth=1
	s_or_b64 exec, exec, s[0:1]
	v_add_co_u32_e32 v141, vcc, 21, v135
	v_addc_co_u32_e32 v142, vcc, 0, v136, vcc
	v_cmp_gt_i64_e32 vcc, s[12:13], v[141:142]
	v_mov_b32_e32 v171, 0
	v_mov_b32_e32 v183, 0
	;; [unrolled: 1-line block ×6, first 2 shown]
	buffer_store_dword v141, off, s[40:43], 0 offset:536 ; 4-byte Folded Spill
	s_nop 0
	buffer_store_dword v142, off, s[40:43], 0 offset:540 ; 4-byte Folded Spill
	s_and_saveexec_b64 s[0:1], vcc
	s_cbranch_execz .LBB38_200
; %bb.199:                              ;   in Loop: Header=BB38_151 Depth=1
	buffer_load_dword v141, off, s[40:43], 0 offset:228 ; 4-byte Folded Reload
	buffer_load_dword v142, off, s[40:43], 0 offset:232 ; 4-byte Folded Reload
	s_waitcnt vmcnt(1)
	v_add_co_u32_e32 v141, vcc, v141, v133
	s_waitcnt vmcnt(0)
	v_addc_co_u32_e32 v142, vcc, v142, v134, vcc
	global_load_dwordx2 v[183:184], v[141:142], off
	s_nop 0
	buffer_load_dword v141, off, s[40:43], 0 offset:236 ; 4-byte Folded Reload
	buffer_load_dword v142, off, s[40:43], 0 offset:240 ; 4-byte Folded Reload
	s_waitcnt vmcnt(1)
	v_add_co_u32_e32 v141, vcc, v141, v133
	s_waitcnt vmcnt(0)
	v_addc_co_u32_e32 v142, vcc, v142, v134, vcc
	global_load_dwordx2 v[141:142], v[141:142], off
	s_waitcnt vmcnt(0)
	buffer_store_dword v141, off, s[40:43], 0 offset:536 ; 4-byte Folded Spill
	s_nop 0
	buffer_store_dword v142, off, s[40:43], 0 offset:540 ; 4-byte Folded Spill
.LBB38_200:                             ;   in Loop: Header=BB38_151 Depth=1
	s_or_b64 exec, exec, s[0:1]
	v_add_co_u32_e32 v141, vcc, 22, v135
	v_addc_co_u32_e32 v142, vcc, 0, v136, vcc
	v_cmp_gt_i64_e32 vcc, s[12:13], v[141:142]
	v_mov_b32_e32 v141, 0
	v_mov_b32_e32 v142, 0
	buffer_store_dword v141, off, s[40:43], 0 offset:528 ; 4-byte Folded Spill
	s_nop 0
	buffer_store_dword v142, off, s[40:43], 0 offset:532 ; 4-byte Folded Spill
	s_and_saveexec_b64 s[0:1], vcc
	s_cbranch_execz .LBB38_202
; %bb.201:                              ;   in Loop: Header=BB38_151 Depth=1
	buffer_load_dword v141, off, s[40:43], 0 offset:212 ; 4-byte Folded Reload
	buffer_load_dword v142, off, s[40:43], 0 offset:216 ; 4-byte Folded Reload
	s_waitcnt vmcnt(1)
	v_add_co_u32_e32 v141, vcc, v141, v133
	s_waitcnt vmcnt(0)
	v_addc_co_u32_e32 v142, vcc, v142, v134, vcc
	global_load_dwordx2 v[171:172], v[141:142], off
	s_nop 0
	buffer_load_dword v141, off, s[40:43], 0 offset:220 ; 4-byte Folded Reload
	buffer_load_dword v142, off, s[40:43], 0 offset:224 ; 4-byte Folded Reload
	s_waitcnt vmcnt(1)
	v_add_co_u32_e32 v141, vcc, v141, v133
	s_waitcnt vmcnt(0)
	v_addc_co_u32_e32 v142, vcc, v142, v134, vcc
	global_load_dwordx2 v[141:142], v[141:142], off
	s_waitcnt vmcnt(0)
	buffer_store_dword v141, off, s[40:43], 0 offset:528 ; 4-byte Folded Spill
	s_nop 0
	buffer_store_dword v142, off, s[40:43], 0 offset:532 ; 4-byte Folded Spill
.LBB38_202:                             ;   in Loop: Header=BB38_151 Depth=1
	s_or_b64 exec, exec, s[0:1]
	v_add_co_u32_e32 v141, vcc, 23, v135
	v_addc_co_u32_e32 v142, vcc, 0, v136, vcc
	v_cmp_gt_i64_e32 vcc, s[12:13], v[141:142]
	v_mov_b32_e32 v163, 0
	v_mov_b32_e32 v175, 0
	;; [unrolled: 1-line block ×6, first 2 shown]
	buffer_store_dword v141, off, s[40:43], 0 offset:520 ; 4-byte Folded Spill
	s_nop 0
	buffer_store_dword v142, off, s[40:43], 0 offset:524 ; 4-byte Folded Spill
	s_and_saveexec_b64 s[0:1], vcc
	s_cbranch_execz .LBB38_204
; %bb.203:                              ;   in Loop: Header=BB38_151 Depth=1
	buffer_load_dword v141, off, s[40:43], 0 offset:196 ; 4-byte Folded Reload
	buffer_load_dword v142, off, s[40:43], 0 offset:200 ; 4-byte Folded Reload
	s_waitcnt vmcnt(1)
	v_add_co_u32_e32 v141, vcc, v141, v133
	s_waitcnt vmcnt(0)
	v_addc_co_u32_e32 v142, vcc, v142, v134, vcc
	global_load_dwordx2 v[175:176], v[141:142], off
	s_nop 0
	buffer_load_dword v141, off, s[40:43], 0 offset:204 ; 4-byte Folded Reload
	buffer_load_dword v142, off, s[40:43], 0 offset:208 ; 4-byte Folded Reload
	s_waitcnt vmcnt(1)
	v_add_co_u32_e32 v141, vcc, v141, v133
	s_waitcnt vmcnt(0)
	v_addc_co_u32_e32 v142, vcc, v142, v134, vcc
	global_load_dwordx2 v[141:142], v[141:142], off
	s_waitcnt vmcnt(0)
	buffer_store_dword v141, off, s[40:43], 0 offset:520 ; 4-byte Folded Spill
	s_nop 0
	buffer_store_dword v142, off, s[40:43], 0 offset:524 ; 4-byte Folded Spill
.LBB38_204:                             ;   in Loop: Header=BB38_151 Depth=1
	s_or_b64 exec, exec, s[0:1]
	v_add_co_u32_e32 v141, vcc, 24, v135
	v_addc_co_u32_e32 v142, vcc, 0, v136, vcc
	v_cmp_gt_i64_e32 vcc, s[12:13], v[141:142]
	v_mov_b32_e32 v141, 0
	v_mov_b32_e32 v142, 0
	buffer_store_dword v141, off, s[40:43], 0 offset:512 ; 4-byte Folded Spill
	s_nop 0
	buffer_store_dword v142, off, s[40:43], 0 offset:516 ; 4-byte Folded Spill
	s_and_saveexec_b64 s[0:1], vcc
	s_cbranch_execz .LBB38_206
; %bb.205:                              ;   in Loop: Header=BB38_151 Depth=1
	buffer_load_dword v141, off, s[40:43], 0 offset:180 ; 4-byte Folded Reload
	buffer_load_dword v142, off, s[40:43], 0 offset:184 ; 4-byte Folded Reload
	s_waitcnt vmcnt(1)
	v_add_co_u32_e32 v141, vcc, v141, v133
	s_waitcnt vmcnt(0)
	v_addc_co_u32_e32 v142, vcc, v142, v134, vcc
	global_load_dwordx2 v[163:164], v[141:142], off
	s_nop 0
	buffer_load_dword v141, off, s[40:43], 0 offset:188 ; 4-byte Folded Reload
	buffer_load_dword v142, off, s[40:43], 0 offset:192 ; 4-byte Folded Reload
	s_waitcnt vmcnt(1)
	v_add_co_u32_e32 v141, vcc, v141, v133
	s_waitcnt vmcnt(0)
	v_addc_co_u32_e32 v142, vcc, v142, v134, vcc
	global_load_dwordx2 v[141:142], v[141:142], off
	s_waitcnt vmcnt(0)
	buffer_store_dword v141, off, s[40:43], 0 offset:512 ; 4-byte Folded Spill
	s_nop 0
	buffer_store_dword v142, off, s[40:43], 0 offset:516 ; 4-byte Folded Spill
.LBB38_206:                             ;   in Loop: Header=BB38_151 Depth=1
	s_or_b64 exec, exec, s[0:1]
	v_add_co_u32_e32 v141, vcc, 25, v135
	v_addc_co_u32_e32 v142, vcc, 0, v136, vcc
	v_cmp_gt_i64_e32 vcc, s[12:13], v[141:142]
	v_mov_b32_e32 v155, 0
	v_mov_b32_e32 v167, 0
	;; [unrolled: 1-line block ×6, first 2 shown]
	buffer_store_dword v141, off, s[40:43], 0 offset:504 ; 4-byte Folded Spill
	s_nop 0
	buffer_store_dword v142, off, s[40:43], 0 offset:508 ; 4-byte Folded Spill
	s_and_saveexec_b64 s[0:1], vcc
	s_cbranch_execz .LBB38_208
; %bb.207:                              ;   in Loop: Header=BB38_151 Depth=1
	buffer_load_dword v141, off, s[40:43], 0 offset:164 ; 4-byte Folded Reload
	buffer_load_dword v142, off, s[40:43], 0 offset:168 ; 4-byte Folded Reload
	s_waitcnt vmcnt(1)
	v_add_co_u32_e32 v141, vcc, v141, v133
	s_waitcnt vmcnt(0)
	v_addc_co_u32_e32 v142, vcc, v142, v134, vcc
	global_load_dwordx2 v[167:168], v[141:142], off
	s_nop 0
	buffer_load_dword v141, off, s[40:43], 0 offset:172 ; 4-byte Folded Reload
	buffer_load_dword v142, off, s[40:43], 0 offset:176 ; 4-byte Folded Reload
	s_waitcnt vmcnt(1)
	v_add_co_u32_e32 v141, vcc, v141, v133
	s_waitcnt vmcnt(0)
	v_addc_co_u32_e32 v142, vcc, v142, v134, vcc
	global_load_dwordx2 v[141:142], v[141:142], off
	s_waitcnt vmcnt(0)
	buffer_store_dword v141, off, s[40:43], 0 offset:504 ; 4-byte Folded Spill
	s_nop 0
	buffer_store_dword v142, off, s[40:43], 0 offset:508 ; 4-byte Folded Spill
.LBB38_208:                             ;   in Loop: Header=BB38_151 Depth=1
	s_or_b64 exec, exec, s[0:1]
	v_add_co_u32_e32 v141, vcc, 26, v135
	v_addc_co_u32_e32 v142, vcc, 0, v136, vcc
	v_cmp_gt_i64_e32 vcc, s[12:13], v[141:142]
	v_mov_b32_e32 v141, 0
	v_mov_b32_e32 v142, 0
	buffer_store_dword v141, off, s[40:43], 0 offset:496 ; 4-byte Folded Spill
	s_nop 0
	buffer_store_dword v142, off, s[40:43], 0 offset:500 ; 4-byte Folded Spill
	s_and_saveexec_b64 s[0:1], vcc
	s_cbranch_execz .LBB38_210
; %bb.209:                              ;   in Loop: Header=BB38_151 Depth=1
	buffer_load_dword v141, off, s[40:43], 0 offset:148 ; 4-byte Folded Reload
	buffer_load_dword v142, off, s[40:43], 0 offset:152 ; 4-byte Folded Reload
	s_waitcnt vmcnt(1)
	v_add_co_u32_e32 v141, vcc, v141, v133
	s_waitcnt vmcnt(0)
	v_addc_co_u32_e32 v142, vcc, v142, v134, vcc
	global_load_dwordx2 v[155:156], v[141:142], off
	s_nop 0
	buffer_load_dword v141, off, s[40:43], 0 offset:156 ; 4-byte Folded Reload
	buffer_load_dword v142, off, s[40:43], 0 offset:160 ; 4-byte Folded Reload
	s_waitcnt vmcnt(1)
	v_add_co_u32_e32 v141, vcc, v141, v133
	s_waitcnt vmcnt(0)
	v_addc_co_u32_e32 v142, vcc, v142, v134, vcc
	global_load_dwordx2 v[141:142], v[141:142], off
	s_waitcnt vmcnt(0)
	buffer_store_dword v141, off, s[40:43], 0 offset:496 ; 4-byte Folded Spill
	s_nop 0
	buffer_store_dword v142, off, s[40:43], 0 offset:500 ; 4-byte Folded Spill
.LBB38_210:                             ;   in Loop: Header=BB38_151 Depth=1
	s_or_b64 exec, exec, s[0:1]
	v_add_co_u32_e32 v141, vcc, 27, v135
	v_addc_co_u32_e32 v142, vcc, 0, v136, vcc
	v_cmp_gt_i64_e32 vcc, s[12:13], v[141:142]
	v_mov_b32_e32 v149, 0
	v_mov_b32_e32 v159, 0
	v_mov_b32_e32 v205, 0
	v_mov_b32_e32 v150, 0
	v_mov_b32_e32 v160, 0
	v_mov_b32_e32 v206, 0
	s_and_saveexec_b64 s[0:1], vcc
	s_cbranch_execz .LBB38_212
; %bb.211:                              ;   in Loop: Header=BB38_151 Depth=1
	buffer_load_dword v141, off, s[40:43], 0 offset:132 ; 4-byte Folded Reload
	buffer_load_dword v142, off, s[40:43], 0 offset:136 ; 4-byte Folded Reload
	s_waitcnt vmcnt(1)
	v_add_co_u32_e32 v141, vcc, v141, v133
	s_waitcnt vmcnt(0)
	v_addc_co_u32_e32 v142, vcc, v142, v134, vcc
	global_load_dwordx2 v[159:160], v[141:142], off
	s_nop 0
	buffer_load_dword v141, off, s[40:43], 0 offset:140 ; 4-byte Folded Reload
	buffer_load_dword v142, off, s[40:43], 0 offset:144 ; 4-byte Folded Reload
	s_waitcnt vmcnt(1)
	v_add_co_u32_e32 v141, vcc, v141, v133
	s_waitcnt vmcnt(0)
	v_addc_co_u32_e32 v142, vcc, v142, v134, vcc
	global_load_dwordx2 v[205:206], v[141:142], off
.LBB38_212:                             ;   in Loop: Header=BB38_151 Depth=1
	s_or_b64 exec, exec, s[0:1]
	v_add_co_u32_e32 v141, vcc, 28, v135
	v_addc_co_u32_e32 v142, vcc, 0, v136, vcc
	v_cmp_gt_i64_e32 vcc, s[12:13], v[141:142]
	v_mov_b32_e32 v201, 0
	v_mov_b32_e32 v202, 0
	s_and_saveexec_b64 s[0:1], vcc
	s_cbranch_execz .LBB38_214
; %bb.213:                              ;   in Loop: Header=BB38_151 Depth=1
	buffer_load_dword v141, off, s[40:43], 0 offset:116 ; 4-byte Folded Reload
	buffer_load_dword v142, off, s[40:43], 0 offset:120 ; 4-byte Folded Reload
	s_waitcnt vmcnt(1)
	v_add_co_u32_e32 v141, vcc, v141, v133
	s_waitcnt vmcnt(0)
	v_addc_co_u32_e32 v142, vcc, v142, v134, vcc
	global_load_dwordx2 v[149:150], v[141:142], off
	s_nop 0
	buffer_load_dword v141, off, s[40:43], 0 offset:124 ; 4-byte Folded Reload
	buffer_load_dword v142, off, s[40:43], 0 offset:128 ; 4-byte Folded Reload
	s_waitcnt vmcnt(1)
	v_add_co_u32_e32 v141, vcc, v141, v133
	s_waitcnt vmcnt(0)
	v_addc_co_u32_e32 v142, vcc, v142, v134, vcc
	global_load_dwordx2 v[201:202], v[141:142], off
.LBB38_214:                             ;   in Loop: Header=BB38_151 Depth=1
	s_or_b64 exec, exec, s[0:1]
	v_add_co_u32_e32 v141, vcc, 29, v135
	v_addc_co_u32_e32 v142, vcc, 0, v136, vcc
	v_cmp_gt_i64_e32 vcc, s[12:13], v[141:142]
	v_mov_b32_e32 v145, 0
	v_mov_b32_e32 v151, 0
	v_mov_b32_e32 v143, 0
	v_mov_b32_e32 v146, 0
	v_mov_b32_e32 v152, 0
	v_mov_b32_e32 v144, 0
	s_and_saveexec_b64 s[0:1], vcc
	s_cbranch_execz .LBB38_216
; %bb.215:                              ;   in Loop: Header=BB38_151 Depth=1
	buffer_load_dword v141, off, s[40:43], 0 offset:100 ; 4-byte Folded Reload
	buffer_load_dword v142, off, s[40:43], 0 offset:104 ; 4-byte Folded Reload
	s_waitcnt vmcnt(1)
	v_add_co_u32_e32 v141, vcc, v141, v133
	s_waitcnt vmcnt(0)
	v_addc_co_u32_e32 v142, vcc, v142, v134, vcc
	global_load_dwordx2 v[151:152], v[141:142], off
	s_nop 0
	buffer_load_dword v141, off, s[40:43], 0 offset:108 ; 4-byte Folded Reload
	buffer_load_dword v142, off, s[40:43], 0 offset:112 ; 4-byte Folded Reload
	s_waitcnt vmcnt(1)
	v_add_co_u32_e32 v141, vcc, v141, v133
	s_waitcnt vmcnt(0)
	v_addc_co_u32_e32 v142, vcc, v142, v134, vcc
	global_load_dwordx2 v[143:144], v[141:142], off
.LBB38_216:                             ;   in Loop: Header=BB38_151 Depth=1
	s_or_b64 exec, exec, s[0:1]
	v_add_co_u32_e32 v141, vcc, 30, v135
	v_addc_co_u32_e32 v142, vcc, 0, v136, vcc
	v_cmp_gt_i64_e32 vcc, s[12:13], v[141:142]
	v_mov_b32_e32 v141, 0
	v_mov_b32_e32 v142, 0
	s_and_saveexec_b64 s[0:1], vcc
	s_cbranch_execz .LBB38_218
; %bb.217:                              ;   in Loop: Header=BB38_151 Depth=1
	buffer_load_dword v141, off, s[40:43], 0 offset:80 ; 4-byte Folded Reload
	buffer_load_dword v142, off, s[40:43], 0 offset:88 ; 4-byte Folded Reload
	s_waitcnt vmcnt(1)
	v_add_co_u32_e32 v141, vcc, v141, v133
	s_waitcnt vmcnt(0)
	v_addc_co_u32_e32 v142, vcc, v142, v134, vcc
	global_load_dwordx2 v[145:146], v[141:142], off
	s_nop 0
	buffer_load_dword v141, off, s[40:43], 0 offset:92 ; 4-byte Folded Reload
	buffer_load_dword v142, off, s[40:43], 0 offset:96 ; 4-byte Folded Reload
	s_waitcnt vmcnt(1)
	v_add_co_u32_e32 v141, vcc, v141, v133
	s_waitcnt vmcnt(0)
	v_addc_co_u32_e32 v142, vcc, v142, v134, vcc
	global_load_dwordx2 v[141:142], v[141:142], off
.LBB38_218:                             ;   in Loop: Header=BB38_151 Depth=1
	s_or_b64 exec, exec, s[0:1]
	s_waitcnt vmcnt(0)
	buffer_store_dword v205, off, s[40:43], 0 offset:608 ; 4-byte Folded Spill
	s_nop 0
	buffer_store_dword v206, off, s[40:43], 0 offset:612 ; 4-byte Folded Spill
	buffer_store_dword v201, off, s[40:43], 0 offset:600 ; 4-byte Folded Spill
	s_nop 0
	buffer_store_dword v202, off, s[40:43], 0 offset:604 ; 4-byte Folded Spill
	;; [unrolled: 3-line block ×4, first 2 shown]
	v_add_co_u32_e32 v141, vcc, 31, v135
	v_addc_co_u32_e32 v142, vcc, 0, v136, vcc
	v_cmp_gt_i64_e32 vcc, s[12:13], v[141:142]
	v_mov_b32_e32 v141, 0
	v_mov_b32_e32 v143, 0
	;; [unrolled: 1-line block ×4, first 2 shown]
	s_and_saveexec_b64 s[0:1], vcc
	s_cbranch_execz .LBB38_220
; %bb.219:                              ;   in Loop: Header=BB38_151 Depth=1
	buffer_load_dword v141, off, s[40:43], 0 offset:48 ; 4-byte Folded Reload
	buffer_load_dword v142, off, s[40:43], 0 offset:56 ; 4-byte Folded Reload
	buffer_load_dword v143, off, s[40:43], 0 offset:64 ; 4-byte Folded Reload
	buffer_load_dword v144, off, s[40:43], 0 offset:72 ; 4-byte Folded Reload
	s_waitcnt vmcnt(3)
	v_add_co_u32_e32 v141, vcc, v141, v133
	s_waitcnt vmcnt(2)
	v_addc_co_u32_e32 v142, vcc, v142, v134, vcc
	s_waitcnt vmcnt(1)
	v_add_co_u32_e32 v143, vcc, v143, v133
	s_waitcnt vmcnt(0)
	v_addc_co_u32_e32 v144, vcc, v144, v134, vcc
	global_load_dwordx2 v[141:142], v[141:142], off
	s_nop 0
	global_load_dwordx2 v[143:144], v[143:144], off
.LBB38_220:                             ;   in Loop: Header=BB38_151 Depth=1
	s_or_b64 exec, exec, s[0:1]
	ds_bpermute_b32 v205, v6, v137
	ds_bpermute_b32 v206, v6, v138
	;; [unrolled: 1-line block ×4, first 2 shown]
	s_mov_b64 s[0:1], 0
	s_waitcnt lgkmcnt(2)
	v_add_f64 v[161:162], v[161:162], -v[205:206]
	buffer_load_dword v205, off, s[40:43], 0 ; 4-byte Folded Reload
	buffer_load_dword v206, off, s[40:43], 0 offset:4 ; 4-byte Folded Reload
	v_mul_f64 v[161:162], v[245:246], v[161:162]
	s_waitcnt vmcnt(0) lgkmcnt(0)
	v_fma_f64 v[161:162], v[161:162], v[201:202], v[205:206]
	buffer_load_dword v201, off, s[40:43], 0 offset:8 ; 4-byte Folded Reload
	buffer_load_dword v202, off, s[40:43], 0 offset:12 ; 4-byte Folded Reload
	ds_bpermute_b32 v205, v6, v139 offset:4
	ds_bpermute_b32 v206, v6, v140 offset:4
	s_waitcnt vmcnt(0)
	v_add_f64 v[201:202], v[201:202], v[245:246]
	ds_bpermute_b32 v245, v6, v137 offset:4
	ds_bpermute_b32 v246, v6, v138 offset:4
	s_waitcnt lgkmcnt(0)
	v_add_f64 v[3:4], v[3:4], -v[245:246]
	v_mul_f64 v[3:4], v[157:158], v[3:4]
	v_add_f64 v[157:158], v[201:202], v[157:158]
	ds_bpermute_b32 v201, v6, v137 offset:8
	ds_bpermute_b32 v202, v6, v138 offset:8
	s_waitcnt lgkmcnt(0)
	v_add_f64 v[153:154], v[153:154], -v[201:202]
	v_fma_f64 v[3:4], v[3:4], v[205:206], v[161:162]
	ds_bpermute_b32 v161, v6, v139 offset:8
	ds_bpermute_b32 v162, v6, v140 offset:8
	v_mul_f64 v[153:154], v[253:254], v[153:154]
	s_waitcnt lgkmcnt(0)
	v_fma_f64 v[3:4], v[153:154], v[161:162], v[3:4]
	ds_bpermute_b32 v161, v6, v137 offset:12
	ds_bpermute_b32 v162, v6, v138 offset:12
	v_add_f64 v[153:154], v[157:158], v[253:254]
	ds_bpermute_b32 v157, v6, v139 offset:12
	ds_bpermute_b32 v158, v6, v140 offset:12
	s_waitcnt lgkmcnt(2)
	v_add_f64 v[1:2], v[1:2], -v[161:162]
	v_mul_f64 v[1:2], v[147:148], v[1:2]
	s_waitcnt lgkmcnt(0)
	v_fma_f64 v[1:2], v[1:2], v[157:158], v[3:4]
	v_add_f64 v[3:4], v[153:154], v[147:148]
	ds_bpermute_b32 v153, v6, v137 offset:16
	ds_bpermute_b32 v154, v6, v138 offset:16
	;; [unrolled: 1-line block ×4, first 2 shown]
	s_waitcnt lgkmcnt(2)
	v_add_f64 v[131:132], v[131:132], -v[153:154]
	buffer_load_dword v153, off, s[40:43], 0 offset:576 ; 4-byte Folded Reload
	buffer_load_dword v154, off, s[40:43], 0 offset:580 ; 4-byte Folded Reload
	v_add_f64 v[3:4], v[3:4], v[243:244]
	v_mul_f64 v[131:132], v[243:244], v[131:132]
	v_add_f64 v[3:4], v[3:4], v[249:250]
	s_waitcnt lgkmcnt(0)
	v_fma_f64 v[1:2], v[131:132], v[147:148], v[1:2]
	ds_bpermute_b32 v147, v6, v137 offset:20
	ds_bpermute_b32 v148, v6, v138 offset:20
	ds_bpermute_b32 v131, v6, v139 offset:20
	ds_bpermute_b32 v132, v6, v140 offset:20
	v_add_f64 v[3:4], v[3:4], v[235:236]
	s_waitcnt lgkmcnt(2)
	v_add_f64 v[147:148], v[251:252], -v[147:148]
	v_add_f64 v[3:4], v[3:4], v[239:240]
	v_mul_f64 v[147:148], v[249:250], v[147:148]
	v_add_f64 v[3:4], v[3:4], v[227:228]
	s_waitcnt lgkmcnt(0)
	v_fma_f64 v[1:2], v[147:148], v[131:132], v[1:2]
	ds_bpermute_b32 v147, v6, v137 offset:24
	ds_bpermute_b32 v148, v6, v138 offset:24
	ds_bpermute_b32 v131, v6, v139 offset:24
	ds_bpermute_b32 v132, v6, v140 offset:24
	v_add_f64 v[3:4], v[3:4], v[231:232]
	s_waitcnt lgkmcnt(2)
	v_add_f64 v[147:148], v[247:248], -v[147:148]
	v_add_f64 v[3:4], v[3:4], v[219:220]
	v_mul_f64 v[147:148], v[235:236], v[147:148]
	v_add_f64 v[3:4], v[3:4], v[223:224]
	s_waitcnt lgkmcnt(0)
	v_fma_f64 v[1:2], v[147:148], v[131:132], v[1:2]
	ds_bpermute_b32 v147, v6, v137 offset:28
	ds_bpermute_b32 v148, v6, v138 offset:28
	ds_bpermute_b32 v131, v6, v139 offset:28
	ds_bpermute_b32 v132, v6, v140 offset:28
	s_waitcnt lgkmcnt(2)
	v_add_f64 v[147:148], v[241:242], -v[147:148]
	v_add_f64 v[3:4], v[3:4], v[211:212]
	v_mul_f64 v[147:148], v[239:240], v[147:148]
	v_add_f64 v[3:4], v[3:4], v[215:216]
	s_waitcnt lgkmcnt(0)
	v_fma_f64 v[1:2], v[147:148], v[131:132], v[1:2]
	ds_bpermute_b32 v147, v6, v137 offset:32
	ds_bpermute_b32 v148, v6, v138 offset:32
	ds_bpermute_b32 v131, v6, v139 offset:32
	ds_bpermute_b32 v132, v6, v140 offset:32
	v_add_f64 v[3:4], v[3:4], v[203:204]
	s_waitcnt lgkmcnt(2)
	v_add_f64 v[147:148], v[237:238], -v[147:148]
	v_add_f64 v[3:4], v[3:4], v[207:208]
	v_mul_f64 v[147:148], v[227:228], v[147:148]
	v_add_f64 v[3:4], v[3:4], v[195:196]
	s_waitcnt lgkmcnt(0)
	v_fma_f64 v[1:2], v[147:148], v[131:132], v[1:2]
	ds_bpermute_b32 v147, v6, v137 offset:36
	ds_bpermute_b32 v148, v6, v138 offset:36
	ds_bpermute_b32 v131, v6, v139 offset:36
	ds_bpermute_b32 v132, v6, v140 offset:36
	v_add_f64 v[3:4], v[3:4], v[199:200]
	s_waitcnt lgkmcnt(2)
	v_add_f64 v[147:148], v[233:234], -v[147:148]
	v_add_f64 v[3:4], v[3:4], v[187:188]
	v_mul_f64 v[147:148], v[231:232], v[147:148]
	v_add_f64 v[3:4], v[3:4], v[191:192]
	s_waitcnt lgkmcnt(0)
	v_fma_f64 v[1:2], v[147:148], v[131:132], v[1:2]
	ds_bpermute_b32 v147, v6, v137 offset:40
	ds_bpermute_b32 v148, v6, v138 offset:40
	ds_bpermute_b32 v131, v6, v139 offset:40
	ds_bpermute_b32 v132, v6, v140 offset:40
	s_waitcnt lgkmcnt(2)
	v_add_f64 v[147:148], v[229:230], -v[147:148]
	;; [unrolled: 35-line block ×3, first 2 shown]
	v_add_f64 v[3:4], v[3:4], v[149:150]
	v_mul_f64 v[147:148], v[215:216], v[147:148]
	s_waitcnt lgkmcnt(0)
	v_fma_f64 v[1:2], v[147:148], v[131:132], v[1:2]
	ds_bpermute_b32 v147, v6, v137 offset:56
	ds_bpermute_b32 v148, v6, v138 offset:56
	;; [unrolled: 1-line block ×4, first 2 shown]
	s_waitcnt lgkmcnt(2)
	v_add_f64 v[147:148], v[213:214], -v[147:148]
	v_mul_f64 v[147:148], v[203:204], v[147:148]
	s_waitcnt lgkmcnt(0)
	v_fma_f64 v[1:2], v[147:148], v[131:132], v[1:2]
	ds_bpermute_b32 v147, v6, v137 offset:60
	ds_bpermute_b32 v148, v6, v138 offset:60
	;; [unrolled: 1-line block ×4, first 2 shown]
	s_waitcnt lgkmcnt(2)
	v_add_f64 v[147:148], v[209:210], -v[147:148]
	v_mul_f64 v[147:148], v[207:208], v[147:148]
	s_waitcnt lgkmcnt(0)
	v_fma_f64 v[1:2], v[147:148], v[131:132], v[1:2]
	ds_bpermute_b32 v147, v6, v137 offset:64
	ds_bpermute_b32 v148, v6, v138 offset:64
	ds_bpermute_b32 v131, v6, v139 offset:64
	ds_bpermute_b32 v132, v6, v140 offset:64
	s_waitcnt vmcnt(0) lgkmcnt(2)
	v_add_f64 v[147:148], v[153:154], -v[147:148]
	buffer_load_dword v153, off, s[40:43], 0 offset:568 ; 4-byte Folded Reload
	buffer_load_dword v154, off, s[40:43], 0 offset:572 ; 4-byte Folded Reload
	v_mul_f64 v[147:148], v[195:196], v[147:148]
	s_waitcnt lgkmcnt(0)
	v_fma_f64 v[1:2], v[147:148], v[131:132], v[1:2]
	ds_bpermute_b32 v147, v6, v137 offset:68
	ds_bpermute_b32 v148, v6, v138 offset:68
	ds_bpermute_b32 v131, v6, v139 offset:68
	ds_bpermute_b32 v132, v6, v140 offset:68
	s_waitcnt vmcnt(0) lgkmcnt(2)
	v_add_f64 v[147:148], v[153:154], -v[147:148]
	buffer_load_dword v153, off, s[40:43], 0 offset:560 ; 4-byte Folded Reload
	buffer_load_dword v154, off, s[40:43], 0 offset:564 ; 4-byte Folded Reload
	;; [unrolled: 11-line block ×12, first 2 shown]
	v_mul_f64 v[147:148], v[159:160], v[147:148]
	s_waitcnt lgkmcnt(0)
	v_fma_f64 v[1:2], v[147:148], v[131:132], v[1:2]
	ds_bpermute_b32 v147, v6, v137 offset:112
	ds_bpermute_b32 v148, v6, v138 offset:112
	;; [unrolled: 1-line block ×4, first 2 shown]
	s_waitcnt vmcnt(0) lgkmcnt(2)
	v_add_f64 v[147:148], v[153:154], -v[147:148]
	v_mul_f64 v[147:148], v[149:150], v[147:148]
	buffer_load_dword v149, off, s[40:43], 0 offset:592 ; 4-byte Folded Reload
	buffer_load_dword v150, off, s[40:43], 0 offset:596 ; 4-byte Folded Reload
	s_waitcnt lgkmcnt(0)
	v_fma_f64 v[1:2], v[147:148], v[131:132], v[1:2]
	ds_bpermute_b32 v147, v6, v137 offset:116
	ds_bpermute_b32 v148, v6, v138 offset:116
	ds_bpermute_b32 v131, v6, v139 offset:116
	ds_bpermute_b32 v132, v6, v140 offset:116
	s_waitcnt vmcnt(0) lgkmcnt(2)
	v_add_f64 v[147:148], v[149:150], -v[147:148]
	buffer_load_dword v149, off, s[40:43], 0 offset:584 ; 4-byte Folded Reload
	buffer_load_dword v150, off, s[40:43], 0 offset:588 ; 4-byte Folded Reload
	v_mul_f64 v[147:148], v[151:152], v[147:148]
	s_waitcnt lgkmcnt(0)
	v_fma_f64 v[1:2], v[147:148], v[131:132], v[1:2]
	ds_bpermute_b32 v147, v6, v137 offset:120
	ds_bpermute_b32 v148, v6, v138 offset:120
	v_add_f64 v[131:132], v[3:4], v[151:152]
	ds_bpermute_b32 v3, v6, v139 offset:120
	ds_bpermute_b32 v4, v6, v140 offset:120
	s_waitcnt vmcnt(0) lgkmcnt(2)
	v_add_f64 v[147:148], v[149:150], -v[147:148]
	v_mul_f64 v[147:148], v[145:146], v[147:148]
	v_add_f64 v[145:146], v[131:132], v[145:146]
	ds_bpermute_b32 v131, v6, v139 offset:124
	ds_bpermute_b32 v132, v6, v140 offset:124
	s_waitcnt lgkmcnt(2)
	v_fma_f64 v[3:4], v[147:148], v[3:4], v[1:2]
	ds_bpermute_b32 v1, v6, v137 offset:124
	ds_bpermute_b32 v2, v6, v138 offset:124
.LBB38_221:                             ;   in Loop: Header=BB38_151 Depth=1
	s_and_b64 vcc, exec, s[0:1]
	s_cbranch_vccz .LBB38_150
; %bb.222:                              ;   in Loop: Header=BB38_151 Depth=1
	s_load_dword s0, s[2:3], 0x0
	s_waitcnt lgkmcnt(0)
	buffer_load_dword v1, off, s[40:43], 0 offset:616 ; 4-byte Folded Reload
	buffer_load_dword v2, off, s[40:43], 0 offset:620 ; 4-byte Folded Reload
	v_mov_b32_e32 v131, 0
	v_mov_b32_e32 v132, 0
	s_cmp_lt_u32 s6, s0
	s_cselect_b32 s0, 12, 18
	s_add_u32 s0, s2, s0
	s_addc_u32 s1, s3, 0
	s_waitcnt vmcnt(0)
	global_load_ushort v1, v2, s[0:1]
	s_nop 0
	buffer_load_dword v2, off, s[40:43], 0 offset:484 ; 4-byte Folded Reload
	buffer_load_dword v3, off, s[40:43], 0 offset:488 ; 4-byte Folded Reload
	;; [unrolled: 1-line block ×3, first 2 shown]
	s_waitcnt vmcnt(0)
	v_mad_u32_u24 v1, v2, v1, v3
	v_and_b32_e32 v3, 63, v1
	v_mov_b32_e32 v1, 0
	v_mov_b32_e32 v2, 0
	v_cmp_gt_u32_e32 vcc, 32, v3
	s_and_saveexec_b64 s[0:1], vcc
	s_cbranch_execz .LBB38_149
; %bb.223:                              ;   in Loop: Header=BB38_151 Depth=1
	v_add_co_u32_e32 v3, vcc, v135, v3
	v_addc_co_u32_e32 v4, vcc, 0, v136, vcc
	v_cmp_gt_i64_e32 vcc, s[12:13], v[3:4]
	v_mov_b32_e32 v1, 0
	v_mov_b32_e32 v131, 0
	v_mov_b32_e32 v2, 0
	v_mov_b32_e32 v132, 0
	s_and_saveexec_b64 s[26:27], vcc
	s_cbranch_execz .LBB38_148
; %bb.224:                              ;   in Loop: Header=BB38_151 Depth=1
	v_lshlrev_b64 v[1:2], 3, v[3:4]
	v_mov_b32_e32 v4, s23
	v_add_co_u32_e32 v3, vcc, s22, v1
	v_addc_co_u32_e32 v4, vcc, v4, v2, vcc
	v_mov_b32_e32 v131, s21
	v_add_co_u32_e32 v1, vcc, s20, v1
	v_addc_co_u32_e32 v2, vcc, v131, v2, vcc
	global_load_dwordx2 v[1:2], v[1:2], off
	s_nop 0
	global_load_dwordx2 v[131:132], v[3:4], off
	s_branch .LBB38_148
.LBB38_225:
	buffer_load_dword v0, off, s[40:43], 0 offset:44 ; 4-byte Folded Reload
	s_mov_b32 s7, 0
	s_lshl_b64 s[0:1], s[6:7], 5
	v_mov_b32_e32 v1, s1
	s_waitcnt vmcnt(0)
	v_or_b32_e32 v0, s0, v0
	v_cmp_gt_i64_e32 vcc, s[14:15], v[0:1]
	s_and_saveexec_b64 s[0:1], vcc
	s_cbranch_execz .LBB38_230
; %bb.226:
	s_load_dword s0, s[4:5], 0x4c
	buffer_load_dword v2, off, s[40:43], 0 offset:484 ; 4-byte Folded Reload
	buffer_load_dword v3, off, s[40:43], 0 offset:488 ; 4-byte Folded Reload
	v_mov_b32_e32 v4, 0
	v_lshlrev_b64 v[0:1], 3, v[0:1]
	s_waitcnt lgkmcnt(0)
	s_lshr_b32 s0, s0, 16
	s_waitcnt vmcnt(0)
	v_mov_b32_e32 v3, v2
	v_mov_b32_e32 v2, s8
	v_mad_u64_u32 v[2:3], s[0:1], s0, v2, v[3:4]
	s_load_dwordx4 s[0:3], s[4:5], 0x30
	v_mul_lo_u32 v3, v3, s14
	v_mul_lo_u32 v4, v2, s15
	s_waitcnt lgkmcnt(0)
	s_cmp_eq_u64 s[0:1], 0
	s_cbranch_scc1 .LBB38_228
; %bb.227:
	v_mad_u64_u32 v[5:6], s[4:5], v2, s14, 0
	v_mov_b32_e32 v7, s1
	v_add3_u32 v6, v6, v4, v3
	v_lshlrev_b64 v[5:6], 3, v[5:6]
	v_add_co_u32_e32 v5, vcc, s0, v5
	v_addc_co_u32_e32 v6, vcc, v7, v6, vcc
	buffer_load_dword v7, off, s[40:43], 0  ; 4-byte Folded Reload
	buffer_load_dword v8, off, s[40:43], 0 offset:4 ; 4-byte Folded Reload
	v_add_co_u32_e32 v5, vcc, v5, v0
	v_addc_co_u32_e32 v6, vcc, v6, v1, vcc
	s_waitcnt vmcnt(0)
	global_store_dwordx2 v[5:6], v[7:8], off
.LBB38_228:
	s_cmp_eq_u64 s[2:3], 0
	s_cbranch_scc1 .LBB38_230
; %bb.229:
	v_mad_u64_u32 v[5:6], s[0:1], v2, s14, 0
	v_mov_b32_e32 v7, s3
	v_add3_u32 v6, v6, v4, v3
	v_lshlrev_b64 v[2:3], 3, v[5:6]
	v_add_co_u32_e32 v2, vcc, s2, v2
	v_addc_co_u32_e32 v3, vcc, v7, v3, vcc
	v_add_co_u32_e32 v0, vcc, v2, v0
	v_addc_co_u32_e32 v1, vcc, v3, v1, vcc
	buffer_load_dword v2, off, s[40:43], 0 offset:8 ; 4-byte Folded Reload
	buffer_load_dword v3, off, s[40:43], 0 offset:12 ; 4-byte Folded Reload
	s_waitcnt vmcnt(0)
	global_store_dwordx2 v[0:1], v[2:3], off
.LBB38_230:
	s_endpgm
	.section	.rodata,"a",@progbits
	.p2align	6, 0x0
	.amdhsa_kernel _ZN2at6native12_GLOBAL__N_135GammaBetaBackwardCUDAKernelTemplateIddLj32ELj1ELj32ELb1ELb0ELb0EEEvllPKT_S5_PKT0_S8_PS3_S9_
		.amdhsa_group_segment_fixed_size 0
		.amdhsa_private_segment_fixed_size 628
		.amdhsa_kernarg_size 320
		.amdhsa_user_sgpr_count 6
		.amdhsa_user_sgpr_private_segment_buffer 1
		.amdhsa_user_sgpr_dispatch_ptr 0
		.amdhsa_user_sgpr_queue_ptr 0
		.amdhsa_user_sgpr_kernarg_segment_ptr 1
		.amdhsa_user_sgpr_dispatch_id 0
		.amdhsa_user_sgpr_flat_scratch_init 0
		.amdhsa_user_sgpr_private_segment_size 0
		.amdhsa_uses_dynamic_stack 0
		.amdhsa_system_sgpr_private_segment_wavefront_offset 1
		.amdhsa_system_sgpr_workgroup_id_x 1
		.amdhsa_system_sgpr_workgroup_id_y 1
		.amdhsa_system_sgpr_workgroup_id_z 0
		.amdhsa_system_sgpr_workgroup_info 0
		.amdhsa_system_vgpr_workitem_id 1
		.amdhsa_next_free_vgpr 256
		.amdhsa_next_free_sgpr 44
		.amdhsa_reserve_vcc 1
		.amdhsa_reserve_flat_scratch 0
		.amdhsa_float_round_mode_32 0
		.amdhsa_float_round_mode_16_64 0
		.amdhsa_float_denorm_mode_32 3
		.amdhsa_float_denorm_mode_16_64 3
		.amdhsa_dx10_clamp 1
		.amdhsa_ieee_mode 1
		.amdhsa_fp16_overflow 0
		.amdhsa_exception_fp_ieee_invalid_op 0
		.amdhsa_exception_fp_denorm_src 0
		.amdhsa_exception_fp_ieee_div_zero 0
		.amdhsa_exception_fp_ieee_overflow 0
		.amdhsa_exception_fp_ieee_underflow 0
		.amdhsa_exception_fp_ieee_inexact 0
		.amdhsa_exception_int_div_zero 0
	.end_amdhsa_kernel
	.section	.text._ZN2at6native12_GLOBAL__N_135GammaBetaBackwardCUDAKernelTemplateIddLj32ELj1ELj32ELb1ELb0ELb0EEEvllPKT_S5_PKT0_S8_PS3_S9_,"axG",@progbits,_ZN2at6native12_GLOBAL__N_135GammaBetaBackwardCUDAKernelTemplateIddLj32ELj1ELj32ELb1ELb0ELb0EEEvllPKT_S5_PKT0_S8_PS3_S9_,comdat
.Lfunc_end38:
	.size	_ZN2at6native12_GLOBAL__N_135GammaBetaBackwardCUDAKernelTemplateIddLj32ELj1ELj32ELb1ELb0ELb0EEEvllPKT_S5_PKT0_S8_PS3_S9_, .Lfunc_end38-_ZN2at6native12_GLOBAL__N_135GammaBetaBackwardCUDAKernelTemplateIddLj32ELj1ELj32ELb1ELb0ELb0EEEvllPKT_S5_PKT0_S8_PS3_S9_
                                        ; -- End function
	.set _ZN2at6native12_GLOBAL__N_135GammaBetaBackwardCUDAKernelTemplateIddLj32ELj1ELj32ELb1ELb0ELb0EEEvllPKT_S5_PKT0_S8_PS3_S9_.num_vgpr, 256
	.set _ZN2at6native12_GLOBAL__N_135GammaBetaBackwardCUDAKernelTemplateIddLj32ELj1ELj32ELb1ELb0ELb0EEEvllPKT_S5_PKT0_S8_PS3_S9_.num_agpr, 0
	.set _ZN2at6native12_GLOBAL__N_135GammaBetaBackwardCUDAKernelTemplateIddLj32ELj1ELj32ELb1ELb0ELb0EEEvllPKT_S5_PKT0_S8_PS3_S9_.numbered_sgpr, 44
	.set _ZN2at6native12_GLOBAL__N_135GammaBetaBackwardCUDAKernelTemplateIddLj32ELj1ELj32ELb1ELb0ELb0EEEvllPKT_S5_PKT0_S8_PS3_S9_.num_named_barrier, 0
	.set _ZN2at6native12_GLOBAL__N_135GammaBetaBackwardCUDAKernelTemplateIddLj32ELj1ELj32ELb1ELb0ELb0EEEvllPKT_S5_PKT0_S8_PS3_S9_.private_seg_size, 628
	.set _ZN2at6native12_GLOBAL__N_135GammaBetaBackwardCUDAKernelTemplateIddLj32ELj1ELj32ELb1ELb0ELb0EEEvllPKT_S5_PKT0_S8_PS3_S9_.uses_vcc, 1
	.set _ZN2at6native12_GLOBAL__N_135GammaBetaBackwardCUDAKernelTemplateIddLj32ELj1ELj32ELb1ELb0ELb0EEEvllPKT_S5_PKT0_S8_PS3_S9_.uses_flat_scratch, 0
	.set _ZN2at6native12_GLOBAL__N_135GammaBetaBackwardCUDAKernelTemplateIddLj32ELj1ELj32ELb1ELb0ELb0EEEvllPKT_S5_PKT0_S8_PS3_S9_.has_dyn_sized_stack, 0
	.set _ZN2at6native12_GLOBAL__N_135GammaBetaBackwardCUDAKernelTemplateIddLj32ELj1ELj32ELb1ELb0ELb0EEEvllPKT_S5_PKT0_S8_PS3_S9_.has_recursion, 0
	.set _ZN2at6native12_GLOBAL__N_135GammaBetaBackwardCUDAKernelTemplateIddLj32ELj1ELj32ELb1ELb0ELb0EEEvllPKT_S5_PKT0_S8_PS3_S9_.has_indirect_call, 0
	.section	.AMDGPU.csdata,"",@progbits
; Kernel info:
; codeLenInByte = 32860
; TotalNumSgprs: 48
; NumVgprs: 256
; ScratchSize: 628
; MemoryBound: 0
; FloatMode: 240
; IeeeMode: 1
; LDSByteSize: 0 bytes/workgroup (compile time only)
; SGPRBlocks: 5
; VGPRBlocks: 63
; NumSGPRsForWavesPerEU: 48
; NumVGPRsForWavesPerEU: 256
; Occupancy: 1
; WaveLimiterHint : 0
; COMPUTE_PGM_RSRC2:SCRATCH_EN: 1
; COMPUTE_PGM_RSRC2:USER_SGPR: 6
; COMPUTE_PGM_RSRC2:TRAP_HANDLER: 0
; COMPUTE_PGM_RSRC2:TGID_X_EN: 1
; COMPUTE_PGM_RSRC2:TGID_Y_EN: 1
; COMPUTE_PGM_RSRC2:TGID_Z_EN: 0
; COMPUTE_PGM_RSRC2:TIDIG_COMP_CNT: 1
	.section	.text._ZN2at6native12_GLOBAL__N_135GammaBetaBackwardCUDAKernelTemplateIddLj32ELj1ELj8ELb1ELb1ELb0EEEvllPKT_S5_PKT0_S8_PS3_S9_,"axG",@progbits,_ZN2at6native12_GLOBAL__N_135GammaBetaBackwardCUDAKernelTemplateIddLj32ELj1ELj8ELb1ELb1ELb0EEEvllPKT_S5_PKT0_S8_PS3_S9_,comdat
	.globl	_ZN2at6native12_GLOBAL__N_135GammaBetaBackwardCUDAKernelTemplateIddLj32ELj1ELj8ELb1ELb1ELb0EEEvllPKT_S5_PKT0_S8_PS3_S9_ ; -- Begin function _ZN2at6native12_GLOBAL__N_135GammaBetaBackwardCUDAKernelTemplateIddLj32ELj1ELj8ELb1ELb1ELb0EEEvllPKT_S5_PKT0_S8_PS3_S9_
	.p2align	8
	.type	_ZN2at6native12_GLOBAL__N_135GammaBetaBackwardCUDAKernelTemplateIddLj32ELj1ELj8ELb1ELb1ELb0EEEvllPKT_S5_PKT0_S8_PS3_S9_,@function
_ZN2at6native12_GLOBAL__N_135GammaBetaBackwardCUDAKernelTemplateIddLj32ELj1ELj8ELb1ELb1ELb0EEEvllPKT_S5_PKT0_S8_PS3_S9_: ; @_ZN2at6native12_GLOBAL__N_135GammaBetaBackwardCUDAKernelTemplateIddLj32ELj1ELj8ELb1ELb1ELb0EEEvllPKT_S5_PKT0_S8_PS3_S9_
; %bb.0:
	s_load_dwordx4 s[16:19], s[4:5], 0x0
	s_lshl_b32 s24, s7, 3
	s_mov_b32 s25, 0
	v_mov_b32_e32 v2, s24
	v_mov_b32_e32 v3, s25
	s_waitcnt lgkmcnt(0)
	v_cmp_gt_i64_e32 vcc, s[16:17], v[2:3]
	s_mov_b32 s2, s7
	s_cbranch_vccnz .LBB39_2
; %bb.1:
	s_add_u32 s26, s4, 64
	s_addc_u32 s27, s5, 0
	s_mov_b64 s[0:1], 0
	s_branch .LBB39_3
.LBB39_2:
	s_mov_b64 s[0:1], -1
                                        ; implicit-def: $sgpr26_sgpr27
.LBB39_3:
	s_load_dwordx4 s[20:23], s[4:5], 0x30
	v_mov_b32_e32 v6, 0
	v_mov_b32_e32 v12, 0
	;; [unrolled: 1-line block ×3, first 2 shown]
	s_andn2_b64 vcc, exec, s[0:1]
	v_mov_b32_e32 v13, 0
	s_cbranch_vccnz .LBB39_10
; %bb.4:
	v_mbcnt_lo_u32_b32 v4, -1, 0
	v_lshlrev_b32_e32 v3, 3, v1
	v_mbcnt_hi_u32_b32 v4, -1, v4
	s_add_u32 s26, s4, 64
	v_lshlrev_b32_e32 v4, 2, v4
	v_add_co_u32_e32 v3, vcc, s24, v3
	s_load_dword s0, s[4:5], 0x4c
	s_load_dword s3, s[4:5], 0x44
	s_load_dwordx8 s[8:15], s[4:5], 0x10
	s_addc_u32 s27, s5, 0
	v_and_b32_e32 v14, 0x100, v4
	v_addc_co_u32_e64 v4, s[4:5], 0, 0, vcc
	v_mul_lo_u32 v10, s19, v3
	v_mul_lo_u32 v11, s18, v4
	v_mad_u64_u32 v[8:9], s[4:5], s18, v3, 0
	s_waitcnt lgkmcnt(0)
	s_and_b32 s0, s0, 0xffff
	v_mad_u32_u24 v2, v1, s0, v0
	v_and_b32_e32 v2, 63, v2
	v_mov_b32_e32 v7, 0
	v_lshl_or_b32 v6, s6, 5, v0
	v_add3_u32 v9, v9, v11, v10
	v_cmp_gt_u32_e64 s[0:1], 8, v2
	v_add_co_u32_e32 v2, vcc, v3, v2
	v_lshlrev_b64 v[8:9], 3, v[8:9]
	v_lshlrev_b64 v[6:7], 3, v[6:7]
	s_lshl_b32 s28, s3, 3
	v_addc_co_u32_e32 v3, vcc, 0, v4, vcc
	v_add_co_u32_e32 v21, vcc, v8, v6
	s_mul_i32 s3, s19, s28
	s_mul_hi_u32 s4, s18, s28
	s_mov_b32 s29, 0
	v_lshlrev_b64 v[4:5], 3, v[2:3]
	v_addc_co_u32_e32 v22, vcc, v9, v7, vcc
	s_add_i32 s5, s4, s3
	s_mul_i32 s4, s18, s28
	v_mov_b32_e32 v12, 0
	v_mov_b32_e32 v6, 0
	v_or_b32_e32 v15, 4, v14
	v_or_b32_e32 v16, 8, v14
	;; [unrolled: 1-line block ×6, first 2 shown]
	s_lshl_b64 s[30:31], s[28:29], 3
	s_lshl_b64 s[34:35], s[4:5], 3
	s_lshl_b64 s[36:37], s[18:19], 3
	v_mov_b32_e32 v13, 0
	v_mov_b32_e32 v7, 0
	v_or_b32_e32 v23, 28, v14
	s_branch .LBB39_7
.LBB39_5:                               ;   in Loop: Header=BB39_7 Depth=1
	s_or_b64 exec, exec, s[38:39]
.LBB39_6:                               ;   in Loop: Header=BB39_7 Depth=1
	s_or_b64 exec, exec, s[4:5]
	v_mov_b32_e32 v25, s11
	v_add_co_u32_e32 v24, vcc, s10, v21
	v_addc_co_u32_e32 v25, vcc, v25, v22, vcc
	global_load_dwordx2 v[26:27], v[24:25], off
	v_mov_b32_e32 v29, s9
	v_add_co_u32_e32 v28, vcc, s8, v21
	v_addc_co_u32_e32 v29, vcc, v29, v22, vcc
	global_load_dwordx2 v[30:31], v[28:29], off
	v_mov_b32_e32 v45, s37
	v_add_co_u32_e32 v24, vcc, s36, v24
	v_addc_co_u32_e32 v25, vcc, v25, v45, vcc
	global_load_dwordx2 v[32:33], v[24:25], off
	v_add_co_u32_e32 v28, vcc, s36, v28
	v_addc_co_u32_e32 v29, vcc, v29, v45, vcc
	v_add_co_u32_e32 v24, vcc, s36, v24
	v_addc_co_u32_e32 v25, vcc, v25, v45, vcc
	global_load_dwordx2 v[34:35], v[24:25], off
	global_load_dwordx2 v[36:37], v[28:29], off
	s_waitcnt vmcnt(6)
	ds_bpermute_b32 v40, v14, v10
	ds_bpermute_b32 v41, v14, v11
	v_add_co_u32_e32 v28, vcc, s36, v28
	v_addc_co_u32_e32 v29, vcc, v29, v45, vcc
	global_load_dwordx2 v[38:39], v[28:29], off
	v_add_co_u32_e32 v24, vcc, s36, v24
	v_addc_co_u32_e32 v25, vcc, v25, v45, vcc
	v_add_co_u32_e32 v42, vcc, s36, v24
	v_addc_co_u32_e32 v43, vcc, v25, v45, vcc
	global_load_dwordx2 v[24:25], v[24:25], off
	v_add_co_u32_e32 v28, vcc, s36, v28
	v_addc_co_u32_e32 v29, vcc, v29, v45, vcc
	s_add_u32 s24, s24, s28
	s_addc_u32 s25, s25, 0
	v_add_co_u32_e64 v21, s[4:5], s34, v21
	s_waitcnt vmcnt(6) lgkmcnt(0)
	v_add_f64 v[26:27], v[26:27], -v[40:41]
	ds_bpermute_b32 v40, v14, v8
	ds_bpermute_b32 v41, v14, v9
	s_waitcnt vmcnt(5)
	v_add_f64 v[6:7], v[6:7], v[30:31]
	v_mul_f64 v[26:27], v[30:31], v[26:27]
	s_waitcnt lgkmcnt(0)
	v_fma_f64 v[12:13], v[26:27], v[40:41], v[12:13]
	global_load_dwordx2 v[26:27], v[42:43], off
	ds_bpermute_b32 v40, v15, v10
	ds_bpermute_b32 v41, v15, v11
	s_waitcnt vmcnt(3)
	v_add_f64 v[6:7], v[6:7], v[36:37]
	s_waitcnt lgkmcnt(0)
	v_add_f64 v[32:33], v[32:33], -v[40:41]
	ds_bpermute_b32 v40, v16, v10
	ds_bpermute_b32 v41, v16, v11
	s_waitcnt vmcnt(2)
	v_add_f64 v[6:7], v[6:7], v[38:39]
	s_waitcnt lgkmcnt(0)
	v_add_f64 v[34:35], v[34:35], -v[40:41]
	v_mul_f64 v[32:33], v[36:37], v[32:33]
	ds_bpermute_b32 v40, v15, v8
	ds_bpermute_b32 v41, v15, v9
	v_mul_f64 v[34:35], v[38:39], v[34:35]
	s_waitcnt lgkmcnt(0)
	v_fma_f64 v[12:13], v[32:33], v[40:41], v[12:13]
	ds_bpermute_b32 v32, v16, v8
	ds_bpermute_b32 v33, v16, v9
	;; [unrolled: 1-line block ×6, first 2 shown]
	s_waitcnt lgkmcnt(4)
	v_fma_f64 v[12:13], v[34:35], v[32:33], v[12:13]
	v_add_co_u32_e32 v34, vcc, s36, v42
	v_addc_co_u32_e32 v35, vcc, v43, v45, vcc
	v_add_co_u32_e32 v42, vcc, s36, v28
	ds_bpermute_b32 v32, v18, v10
	ds_bpermute_b32 v33, v18, v11
	v_addc_co_u32_e32 v43, vcc, v29, v45, vcc
	v_add_co_u32_e32 v30, vcc, s36, v42
	v_addc_co_u32_e32 v31, vcc, v43, v45, vcc
	s_waitcnt vmcnt(1) lgkmcnt(4)
	v_add_f64 v[24:25], v[24:25], -v[40:41]
	v_add_co_u32_e32 v40, vcc, s36, v34
	v_addc_co_u32_e32 v41, vcc, v35, v45, vcc
	s_waitcnt vmcnt(0) lgkmcnt(0)
	v_add_f64 v[26:27], v[26:27], -v[32:33]
	v_add_co_u32_e32 v32, vcc, s36, v30
	v_addc_co_u32_e32 v33, vcc, v31, v45, vcc
	v_add_co_u32_e32 v36, vcc, s36, v40
	v_addc_co_u32_e32 v37, vcc, v41, v45, vcc
	v_add_co_u32_e32 v44, vcc, s36, v32
	v_addc_co_u32_e32 v45, vcc, v33, v45, vcc
	global_load_dwordx2 v[28:29], v[28:29], off
	s_nop 0
	global_load_dwordx2 v[34:35], v[34:35], off
	s_nop 0
	;; [unrolled: 2-line block ×7, first 2 shown]
	global_load_dwordx2 v[44:45], v[44:45], off
	v_add_co_u32_e32 v4, vcc, s30, v4
	s_waitcnt vmcnt(7)
	v_mul_f64 v[24:25], v[28:29], v[24:25]
	s_waitcnt vmcnt(6)
	v_add_f64 v[34:35], v[34:35], -v[38:39]
	ds_bpermute_b32 v38, v17, v8
	ds_bpermute_b32 v39, v17, v9
	v_add_f64 v[6:7], v[6:7], v[28:29]
	s_waitcnt vmcnt(5)
	v_mul_f64 v[26:27], v[42:43], v[26:27]
	ds_bpermute_b32 v28, v20, v10
	ds_bpermute_b32 v29, v20, v11
	s_waitcnt lgkmcnt(2)
	v_fma_f64 v[12:13], v[24:25], v[38:39], v[12:13]
	ds_bpermute_b32 v24, v18, v8
	ds_bpermute_b32 v25, v18, v9
	s_waitcnt vmcnt(3)
	v_mul_f64 v[34:35], v[30:31], v[34:35]
	s_waitcnt lgkmcnt(2)
	v_add_f64 v[28:29], v[40:41], -v[28:29]
	v_add_f64 v[6:7], v[6:7], v[42:43]
	ds_bpermute_b32 v10, v23, v10
	ds_bpermute_b32 v11, v23, v11
	s_waitcnt lgkmcnt(2)
	v_fma_f64 v[12:13], v[26:27], v[24:25], v[12:13]
	ds_bpermute_b32 v24, v19, v8
	ds_bpermute_b32 v25, v19, v9
	s_waitcnt vmcnt(2) lgkmcnt(2)
	v_add_f64 v[10:11], v[36:37], -v[10:11]
	s_waitcnt vmcnt(1)
	v_mul_f64 v[26:27], v[32:33], v[28:29]
	v_add_f64 v[6:7], v[6:7], v[30:31]
	v_mov_b32_e32 v28, s31
	s_waitcnt lgkmcnt(0)
	v_fma_f64 v[12:13], v[34:35], v[24:25], v[12:13]
	ds_bpermute_b32 v24, v20, v8
	ds_bpermute_b32 v25, v20, v9
	ds_bpermute_b32 v8, v23, v8
	s_waitcnt vmcnt(0)
	v_mul_f64 v[10:11], v[44:45], v[10:11]
	ds_bpermute_b32 v9, v23, v9
	v_add_f64 v[6:7], v[6:7], v[32:33]
	v_addc_co_u32_e32 v5, vcc, v5, v28, vcc
	s_waitcnt lgkmcnt(2)
	v_fma_f64 v[12:13], v[26:27], v[24:25], v[12:13]
	v_add_co_u32_e32 v2, vcc, s28, v2
	v_addc_co_u32_e32 v3, vcc, 0, v3, vcc
	v_add_f64 v[6:7], v[6:7], v[44:45]
	s_waitcnt lgkmcnt(0)
	v_fma_f64 v[12:13], v[10:11], v[8:9], v[12:13]
	v_mov_b32_e32 v8, s16
	v_mov_b32_e32 v9, s17
	v_cmp_lt_i64_e32 vcc, s[24:25], v[8:9]
	v_mov_b32_e32 v10, s35
	v_addc_co_u32_e64 v22, s[4:5], v22, v10, s[4:5]
	s_cbranch_vccz .LBB39_10
.LBB39_7:                               ; =>This Inner Loop Header: Depth=1
	v_mov_b32_e32 v8, 0
	v_mov_b32_e32 v10, 0
	;; [unrolled: 1-line block ×4, first 2 shown]
	s_and_saveexec_b64 s[4:5], s[0:1]
	s_cbranch_execz .LBB39_6
; %bb.8:                                ;   in Loop: Header=BB39_7 Depth=1
	v_cmp_gt_i64_e32 vcc, s[16:17], v[2:3]
	v_mov_b32_e32 v10, 0
	v_mov_b32_e32 v8, 0
	;; [unrolled: 1-line block ×4, first 2 shown]
	s_and_saveexec_b64 s[38:39], vcc
	s_cbranch_execz .LBB39_5
; %bb.9:                                ;   in Loop: Header=BB39_7 Depth=1
	v_mov_b32_e32 v8, s15
	v_add_co_u32_e32 v24, vcc, s14, v4
	v_addc_co_u32_e32 v25, vcc, v8, v5, vcc
	v_mov_b32_e32 v8, s13
	v_add_co_u32_e32 v26, vcc, s12, v4
	v_addc_co_u32_e32 v27, vcc, v8, v5, vcc
	global_load_dwordx2 v[10:11], v[26:27], off
	global_load_dwordx2 v[8:9], v[24:25], off
	s_branch .LBB39_5
.LBB39_10:
	s_load_dword s0, s[26:27], 0xc
	v_mov_b32_e32 v2, 0
	v_mov_b32_e32 v3, s2
	s_mov_b32 s7, 0
	s_waitcnt lgkmcnt(0)
	s_lshr_b32 s0, s0, 16
	v_mad_u64_u32 v[2:3], s[0:1], s0, v3, v[1:2]
	s_lshl_b64 s[0:1], s[6:7], 5
	v_or_b32_e32 v0, s0, v0
	v_mul_lo_u32 v3, v3, s18
	v_mul_lo_u32 v4, v2, s19
	v_mov_b32_e32 v1, s1
	v_lshlrev_b64 v[0:1], 3, v[0:1]
	s_cmp_eq_u64 s[20:21], 0
	s_cbranch_scc1 .LBB39_12
; %bb.11:
	v_mad_u64_u32 v[8:9], s[0:1], v2, s18, 0
	v_mov_b32_e32 v5, s21
	v_add3_u32 v9, v9, v4, v3
	v_lshlrev_b64 v[8:9], 3, v[8:9]
	v_add_co_u32_e32 v8, vcc, s20, v8
	v_addc_co_u32_e32 v5, vcc, v5, v9, vcc
	v_add_co_u32_e32 v8, vcc, v8, v0
	v_addc_co_u32_e32 v9, vcc, v5, v1, vcc
	global_store_dwordx2 v[8:9], v[12:13], off
.LBB39_12:
	s_cmp_eq_u64 s[22:23], 0
	s_cbranch_scc1 .LBB39_14
; %bb.13:
	v_mad_u64_u32 v[8:9], s[0:1], v2, s18, 0
	v_mov_b32_e32 v5, s23
	v_add3_u32 v9, v9, v4, v3
	v_lshlrev_b64 v[2:3], 3, v[8:9]
	v_add_co_u32_e32 v2, vcc, s22, v2
	v_addc_co_u32_e32 v3, vcc, v5, v3, vcc
	v_add_co_u32_e32 v0, vcc, v2, v0
	v_addc_co_u32_e32 v1, vcc, v3, v1, vcc
	global_store_dwordx2 v[0:1], v[6:7], off
.LBB39_14:
	s_endpgm
	.section	.rodata,"a",@progbits
	.p2align	6, 0x0
	.amdhsa_kernel _ZN2at6native12_GLOBAL__N_135GammaBetaBackwardCUDAKernelTemplateIddLj32ELj1ELj8ELb1ELb1ELb0EEEvllPKT_S5_PKT0_S8_PS3_S9_
		.amdhsa_group_segment_fixed_size 0
		.amdhsa_private_segment_fixed_size 0
		.amdhsa_kernarg_size 320
		.amdhsa_user_sgpr_count 6
		.amdhsa_user_sgpr_private_segment_buffer 1
		.amdhsa_user_sgpr_dispatch_ptr 0
		.amdhsa_user_sgpr_queue_ptr 0
		.amdhsa_user_sgpr_kernarg_segment_ptr 1
		.amdhsa_user_sgpr_dispatch_id 0
		.amdhsa_user_sgpr_flat_scratch_init 0
		.amdhsa_user_sgpr_private_segment_size 0
		.amdhsa_uses_dynamic_stack 0
		.amdhsa_system_sgpr_private_segment_wavefront_offset 0
		.amdhsa_system_sgpr_workgroup_id_x 1
		.amdhsa_system_sgpr_workgroup_id_y 1
		.amdhsa_system_sgpr_workgroup_id_z 0
		.amdhsa_system_sgpr_workgroup_info 0
		.amdhsa_system_vgpr_workitem_id 1
		.amdhsa_next_free_vgpr 46
		.amdhsa_next_free_sgpr 40
		.amdhsa_reserve_vcc 1
		.amdhsa_reserve_flat_scratch 0
		.amdhsa_float_round_mode_32 0
		.amdhsa_float_round_mode_16_64 0
		.amdhsa_float_denorm_mode_32 3
		.amdhsa_float_denorm_mode_16_64 3
		.amdhsa_dx10_clamp 1
		.amdhsa_ieee_mode 1
		.amdhsa_fp16_overflow 0
		.amdhsa_exception_fp_ieee_invalid_op 0
		.amdhsa_exception_fp_denorm_src 0
		.amdhsa_exception_fp_ieee_div_zero 0
		.amdhsa_exception_fp_ieee_overflow 0
		.amdhsa_exception_fp_ieee_underflow 0
		.amdhsa_exception_fp_ieee_inexact 0
		.amdhsa_exception_int_div_zero 0
	.end_amdhsa_kernel
	.section	.text._ZN2at6native12_GLOBAL__N_135GammaBetaBackwardCUDAKernelTemplateIddLj32ELj1ELj8ELb1ELb1ELb0EEEvllPKT_S5_PKT0_S8_PS3_S9_,"axG",@progbits,_ZN2at6native12_GLOBAL__N_135GammaBetaBackwardCUDAKernelTemplateIddLj32ELj1ELj8ELb1ELb1ELb0EEEvllPKT_S5_PKT0_S8_PS3_S9_,comdat
.Lfunc_end39:
	.size	_ZN2at6native12_GLOBAL__N_135GammaBetaBackwardCUDAKernelTemplateIddLj32ELj1ELj8ELb1ELb1ELb0EEEvllPKT_S5_PKT0_S8_PS3_S9_, .Lfunc_end39-_ZN2at6native12_GLOBAL__N_135GammaBetaBackwardCUDAKernelTemplateIddLj32ELj1ELj8ELb1ELb1ELb0EEEvllPKT_S5_PKT0_S8_PS3_S9_
                                        ; -- End function
	.set _ZN2at6native12_GLOBAL__N_135GammaBetaBackwardCUDAKernelTemplateIddLj32ELj1ELj8ELb1ELb1ELb0EEEvllPKT_S5_PKT0_S8_PS3_S9_.num_vgpr, 46
	.set _ZN2at6native12_GLOBAL__N_135GammaBetaBackwardCUDAKernelTemplateIddLj32ELj1ELj8ELb1ELb1ELb0EEEvllPKT_S5_PKT0_S8_PS3_S9_.num_agpr, 0
	.set _ZN2at6native12_GLOBAL__N_135GammaBetaBackwardCUDAKernelTemplateIddLj32ELj1ELj8ELb1ELb1ELb0EEEvllPKT_S5_PKT0_S8_PS3_S9_.numbered_sgpr, 40
	.set _ZN2at6native12_GLOBAL__N_135GammaBetaBackwardCUDAKernelTemplateIddLj32ELj1ELj8ELb1ELb1ELb0EEEvllPKT_S5_PKT0_S8_PS3_S9_.num_named_barrier, 0
	.set _ZN2at6native12_GLOBAL__N_135GammaBetaBackwardCUDAKernelTemplateIddLj32ELj1ELj8ELb1ELb1ELb0EEEvllPKT_S5_PKT0_S8_PS3_S9_.private_seg_size, 0
	.set _ZN2at6native12_GLOBAL__N_135GammaBetaBackwardCUDAKernelTemplateIddLj32ELj1ELj8ELb1ELb1ELb0EEEvllPKT_S5_PKT0_S8_PS3_S9_.uses_vcc, 1
	.set _ZN2at6native12_GLOBAL__N_135GammaBetaBackwardCUDAKernelTemplateIddLj32ELj1ELj8ELb1ELb1ELb0EEEvllPKT_S5_PKT0_S8_PS3_S9_.uses_flat_scratch, 0
	.set _ZN2at6native12_GLOBAL__N_135GammaBetaBackwardCUDAKernelTemplateIddLj32ELj1ELj8ELb1ELb1ELb0EEEvllPKT_S5_PKT0_S8_PS3_S9_.has_dyn_sized_stack, 0
	.set _ZN2at6native12_GLOBAL__N_135GammaBetaBackwardCUDAKernelTemplateIddLj32ELj1ELj8ELb1ELb1ELb0EEEvllPKT_S5_PKT0_S8_PS3_S9_.has_recursion, 0
	.set _ZN2at6native12_GLOBAL__N_135GammaBetaBackwardCUDAKernelTemplateIddLj32ELj1ELj8ELb1ELb1ELb0EEEvllPKT_S5_PKT0_S8_PS3_S9_.has_indirect_call, 0
	.section	.AMDGPU.csdata,"",@progbits
; Kernel info:
; codeLenInByte = 1640
; TotalNumSgprs: 44
; NumVgprs: 46
; ScratchSize: 0
; MemoryBound: 0
; FloatMode: 240
; IeeeMode: 1
; LDSByteSize: 0 bytes/workgroup (compile time only)
; SGPRBlocks: 5
; VGPRBlocks: 11
; NumSGPRsForWavesPerEU: 44
; NumVGPRsForWavesPerEU: 46
; Occupancy: 5
; WaveLimiterHint : 0
; COMPUTE_PGM_RSRC2:SCRATCH_EN: 0
; COMPUTE_PGM_RSRC2:USER_SGPR: 6
; COMPUTE_PGM_RSRC2:TRAP_HANDLER: 0
; COMPUTE_PGM_RSRC2:TGID_X_EN: 1
; COMPUTE_PGM_RSRC2:TGID_Y_EN: 1
; COMPUTE_PGM_RSRC2:TGID_Z_EN: 0
; COMPUTE_PGM_RSRC2:TIDIG_COMP_CNT: 1
	.section	.text._ZN2at6native12_GLOBAL__N_135GammaBetaBackwardCUDAKernelTemplateIddLj32ELj1ELj8ELb1ELb0ELb0EEEvllPKT_S5_PKT0_S8_PS3_S9_,"axG",@progbits,_ZN2at6native12_GLOBAL__N_135GammaBetaBackwardCUDAKernelTemplateIddLj32ELj1ELj8ELb1ELb0ELb0EEEvllPKT_S5_PKT0_S8_PS3_S9_,comdat
	.globl	_ZN2at6native12_GLOBAL__N_135GammaBetaBackwardCUDAKernelTemplateIddLj32ELj1ELj8ELb1ELb0ELb0EEEvllPKT_S5_PKT0_S8_PS3_S9_ ; -- Begin function _ZN2at6native12_GLOBAL__N_135GammaBetaBackwardCUDAKernelTemplateIddLj32ELj1ELj8ELb1ELb0ELb0EEEvllPKT_S5_PKT0_S8_PS3_S9_
	.p2align	8
	.type	_ZN2at6native12_GLOBAL__N_135GammaBetaBackwardCUDAKernelTemplateIddLj32ELj1ELj8ELb1ELb0ELb0EEEvllPKT_S5_PKT0_S8_PS3_S9_,@function
_ZN2at6native12_GLOBAL__N_135GammaBetaBackwardCUDAKernelTemplateIddLj32ELj1ELj8ELb1ELb0ELb0EEEvllPKT_S5_PKT0_S8_PS3_S9_: ; @_ZN2at6native12_GLOBAL__N_135GammaBetaBackwardCUDAKernelTemplateIddLj32ELj1ELj8ELb1ELb0ELb0EEEvllPKT_S5_PKT0_S8_PS3_S9_
; %bb.0:
	s_load_dwordx8 s[12:19], s[4:5], 0x0
	s_load_dwordx4 s[20:23], s[4:5], 0x20
	s_mov_b32 s8, s7
	s_lshl_b32 s7, s6, 5
	s_or_b32 s0, s7, 31
	v_mov_b32_e32 v2, s0
	v_mov_b32_e32 v3, 0
	s_lshl_b32 s24, s8, 3
	s_mov_b32 s25, 0
	s_waitcnt lgkmcnt(0)
	v_cmp_le_i64_e32 vcc, s[14:15], v[2:3]
	v_mov_b32_e32 v2, s24
	v_mov_b32_e32 v3, s25
	v_cmp_gt_i64_e64 s[0:1], s[12:13], v[2:3]
	v_cndmask_b32_e64 v2, 0, 1, s[0:1]
	v_cmp_ne_u32_e64 s[0:1], 1, v2
	s_cbranch_vccz .LBB40_48
; %bb.1:
	v_mov_b32_e32 v21, 0
	v_mov_b32_e32 v19, 0
	;; [unrolled: 1-line block ×3, first 2 shown]
	s_and_b64 vcc, exec, s[0:1]
	v_mov_b32_e32 v20, 0
	s_cbranch_vccnz .LBB40_49
; %bb.2:
	v_lshlrev_b32_e32 v47, 3, v1
	v_add_co_u32_e32 v9, vcc, s24, v47
	v_addc_co_u32_e64 v10, s[2:3], 0, 0, vcc
	v_mul_lo_u32 v7, s15, v9
	v_mul_lo_u32 v8, s14, v10
	v_mad_u64_u32 v[5:6], s[2:3], s14, v9, 0
	v_mov_b32_e32 v2, 0
	s_load_dword s9, s[4:5], 0x44
	v_add_u32_e32 v3, s7, v0
	v_mov_b32_e32 v4, v2
	v_add3_u32 v6, v6, v8, v7
	v_cmp_gt_i64_e64 s[2:3], s[14:15], v[3:4]
	v_lshlrev_b64 v[23:24], 3, v[3:4]
	v_lshlrev_b64 v[3:4], 3, v[5:6]
	s_add_u32 s26, s4, 64
	v_mov_b32_e32 v7, s17
	v_add_co_u32_e32 v49, vcc, s16, v3
	s_addc_u32 s27, s5, 0
	s_waitcnt lgkmcnt(0)
	s_lshl_b32 s9, s9, 3
	v_addc_co_u32_e32 v50, vcc, v7, v4, vcc
	s_mul_i32 s10, s15, s9
	s_mul_hi_u32 s11, s14, s9
	v_add_co_u32_e32 v7, vcc, 7, v9
	s_add_i32 s11, s11, s10
	s_mul_i32 s10, s14, s9
	v_addc_co_u32_e32 v8, vcc, 0, v10, vcc
	s_lshl_b64 s[28:29], s[10:11], 3
	v_mul_lo_u32 v12, s15, v7
	v_mul_lo_u32 v13, s14, v8
	v_mad_u64_u32 v[7:8], s[10:11], s14, v7, 0
	v_mov_b32_e32 v11, s19
	v_add_co_u32_e32 v51, vcc, s18, v3
	v_add3_u32 v8, v8, v13, v12
	v_addc_co_u32_e32 v52, vcc, v11, v4, vcc
	v_lshlrev_b64 v[3:4], 3, v[7:8]
	v_mov_b32_e32 v7, s17
	v_add_co_u32_e32 v53, vcc, s16, v3
	v_addc_co_u32_e32 v54, vcc, v7, v4, vcc
	v_add_co_u32_e32 v7, vcc, 6, v9
	v_addc_co_u32_e32 v8, vcc, 0, v10, vcc
	v_mul_lo_u32 v12, s15, v7
	v_mul_lo_u32 v13, s14, v8
	v_mad_u64_u32 v[7:8], s[10:11], s14, v7, 0
	v_add_co_u32_e32 v55, vcc, s18, v3
	v_add3_u32 v8, v8, v13, v12
	v_addc_co_u32_e32 v56, vcc, v11, v4, vcc
	v_lshlrev_b64 v[3:4], 3, v[7:8]
	v_mov_b32_e32 v7, s17
	v_add_co_u32_e32 v57, vcc, s16, v3
	v_addc_co_u32_e32 v58, vcc, v7, v4, vcc
	v_add_co_u32_e32 v7, vcc, 5, v9
	v_addc_co_u32_e32 v8, vcc, 0, v10, vcc
	v_mul_lo_u32 v12, s15, v7
	v_mul_lo_u32 v13, s14, v8
	v_mad_u64_u32 v[7:8], s[10:11], s14, v7, 0
	;; [unrolled: 12-line block ×5, first 2 shown]
	v_add_co_u32_e32 v71, vcc, s18, v3
	v_add3_u32 v8, v8, v10, v9
	v_addc_co_u32_e32 v72, vcc, v11, v4, vcc
	v_lshlrev_b64 v[3:4], 3, v[7:8]
	v_mov_b32_e32 v7, s17
	v_add_co_u32_e32 v73, vcc, s16, v3
	v_addc_co_u32_e32 v74, vcc, v7, v4, vcc
	v_mov_b32_e32 v7, s19
	v_add_co_u32_e32 v75, vcc, s18, v3
	v_addc_co_u32_e32 v76, vcc, v7, v4, vcc
	;; [unrolled: 3-line block ×3, first 2 shown]
	v_lshlrev_b64 v[3:4], 3, v[3:4]
	v_mov_b32_e32 v5, s17
	v_add_co_u32_e32 v77, vcc, s16, v3
	v_addc_co_u32_e32 v78, vcc, v5, v4, vcc
	v_add_co_u32_e32 v79, vcc, s18, v3
	v_mbcnt_lo_u32_b32 v3, -1, 0
	v_mbcnt_hi_u32_b32 v3, -1, v3
	v_mov_b32_e32 v5, s19
	v_mov_b32_e32 v19, 0
	v_lshlrev_b32_e32 v3, 2, v3
	v_mov_b32_e32 v21, 0
	v_mov_b32_e32 v48, v2
	s_mov_b64 s[30:31], 7
	v_addc_co_u32_e32 v80, vcc, v5, v4, vcc
	v_mov_b32_e32 v20, 0
	v_and_b32_e32 v81, 0x100, v3
	v_mov_b32_e32 v22, 0
	s_mov_b64 s[34:35], s[24:25]
	s_branch .LBB40_5
.LBB40_3:                               ;   in Loop: Header=BB40_5 Depth=1
	s_or_b64 exec, exec, s[10:11]
	s_waitcnt vmcnt(1)
	ds_bpermute_b32 v45, v81, v27
	ds_bpermute_b32 v46, v81, v28
	s_waitcnt vmcnt(0)
	ds_bpermute_b32 v82, v81, v29
	ds_bpermute_b32 v84, v81, v27 offset:8
	ds_bpermute_b32 v85, v81, v28 offset:8
	ds_bpermute_b32 v83, v81, v30
	s_waitcnt lgkmcnt(4)
	v_add_f64 v[33:34], v[33:34], -v[45:46]
	ds_bpermute_b32 v45, v81, v27 offset:4
	ds_bpermute_b32 v46, v81, v28 offset:4
	s_waitcnt lgkmcnt(3)
	v_add_f64 v[25:26], v[25:26], -v[84:85]
	s_waitcnt lgkmcnt(0)
	v_add_f64 v[37:38], v[37:38], -v[45:46]
	v_mul_f64 v[33:34], v[3:4], v[33:34]
	v_add_f64 v[3:4], v[21:22], v[3:4]
	ds_bpermute_b32 v21, v81, v27 offset:12
	ds_bpermute_b32 v22, v81, v28 offset:12
	ds_bpermute_b32 v45, v81, v27 offset:16
	ds_bpermute_b32 v46, v81, v28 offset:16
	v_mul_f64 v[37:38], v[5:6], v[37:38]
	v_fma_f64 v[19:20], v[33:34], v[82:83], v[19:20]
	ds_bpermute_b32 v33, v81, v29 offset:4
	ds_bpermute_b32 v34, v81, v30 offset:4
	s_waitcnt lgkmcnt(4)
	v_add_f64 v[21:22], v[39:40], -v[21:22]
	v_add_f64 v[3:4], v[5:6], v[3:4]
	v_mul_f64 v[5:6], v[7:8], v[25:26]
	ds_bpermute_b32 v25, v81, v29 offset:8
	ds_bpermute_b32 v26, v81, v30 offset:8
	s_waitcnt lgkmcnt(2)
	v_fma_f64 v[19:20], v[37:38], v[33:34], v[19:20]
	v_add_f64 v[35:36], v[35:36], -v[45:46]
	ds_bpermute_b32 v33, v81, v27 offset:20
	v_mul_f64 v[21:22], v[9:10], v[21:22]
	v_add_f64 v[3:4], v[7:8], v[3:4]
	ds_bpermute_b32 v34, v81, v28 offset:20
	ds_bpermute_b32 v7, v81, v29 offset:12
	ds_bpermute_b32 v8, v81, v30 offset:12
	s_waitcnt lgkmcnt(4)
	v_fma_f64 v[5:6], v[5:6], v[25:26], v[19:20]
	ds_bpermute_b32 v19, v81, v27 offset:24
	s_waitcnt lgkmcnt(3)
	v_add_f64 v[25:26], v[43:44], -v[33:34]
	v_mul_f64 v[33:34], v[11:12], v[35:36]
	v_add_f64 v[3:4], v[9:10], v[3:4]
	ds_bpermute_b32 v20, v81, v28 offset:24
	s_waitcnt lgkmcnt(2)
	v_fma_f64 v[5:6], v[21:22], v[7:8], v[5:6]
	ds_bpermute_b32 v7, v81, v29 offset:16
	ds_bpermute_b32 v8, v81, v30 offset:16
	s_waitcnt lgkmcnt(2)
	v_add_f64 v[9:10], v[41:42], -v[19:20]
	v_mul_f64 v[19:20], v[13:14], v[25:26]
	v_add_f64 v[3:4], v[11:12], v[3:4]
	ds_bpermute_b32 v11, v81, v29 offset:24
	ds_bpermute_b32 v12, v81, v30 offset:24
	s_waitcnt lgkmcnt(2)
	v_fma_f64 v[5:6], v[33:34], v[7:8], v[5:6]
	ds_bpermute_b32 v7, v81, v29 offset:20
	ds_bpermute_b32 v8, v81, v30 offset:20
	v_mul_f64 v[9:10], v[15:16], v[9:10]
	ds_bpermute_b32 v29, v81, v29 offset:28
	v_add_f64 v[3:4], v[13:14], v[3:4]
	ds_bpermute_b32 v30, v81, v30 offset:28
	s_waitcnt lgkmcnt(2)
	v_fma_f64 v[7:8], v[19:20], v[7:8], v[5:6]
	v_add_f64 v[5:6], v[15:16], v[3:4]
	v_fma_f64 v[3:4], v[9:10], v[11:12], v[7:8]
	ds_bpermute_b32 v7, v81, v27 offset:28
	ds_bpermute_b32 v8, v81, v28 offset:28
.LBB40_4:                               ;   in Loop: Header=BB40_5 Depth=1
	v_mov_b32_e32 v9, s29
	v_add_co_u32_e32 v49, vcc, s28, v49
	v_addc_co_u32_e32 v50, vcc, v50, v9, vcc
	v_add_co_u32_e32 v51, vcc, s28, v51
	v_addc_co_u32_e32 v52, vcc, v52, v9, vcc
	;; [unrolled: 2-line block ×6, first 2 shown]
	v_add_co_u32_e32 v61, vcc, s28, v61
	s_waitcnt lgkmcnt(0)
	v_add_f64 v[7:8], v[31:32], -v[7:8]
	v_addc_co_u32_e32 v62, vcc, v62, v9, vcc
	v_add_co_u32_e32 v63, vcc, s28, v63
	v_addc_co_u32_e32 v64, vcc, v64, v9, vcc
	v_add_co_u32_e32 v65, vcc, s28, v65
	;; [unrolled: 2-line block ×4, first 2 shown]
	v_add_f64 v[21:22], v[5:6], v[17:18]
	v_mul_f64 v[5:6], v[17:18], v[7:8]
	v_addc_co_u32_e32 v70, vcc, v70, v9, vcc
	v_add_co_u32_e32 v71, vcc, s28, v71
	v_addc_co_u32_e32 v72, vcc, v72, v9, vcc
	v_add_co_u32_e32 v73, vcc, s28, v73
	;; [unrolled: 2-line block ×4, first 2 shown]
	v_fma_f64 v[19:20], v[5:6], v[29:30], v[3:4]
	v_addc_co_u32_e32 v78, vcc, v78, v9, vcc
	v_add_co_u32_e32 v79, vcc, s28, v79
	v_addc_co_u32_e32 v80, vcc, v80, v9, vcc
	s_add_u32 s34, s34, s9
	v_add_co_u32_e32 v47, vcc, s9, v47
	v_mov_b32_e32 v3, s12
	s_addc_u32 s35, s35, 0
	v_addc_co_u32_e32 v48, vcc, 0, v48, vcc
	v_mov_b32_e32 v4, s13
	v_cmp_lt_i64_e32 vcc, s[34:35], v[3:4]
	s_add_u32 s30, s30, s9
	s_addc_u32 s31, 0, s31
	s_cbranch_vccz .LBB40_49
.LBB40_5:                               ; =>This Inner Loop Header: Depth=1
	s_add_u32 s10, s24, s30
	v_mov_b32_e32 v3, s12
	s_addc_u32 s11, 0, s31
	v_mov_b32_e32 v4, s13
	v_cmp_ge_i64_e32 vcc, s[10:11], v[3:4]
	v_add_co_u32_e64 v25, s[10:11], s24, v47
	v_addc_co_u32_e64 v26, s[10:11], 0, v48, s[10:11]
	s_mov_b64 s[10:11], -1
	s_and_b64 vcc, exec, vcc
                                        ; implicit-def: $vgpr3_vgpr4_vgpr5_vgpr6_vgpr7_vgpr8_vgpr9_vgpr10_vgpr11_vgpr12_vgpr13_vgpr14_vgpr15_vgpr16_vgpr17_vgpr18
                                        ; implicit-def: $vgpr29_vgpr30
                                        ; implicit-def: $vgpr31_vgpr32
                                        ; implicit-def: $vgpr7
                                        ; implicit-def: $vgpr5_vgpr6
                                        ; implicit-def: $vgpr3_vgpr4
	s_cbranch_vccz .LBB40_27
; %bb.6:                                ;   in Loop: Header=BB40_5 Depth=1
	s_load_dword s10, s[26:27], 0xc
	v_mov_b32_e32 v33, 0
	v_mov_b32_e32 v29, 0
	;; [unrolled: 1-line block ×4, first 2 shown]
	s_waitcnt lgkmcnt(0)
	s_and_b32 s10, s10, 0xffff
	v_mad_u32_u24 v3, v1, s10, v0
	v_and_b32_e32 v3, 63, v3
	v_mov_b32_e32 v30, 0
	v_mov_b32_e32 v28, 0
	v_cmp_gt_u32_e32 vcc, 8, v3
	s_and_saveexec_b64 s[10:11], vcc
	s_cbranch_execz .LBB40_10
; %bb.7:                                ;   in Loop: Header=BB40_5 Depth=1
	v_add_co_u32_e32 v3, vcc, v25, v3
	v_addc_co_u32_e32 v4, vcc, 0, v26, vcc
	v_cmp_gt_i64_e32 vcc, s[12:13], v[3:4]
	v_mov_b32_e32 v27, 0
	v_mov_b32_e32 v29, 0
	;; [unrolled: 1-line block ×4, first 2 shown]
	s_and_saveexec_b64 s[36:37], vcc
	s_cbranch_execz .LBB40_9
; %bb.8:                                ;   in Loop: Header=BB40_5 Depth=1
	v_lshlrev_b64 v[3:4], 3, v[3:4]
	v_mov_b32_e32 v6, s23
	v_add_co_u32_e32 v5, vcc, s22, v3
	v_addc_co_u32_e32 v6, vcc, v6, v4, vcc
	v_mov_b32_e32 v7, s21
	v_add_co_u32_e32 v3, vcc, s20, v3
	v_addc_co_u32_e32 v4, vcc, v7, v4, vcc
	global_load_dwordx2 v[27:28], v[3:4], off
	global_load_dwordx2 v[29:30], v[5:6], off
.LBB40_9:                               ;   in Loop: Header=BB40_5 Depth=1
	s_or_b64 exec, exec, s[36:37]
.LBB40_10:                              ;   in Loop: Header=BB40_5 Depth=1
	s_or_b64 exec, exec, s[10:11]
	v_cmp_gt_i64_e32 vcc, s[12:13], v[25:26]
	v_mov_b32_e32 v3, v2
	v_mov_b32_e32 v4, v2
	;; [unrolled: 1-line block ×31, first 2 shown]
	s_and_b64 s[36:37], s[2:3], vcc
	s_and_saveexec_b64 s[10:11], s[36:37]
	s_cbranch_execz .LBB40_12
; %bb.11:                               ;   in Loop: Header=BB40_5 Depth=1
	v_add_co_u32_e32 v3, vcc, v49, v23
	v_addc_co_u32_e32 v4, vcc, v50, v24, vcc
	v_add_co_u32_e32 v5, vcc, v51, v23
	v_addc_co_u32_e32 v6, vcc, v52, v24, vcc
	global_load_dwordx2 v[3:4], v[3:4], off
	v_mov_b32_e32 v7, v2
	global_load_dwordx2 v[33:34], v[5:6], off
	v_mov_b32_e32 v5, v2
	v_mov_b32_e32 v6, v2
	;; [unrolled: 1-line block ×13, first 2 shown]
.LBB40_12:                              ;   in Loop: Header=BB40_5 Depth=1
	s_or_b64 exec, exec, s[10:11]
	v_add_co_u32_e32 v31, vcc, 1, v25
	v_addc_co_u32_e32 v32, vcc, 0, v26, vcc
	v_cmp_gt_i64_e32 vcc, s[12:13], v[31:32]
	v_mov_b32_e32 v35, 0
	v_mov_b32_e32 v37, 0
	v_mov_b32_e32 v36, 0
	v_mov_b32_e32 v38, 0
	s_and_b64 s[36:37], s[2:3], vcc
	s_and_saveexec_b64 s[10:11], s[36:37]
	s_cbranch_execz .LBB40_14
; %bb.13:                               ;   in Loop: Header=BB40_5 Depth=1
	v_add_co_u32_e32 v5, vcc, v77, v23
	v_addc_co_u32_e32 v6, vcc, v78, v24, vcc
	v_add_co_u32_e32 v31, vcc, v79, v23
	v_addc_co_u32_e32 v32, vcc, v80, v24, vcc
	global_load_dwordx2 v[5:6], v[5:6], off
	s_nop 0
	global_load_dwordx2 v[37:38], v[31:32], off
.LBB40_14:                              ;   in Loop: Header=BB40_5 Depth=1
	s_or_b64 exec, exec, s[10:11]
	v_add_co_u32_e32 v31, vcc, 2, v25
	v_addc_co_u32_e32 v32, vcc, 0, v26, vcc
	v_cmp_gt_i64_e32 vcc, s[12:13], v[31:32]
	s_and_b64 s[36:37], s[2:3], vcc
	s_and_saveexec_b64 s[10:11], s[36:37]
	s_cbranch_execz .LBB40_16
; %bb.15:                               ;   in Loop: Header=BB40_5 Depth=1
	v_add_co_u32_e32 v7, vcc, v73, v23
	v_addc_co_u32_e32 v8, vcc, v74, v24, vcc
	v_add_co_u32_e32 v31, vcc, v75, v23
	v_addc_co_u32_e32 v32, vcc, v76, v24, vcc
	global_load_dwordx2 v[7:8], v[7:8], off
	s_nop 0
	global_load_dwordx2 v[35:36], v[31:32], off
.LBB40_16:                              ;   in Loop: Header=BB40_5 Depth=1
	s_or_b64 exec, exec, s[10:11]
	v_add_co_u32_e32 v31, vcc, 3, v25
	v_addc_co_u32_e32 v32, vcc, 0, v26, vcc
	v_cmp_gt_i64_e32 vcc, s[12:13], v[31:32]
	v_mov_b32_e32 v39, 0
	v_mov_b32_e32 v41, 0
	v_mov_b32_e32 v40, 0
	v_mov_b32_e32 v42, 0
	s_and_b64 s[36:37], s[2:3], vcc
	s_and_saveexec_b64 s[10:11], s[36:37]
	s_cbranch_execz .LBB40_18
; %bb.17:                               ;   in Loop: Header=BB40_5 Depth=1
	v_add_co_u32_e32 v9, vcc, v69, v23
	v_addc_co_u32_e32 v10, vcc, v70, v24, vcc
	v_add_co_u32_e32 v31, vcc, v71, v23
	v_addc_co_u32_e32 v32, vcc, v72, v24, vcc
	global_load_dwordx2 v[9:10], v[9:10], off
	s_nop 0
	global_load_dwordx2 v[41:42], v[31:32], off
.LBB40_18:                              ;   in Loop: Header=BB40_5 Depth=1
	s_or_b64 exec, exec, s[10:11]
	v_add_co_u32_e32 v31, vcc, 4, v25
	v_addc_co_u32_e32 v32, vcc, 0, v26, vcc
	v_cmp_gt_i64_e32 vcc, s[12:13], v[31:32]
	s_and_b64 s[36:37], s[2:3], vcc
	s_and_saveexec_b64 s[10:11], s[36:37]
	s_cbranch_execz .LBB40_20
; %bb.19:                               ;   in Loop: Header=BB40_5 Depth=1
	v_add_co_u32_e32 v11, vcc, v65, v23
	v_addc_co_u32_e32 v12, vcc, v66, v24, vcc
	v_add_co_u32_e32 v31, vcc, v67, v23
	v_addc_co_u32_e32 v32, vcc, v68, v24, vcc
	global_load_dwordx2 v[11:12], v[11:12], off
	s_nop 0
	global_load_dwordx2 v[39:40], v[31:32], off
.LBB40_20:                              ;   in Loop: Header=BB40_5 Depth=1
	;; [unrolled: 36-line block ×3, first 2 shown]
	s_or_b64 exec, exec, s[10:11]
	v_add_co_u32_e32 v31, vcc, 7, v25
	v_addc_co_u32_e32 v32, vcc, 0, v26, vcc
	v_cmp_gt_i64_e32 vcc, s[12:13], v[31:32]
	v_mov_b32_e32 v31, 0
	v_mov_b32_e32 v32, 0
	s_and_b64 s[36:37], s[2:3], vcc
	s_and_saveexec_b64 s[10:11], s[36:37]
	s_cbranch_execz .LBB40_26
; %bb.25:                               ;   in Loop: Header=BB40_5 Depth=1
	v_add_co_u32_e32 v17, vcc, v53, v23
	v_addc_co_u32_e32 v18, vcc, v54, v24, vcc
	v_add_co_u32_e32 v31, vcc, v55, v23
	v_addc_co_u32_e32 v32, vcc, v56, v24, vcc
	global_load_dwordx2 v[17:18], v[17:18], off
	s_nop 0
	global_load_dwordx2 v[31:32], v[31:32], off
.LBB40_26:                              ;   in Loop: Header=BB40_5 Depth=1
	s_or_b64 exec, exec, s[10:11]
	s_waitcnt vmcnt(1)
	ds_bpermute_b32 v82, v81, v27
	ds_bpermute_b32 v83, v81, v28
	s_waitcnt vmcnt(0)
	ds_bpermute_b32 v84, v81, v29
	ds_bpermute_b32 v86, v81, v27 offset:8
	ds_bpermute_b32 v87, v81, v28 offset:8
	ds_bpermute_b32 v85, v81, v30
	s_waitcnt lgkmcnt(4)
	v_add_f64 v[33:34], v[33:34], -v[82:83]
	ds_bpermute_b32 v82, v81, v27 offset:4
	ds_bpermute_b32 v83, v81, v28 offset:4
	s_waitcnt lgkmcnt(3)
	v_add_f64 v[35:36], v[35:36], -v[86:87]
	ds_bpermute_b32 v86, v81, v27 offset:16
	ds_bpermute_b32 v87, v81, v28 offset:16
	s_mov_b64 s[10:11], 0
	s_waitcnt lgkmcnt(2)
	v_add_f64 v[37:38], v[37:38], -v[82:83]
	v_mul_f64 v[33:34], v[3:4], v[33:34]
	v_add_f64 v[3:4], v[21:22], v[3:4]
	ds_bpermute_b32 v82, v81, v27 offset:12
	ds_bpermute_b32 v83, v81, v28 offset:12
	s_waitcnt lgkmcnt(2)
	v_add_f64 v[39:40], v[39:40], -v[86:87]
	v_mul_f64 v[37:38], v[5:6], v[37:38]
	v_fma_f64 v[33:34], v[33:34], v[84:85], v[19:20]
	ds_bpermute_b32 v84, v81, v29 offset:4
	ds_bpermute_b32 v85, v81, v30 offset:4
	s_waitcnt lgkmcnt(2)
	v_add_f64 v[41:42], v[41:42], -v[82:83]
	v_add_f64 v[3:4], v[5:6], v[3:4]
	v_mul_f64 v[5:6], v[7:8], v[35:36]
	ds_bpermute_b32 v35, v81, v29 offset:8
	ds_bpermute_b32 v36, v81, v30 offset:8
	s_waitcnt lgkmcnt(2)
	v_fma_f64 v[33:34], v[37:38], v[84:85], v[33:34]
	ds_bpermute_b32 v37, v81, v27 offset:20
	ds_bpermute_b32 v38, v81, v28 offset:20
	v_mul_f64 v[41:42], v[9:10], v[41:42]
	v_add_f64 v[3:4], v[7:8], v[3:4]
	ds_bpermute_b32 v7, v81, v29 offset:12
	ds_bpermute_b32 v8, v81, v30 offset:12
	s_waitcnt lgkmcnt(4)
	v_fma_f64 v[5:6], v[5:6], v[35:36], v[33:34]
	s_waitcnt lgkmcnt(2)
	v_add_f64 v[35:36], v[45:46], -v[37:38]
	v_mul_f64 v[37:38], v[11:12], v[39:40]
	ds_bpermute_b32 v33, v81, v27 offset:24
	v_add_f64 v[3:4], v[9:10], v[3:4]
	ds_bpermute_b32 v34, v81, v28 offset:24
	s_waitcnt lgkmcnt(2)
	v_fma_f64 v[5:6], v[41:42], v[7:8], v[5:6]
	ds_bpermute_b32 v7, v81, v29 offset:16
	ds_bpermute_b32 v8, v81, v30 offset:16
	s_waitcnt lgkmcnt(2)
	v_add_f64 v[9:10], v[43:44], -v[33:34]
	v_mul_f64 v[33:34], v[13:14], v[35:36]
	v_add_f64 v[3:4], v[11:12], v[3:4]
	ds_bpermute_b32 v11, v81, v29 offset:24
	ds_bpermute_b32 v12, v81, v30 offset:24
	s_waitcnt lgkmcnt(2)
	v_fma_f64 v[5:6], v[37:38], v[7:8], v[5:6]
	ds_bpermute_b32 v7, v81, v29 offset:20
	ds_bpermute_b32 v8, v81, v30 offset:20
	v_mul_f64 v[9:10], v[15:16], v[9:10]
	ds_bpermute_b32 v29, v81, v29 offset:28
	v_add_f64 v[3:4], v[13:14], v[3:4]
	ds_bpermute_b32 v30, v81, v30 offset:28
	s_waitcnt lgkmcnt(2)
	v_fma_f64 v[7:8], v[33:34], v[7:8], v[5:6]
	v_add_f64 v[5:6], v[15:16], v[3:4]
	v_fma_f64 v[3:4], v[9:10], v[11:12], v[7:8]
	ds_bpermute_b32 v7, v81, v27 offset:28
	ds_bpermute_b32 v8, v81, v28 offset:28
.LBB40_27:                              ;   in Loop: Header=BB40_5 Depth=1
	s_and_b64 vcc, exec, s[10:11]
	s_cbranch_vccz .LBB40_4
; %bb.28:                               ;   in Loop: Header=BB40_5 Depth=1
	s_load_dword s10, s[26:27], 0x0
	v_mov_b32_e32 v33, 0
	s_waitcnt lgkmcnt(0)
	v_mov_b32_e32 v29, 0
	v_mov_b32_e32 v27, 0
	;; [unrolled: 1-line block ×3, first 2 shown]
	s_cmp_lt_u32 s6, s10
	s_cselect_b32 s10, 12, 18
	s_add_u32 s10, s26, s10
	s_addc_u32 s11, s27, 0
	global_load_ushort v3, v2, s[10:11]
	v_mov_b32_e32 v30, 0
	v_mov_b32_e32 v28, 0
	s_waitcnt vmcnt(0)
	v_mad_u32_u24 v3, v1, v3, v0
	v_and_b32_e32 v3, 63, v3
	v_cmp_gt_u32_e32 vcc, 8, v3
	s_and_saveexec_b64 s[10:11], vcc
	s_cbranch_execz .LBB40_32
; %bb.29:                               ;   in Loop: Header=BB40_5 Depth=1
	v_add_co_u32_e32 v3, vcc, v25, v3
	v_addc_co_u32_e32 v4, vcc, 0, v26, vcc
	v_cmp_gt_i64_e32 vcc, s[12:13], v[3:4]
	v_mov_b32_e32 v27, 0
	v_mov_b32_e32 v29, 0
	v_mov_b32_e32 v28, 0
	v_mov_b32_e32 v30, 0
	s_and_saveexec_b64 s[36:37], vcc
	s_cbranch_execz .LBB40_31
; %bb.30:                               ;   in Loop: Header=BB40_5 Depth=1
	v_lshlrev_b64 v[3:4], 3, v[3:4]
	v_mov_b32_e32 v6, s23
	v_add_co_u32_e32 v5, vcc, s22, v3
	v_addc_co_u32_e32 v6, vcc, v6, v4, vcc
	v_mov_b32_e32 v7, s21
	v_add_co_u32_e32 v3, vcc, s20, v3
	v_addc_co_u32_e32 v4, vcc, v7, v4, vcc
	global_load_dwordx2 v[27:28], v[3:4], off
	global_load_dwordx2 v[29:30], v[5:6], off
.LBB40_31:                              ;   in Loop: Header=BB40_5 Depth=1
	s_or_b64 exec, exec, s[36:37]
.LBB40_32:                              ;   in Loop: Header=BB40_5 Depth=1
	s_or_b64 exec, exec, s[10:11]
	v_mov_b32_e32 v3, v2
	v_mov_b32_e32 v4, v2
	;; [unrolled: 1-line block ×31, first 2 shown]
	s_and_saveexec_b64 s[10:11], s[2:3]
	s_cbranch_execz .LBB40_34
; %bb.33:                               ;   in Loop: Header=BB40_5 Depth=1
	v_add_co_u32_e32 v3, vcc, v49, v23
	v_addc_co_u32_e32 v4, vcc, v50, v24, vcc
	v_add_co_u32_e32 v5, vcc, v51, v23
	v_addc_co_u32_e32 v6, vcc, v52, v24, vcc
	global_load_dwordx2 v[3:4], v[3:4], off
	v_mov_b32_e32 v7, v2
	global_load_dwordx2 v[33:34], v[5:6], off
	v_mov_b32_e32 v5, v2
	v_mov_b32_e32 v6, v2
	;; [unrolled: 1-line block ×13, first 2 shown]
.LBB40_34:                              ;   in Loop: Header=BB40_5 Depth=1
	s_or_b64 exec, exec, s[10:11]
	v_mov_b32_e32 v25, 0
	v_mov_b32_e32 v37, 0
	v_mov_b32_e32 v26, 0
	v_mov_b32_e32 v38, 0
	s_and_saveexec_b64 s[10:11], s[2:3]
	s_cbranch_execz .LBB40_36
; %bb.35:                               ;   in Loop: Header=BB40_5 Depth=1
	v_add_co_u32_e32 v5, vcc, v77, v23
	v_addc_co_u32_e32 v6, vcc, v78, v24, vcc
	v_add_co_u32_e32 v31, vcc, v79, v23
	v_addc_co_u32_e32 v32, vcc, v80, v24, vcc
	global_load_dwordx2 v[5:6], v[5:6], off
	s_nop 0
	global_load_dwordx2 v[37:38], v[31:32], off
.LBB40_36:                              ;   in Loop: Header=BB40_5 Depth=1
	s_or_b64 exec, exec, s[10:11]
	s_and_saveexec_b64 s[10:11], s[2:3]
	s_cbranch_execz .LBB40_38
; %bb.37:                               ;   in Loop: Header=BB40_5 Depth=1
	v_add_co_u32_e32 v7, vcc, v73, v23
	v_addc_co_u32_e32 v8, vcc, v74, v24, vcc
	v_add_co_u32_e32 v25, vcc, v75, v23
	v_addc_co_u32_e32 v26, vcc, v76, v24, vcc
	global_load_dwordx2 v[7:8], v[7:8], off
	s_nop 0
	global_load_dwordx2 v[25:26], v[25:26], off
.LBB40_38:                              ;   in Loop: Header=BB40_5 Depth=1
	s_or_b64 exec, exec, s[10:11]
	v_mov_b32_e32 v35, 0
	v_mov_b32_e32 v39, 0
	v_mov_b32_e32 v36, 0
	v_mov_b32_e32 v40, 0
	s_and_saveexec_b64 s[10:11], s[2:3]
	s_cbranch_execz .LBB40_40
; %bb.39:                               ;   in Loop: Header=BB40_5 Depth=1
	v_add_co_u32_e32 v9, vcc, v69, v23
	v_addc_co_u32_e32 v10, vcc, v70, v24, vcc
	v_add_co_u32_e32 v31, vcc, v71, v23
	v_addc_co_u32_e32 v32, vcc, v72, v24, vcc
	global_load_dwordx2 v[9:10], v[9:10], off
	s_nop 0
	global_load_dwordx2 v[39:40], v[31:32], off
.LBB40_40:                              ;   in Loop: Header=BB40_5 Depth=1
	s_or_b64 exec, exec, s[10:11]
	s_and_saveexec_b64 s[10:11], s[2:3]
	s_cbranch_execz .LBB40_42
; %bb.41:                               ;   in Loop: Header=BB40_5 Depth=1
	v_add_co_u32_e32 v11, vcc, v65, v23
	v_addc_co_u32_e32 v12, vcc, v66, v24, vcc
	v_add_co_u32_e32 v31, vcc, v67, v23
	v_addc_co_u32_e32 v32, vcc, v68, v24, vcc
	global_load_dwordx2 v[11:12], v[11:12], off
	s_nop 0
	global_load_dwordx2 v[35:36], v[31:32], off
.LBB40_42:                              ;   in Loop: Header=BB40_5 Depth=1
	;; [unrolled: 28-line block ×3, first 2 shown]
	s_or_b64 exec, exec, s[10:11]
	v_mov_b32_e32 v31, 0
	v_mov_b32_e32 v32, 0
	s_and_saveexec_b64 s[10:11], s[2:3]
	s_cbranch_execz .LBB40_3
; %bb.47:                               ;   in Loop: Header=BB40_5 Depth=1
	v_add_co_u32_e32 v17, vcc, v53, v23
	v_addc_co_u32_e32 v18, vcc, v54, v24, vcc
	v_add_co_u32_e32 v31, vcc, v55, v23
	v_addc_co_u32_e32 v32, vcc, v56, v24, vcc
	global_load_dwordx2 v[17:18], v[17:18], off
	s_nop 0
	global_load_dwordx2 v[31:32], v[31:32], off
	s_branch .LBB40_3
.LBB40_48:
                                        ; implicit-def: $vgpr21_vgpr22
                                        ; implicit-def: $vgpr19_vgpr20
	s_branch .LBB40_50
.LBB40_49:
	s_cbranch_execnz .LBB40_81
.LBB40_50:
	v_mov_b32_e32 v21, 0
	v_mov_b32_e32 v19, 0
	;; [unrolled: 1-line block ×3, first 2 shown]
	s_and_b64 vcc, exec, s[0:1]
	v_mov_b32_e32 v20, 0
	s_cbranch_vccnz .LBB40_81
; %bb.51:
	v_lshlrev_b32_e32 v75, 3, v1
	v_add_co_u32_e32 v8, vcc, s24, v75
	v_addc_co_u32_e64 v9, s[0:1], 0, 0, vcc
	v_mul_lo_u32 v4, s15, v8
	v_mul_lo_u32 v5, s14, v9
	v_mad_u64_u32 v[2:3], s[0:1], s14, v8, 0
	v_mov_b32_e32 v6, s17
	s_add_u32 s2, s4, 64
	v_add3_u32 v3, v3, v5, v4
	v_lshlrev_b64 v[4:5], 3, v[2:3]
	s_addc_u32 s3, s5, 0
	v_add_co_u32_e32 v76, vcc, s16, v4
	v_addc_co_u32_e32 v77, vcc, v6, v5, vcc
	v_mov_b32_e32 v6, s19
	v_add_co_u32_e32 v78, vcc, s18, v4
	v_addc_co_u32_e32 v79, vcc, v6, v5, vcc
	v_lshlrev_b32_e32 v4, 6, v1
	s_lshl_b64 s[0:1], s[24:25], 3
	v_mov_b32_e32 v5, s1
	v_add_co_u32_e32 v10, vcc, s0, v4
	v_addc_co_u32_e32 v11, vcc, 0, v5, vcc
	v_add_co_u32_e32 v12, vcc, 8, v10
	v_addc_co_u32_e32 v6, vcc, 0, v11, vcc
	v_mov_b32_e32 v4, s16
	v_mul_lo_u32 v14, s14, v6
	v_mov_b32_e32 v6, s18
	v_mov_b32_e32 v5, s17
	;; [unrolled: 1-line block ×3, first 2 shown]
	v_mad_u64_u32 v[23:24], s[0:1], s14, v12, v[4:5]
	v_mul_lo_u32 v15, s15, v12
	v_mad_u64_u32 v[25:26], s[0:1], s14, v12, v[6:7]
	v_add_co_u32_e32 v12, vcc, 16, v10
	v_addc_co_u32_e32 v16, vcc, 0, v11, vcc
	v_mov_b32_e32 v13, s15
	v_add_co_u32_e32 v2, vcc, s14, v2
	v_addc_co_u32_e32 v3, vcc, v3, v13, vcc
	v_mul_lo_u32 v17, s15, v12
	v_mad_u64_u32 v[27:28], s[0:1], s14, v12, v[4:5]
	v_mad_u64_u32 v[29:30], s[0:1], s14, v12, v[6:7]
	v_add_co_u32_e32 v12, vcc, 24, v10
	v_addc_co_u32_e32 v13, vcc, 0, v11, vcc
	v_add3_u32 v24, v15, v24, v14
	v_add3_u32 v26, v15, v26, v14
	v_mul_lo_u32 v13, s14, v13
	v_mul_lo_u32 v14, s15, v12
	v_mad_u64_u32 v[31:32], s[0:1], s14, v12, v[4:5]
	v_mad_u64_u32 v[33:34], s[0:1], s14, v12, v[6:7]
	v_add_co_u32_e32 v12, vcc, 32, v10
	v_mul_lo_u32 v16, s14, v16
	v_addc_co_u32_e32 v15, vcc, 0, v11, vcc
	v_mul_lo_u32 v18, s15, v12
	v_mad_u64_u32 v[35:36], s[0:1], s14, v12, v[4:5]
	v_mad_u64_u32 v[37:38], s[0:1], s14, v12, v[6:7]
	v_add_co_u32_e32 v12, vcc, 40, v10
	v_add3_u32 v32, v14, v32, v13
	v_add3_u32 v34, v14, v34, v13
	v_addc_co_u32_e32 v13, vcc, 0, v11, vcc
	v_mul_lo_u32 v14, s15, v12
	v_mad_u64_u32 v[39:40], s[0:1], s14, v12, v[4:5]
	v_mad_u64_u32 v[41:42], s[0:1], s14, v12, v[6:7]
	v_add_co_u32_e32 v12, vcc, 48, v10
	v_add3_u32 v28, v17, v28, v16
	v_add3_u32 v30, v17, v30, v16
	v_addc_co_u32_e32 v16, vcc, 0, v11, vcc
	v_add_co_u32_e32 v10, vcc, 56, v10
	v_addc_co_u32_e32 v11, vcc, 0, v11, vcc
	v_mad_u64_u32 v[43:44], s[0:1], s14, v12, v[4:5]
	v_mad_u64_u32 v[47:48], s[0:1], s14, v10, v[4:5]
	v_add_co_u32_e32 v4, vcc, 7, v8
	v_addc_co_u32_e32 v5, vcc, 0, v9, vcc
	v_mad_u64_u32 v[45:46], s[0:1], s14, v12, v[6:7]
	v_mad_u64_u32 v[49:50], s[0:1], s14, v10, v[6:7]
	v_mul_lo_u32 v6, s15, v10
	v_mul_lo_u32 v7, s14, v5
	;; [unrolled: 1-line block ×3, first 2 shown]
	v_mad_u64_u32 v[4:5], s[0:1], s14, v4, 0
	v_mul_lo_u32 v11, s14, v11
	v_mul_lo_u32 v17, s15, v12
	v_add3_u32 v5, v5, v7, v10
	v_lshlrev_b64 v[4:5], 3, v[4:5]
	v_add3_u32 v48, v6, v48, v11
	v_add3_u32 v50, v6, v50, v11
	v_mov_b32_e32 v6, s17
	v_add_co_u32_e32 v80, vcc, s16, v4
	v_addc_co_u32_e32 v81, vcc, v6, v5, vcc
	v_add_co_u32_e32 v6, vcc, 6, v8
	v_addc_co_u32_e32 v7, vcc, 0, v9, vcc
	v_mul_lo_u32 v11, s14, v7
	v_mul_lo_u32 v12, s15, v6
	v_mad_u64_u32 v[6:7], s[0:1], s14, v6, 0
	v_mov_b32_e32 v10, s19
	v_add_co_u32_e32 v82, vcc, s18, v4
	v_add3_u32 v7, v7, v11, v12
	v_addc_co_u32_e32 v83, vcc, v10, v5, vcc
	v_lshlrev_b64 v[4:5], 3, v[6:7]
	v_mov_b32_e32 v6, s17
	v_add_co_u32_e32 v84, vcc, s16, v4
	v_addc_co_u32_e32 v85, vcc, v6, v5, vcc
	v_add_co_u32_e32 v6, vcc, 5, v8
	v_addc_co_u32_e32 v7, vcc, 0, v9, vcc
	v_mul_lo_u32 v11, s14, v7
	v_mul_lo_u32 v12, s15, v6
	v_mad_u64_u32 v[6:7], s[0:1], s14, v6, 0
	v_add_co_u32_e32 v86, vcc, s18, v4
	v_add3_u32 v7, v7, v11, v12
	v_addc_co_u32_e32 v87, vcc, v10, v5, vcc
	v_lshlrev_b64 v[4:5], 3, v[6:7]
	v_mov_b32_e32 v6, s17
	v_add_co_u32_e32 v88, vcc, s16, v4
	v_addc_co_u32_e32 v89, vcc, v6, v5, vcc
	v_add_co_u32_e32 v6, vcc, 4, v8
	v_addc_co_u32_e32 v7, vcc, 0, v9, vcc
	v_mul_lo_u32 v11, s14, v7
	v_mul_lo_u32 v12, s15, v6
	v_mad_u64_u32 v[6:7], s[0:1], s14, v6, 0
	;; [unrolled: 12-line block ×4, first 2 shown]
	v_add_co_u32_e32 v98, vcc, s18, v4
	v_add3_u32 v7, v7, v8, v9
	v_addc_co_u32_e32 v99, vcc, v10, v5, vcc
	v_lshlrev_b64 v[4:5], 3, v[6:7]
	v_mov_b32_e32 v6, s17
	v_add_co_u32_e32 v100, vcc, s16, v4
	v_addc_co_u32_e32 v101, vcc, v6, v5, vcc
	v_mov_b32_e32 v6, s19
	v_add_co_u32_e32 v102, vcc, s18, v4
	v_lshlrev_b64 v[2:3], 3, v[2:3]
	v_addc_co_u32_e32 v103, vcc, v6, v5, vcc
	s_load_dword s0, s[4:5], 0x44
	v_mov_b32_e32 v4, s17
	v_add_co_u32_e32 v104, vcc, s16, v2
	v_addc_co_u32_e32 v105, vcc, v4, v3, vcc
	v_mov_b32_e32 v4, s19
	v_add_co_u32_e32 v106, vcc, s18, v2
	v_mov_b32_e32 v2, 0
	v_mul_lo_u32 v15, s14, v15
	v_mul_lo_u32 v13, s14, v13
	;; [unrolled: 1-line block ×3, first 2 shown]
	v_addc_co_u32_e32 v107, vcc, v4, v3, vcc
	v_add_u32_e32 v3, s7, v0
	v_mov_b32_e32 v4, v2
	s_waitcnt lgkmcnt(0)
	s_lshl_b32 s7, s0, 3
	v_lshlrev_b64 v[51:52], 3, v[3:4]
	v_mbcnt_lo_u32_b32 v3, -1, 0
	s_mul_i32 s0, s15, s7
	s_mul_hi_u32 s1, s14, s7
	v_mbcnt_hi_u32_b32 v3, -1, v3
	s_add_i32 s1, s1, s0
	s_mul_i32 s0, s14, s7
	v_lshlrev_b32_e32 v3, 2, v3
	v_mov_b32_e32 v19, 0
	v_mov_b32_e32 v21, 0
	v_add3_u32 v36, v18, v36, v15
	v_add3_u32 v38, v18, v38, v15
	;; [unrolled: 1-line block ×6, first 2 shown]
	s_lshl_b64 s[10:11], s[0:1], 3
	s_mov_b64 s[16:17], 7
	v_and_b32_e32 v108, 0x100, v3
	s_mov_b64 s[18:19], s[24:25]
	v_mov_b32_e32 v20, 0
	v_mov_b32_e32 v22, 0
	;; [unrolled: 1-line block ×3, first 2 shown]
	s_branch .LBB40_55
.LBB40_52:                              ;   in Loop: Header=BB40_55 Depth=1
	s_or_b64 exec, exec, s[26:27]
.LBB40_53:                              ;   in Loop: Header=BB40_55 Depth=1
	s_or_b64 exec, exec, s[0:1]
	v_add_co_u32_e32 v7, vcc, v78, v51
	v_addc_co_u32_e32 v8, vcc, v79, v52, vcc
	global_load_dwordx2 v[7:8], v[7:8], off
	v_add_co_u32_e32 v9, vcc, v76, v51
	v_addc_co_u32_e32 v10, vcc, v77, v52, vcc
	v_add_co_u32_e32 v11, vcc, v25, v51
	v_addc_co_u32_e32 v12, vcc, v26, v52, vcc
	global_load_dwordx2 v[9:10], v[9:10], off
	v_add_co_u32_e32 v13, vcc, v23, v51
	global_load_dwordx2 v[11:12], v[11:12], off
	v_addc_co_u32_e32 v14, vcc, v24, v52, vcc
	v_add_co_u32_e32 v15, vcc, v29, v51
	v_addc_co_u32_e32 v16, vcc, v30, v52, vcc
	global_load_dwordx2 v[53:54], v[15:16], off
	global_load_dwordx2 v[55:56], v[13:14], off
	v_add_co_u32_e32 v13, vcc, v27, v51
	v_addc_co_u32_e32 v14, vcc, v28, v52, vcc
	v_add_co_u32_e32 v15, vcc, v33, v51
	v_addc_co_u32_e32 v16, vcc, v34, v52, vcc
	global_load_dwordx2 v[13:14], v[13:14], off
	v_add_co_u32_e32 v17, vcc, v37, v51
	global_load_dwordx2 v[15:16], v[15:16], off
	v_addc_co_u32_e32 v18, vcc, v38, v52, vcc
	v_add_co_u32_e32 v57, vcc, v31, v51
	v_addc_co_u32_e32 v58, vcc, v32, v52, vcc
	global_load_dwordx2 v[57:58], v[57:58], off
	v_add_co_u32_e32 v59, vcc, v41, v51
	global_load_dwordx2 v[61:62], v[17:18], off
	v_addc_co_u32_e32 v60, vcc, v42, v52, vcc
	v_add_co_u32_e32 v17, vcc, v45, v51
	v_addc_co_u32_e32 v18, vcc, v46, v52, vcc
	global_load_dwordx2 v[63:64], v[59:60], off
	global_load_dwordx2 v[65:66], v[17:18], off
	v_add_co_u32_e32 v17, vcc, v35, v51
	v_addc_co_u32_e32 v18, vcc, v36, v52, vcc
	global_load_dwordx2 v[59:60], v[17:18], off
	v_add_co_u32_e32 v17, vcc, v39, v51
	v_addc_co_u32_e32 v18, vcc, v40, v52, vcc
	v_add_co_u32_e32 v67, vcc, v49, v51
	v_addc_co_u32_e32 v68, vcc, v50, v52, vcc
	global_load_dwordx2 v[69:70], v[17:18], off
	global_load_dwordx2 v[71:72], v[67:68], off
	v_add_co_u32_e32 v17, vcc, v43, v51
	v_addc_co_u32_e32 v18, vcc, v44, v52, vcc
	global_load_dwordx2 v[67:68], v[17:18], off
	v_add_co_u32_e32 v17, vcc, v47, v51
	v_addc_co_u32_e32 v18, vcc, v48, v52, vcc
	global_load_dwordx2 v[17:18], v[17:18], off
	s_waitcnt vmcnt(17)
	ds_bpermute_b32 v73, v108, v5
	ds_bpermute_b32 v74, v108, v6
	ds_bpermute_b32 v110, v108, v5 offset:8
	ds_bpermute_b32 v111, v108, v6 offset:8
	;; [unrolled: 1-line block ×4, first 2 shown]
	s_waitcnt vmcnt(15) lgkmcnt(4)
	v_add_f64 v[7:8], v[7:8], -v[73:74]
	ds_bpermute_b32 v73, v108, v5 offset:4
	ds_bpermute_b32 v74, v108, v6 offset:4
	s_waitcnt vmcnt(14)
	v_mul_f64 v[7:8], v[9:10], v[7:8]
	v_add_f64 v[9:10], v[21:22], v[9:10]
	ds_bpermute_b32 v21, v108, v5 offset:16
	s_waitcnt vmcnt(13) lgkmcnt(1)
	v_add_f64 v[11:12], v[11:12], -v[73:74]
	ds_bpermute_b32 v73, v108, v3
	ds_bpermute_b32 v74, v108, v4
	ds_bpermute_b32 v22, v108, v6 offset:16
	s_waitcnt vmcnt(12)
	v_add_f64 v[53:54], v[53:54], -v[110:111]
	s_waitcnt lgkmcnt(1)
	v_fma_f64 v[7:8], v[7:8], v[73:74], v[19:20]
	s_waitcnt vmcnt(11)
	v_mul_f64 v[11:12], v[55:56], v[11:12]
	ds_bpermute_b32 v19, v108, v3 offset:4
	ds_bpermute_b32 v20, v108, v4 offset:4
	v_add_f64 v[9:10], v[9:10], v[55:56]
	s_waitcnt vmcnt(10)
	v_mul_f64 v[53:54], v[13:14], v[53:54]
	s_waitcnt lgkmcnt(0)
	v_fma_f64 v[7:8], v[11:12], v[19:20], v[7:8]
	ds_bpermute_b32 v11, v108, v3 offset:8
	s_waitcnt vmcnt(9)
	v_add_f64 v[15:16], v[15:16], -v[112:113]
	ds_bpermute_b32 v12, v108, v4 offset:8
	v_add_f64 v[9:10], v[9:10], v[13:14]
	ds_bpermute_b32 v19, v108, v5 offset:20
	ds_bpermute_b32 v20, v108, v6 offset:20
	;; [unrolled: 1-line block ×3, first 2 shown]
	s_waitcnt lgkmcnt(3)
	v_fma_f64 v[7:8], v[53:54], v[11:12], v[7:8]
	ds_bpermute_b32 v14, v108, v4 offset:12
	s_waitcnt vmcnt(8)
	v_mul_f64 v[15:16], v[57:58], v[15:16]
	ds_bpermute_b32 v11, v108, v5 offset:24
	s_waitcnt vmcnt(7)
	v_add_f64 v[21:22], v[61:62], -v[21:22]
	v_add_f64 v[9:10], v[9:10], v[57:58]
	ds_bpermute_b32 v12, v108, v6 offset:24
	ds_bpermute_b32 v5, v108, v5 offset:28
	;; [unrolled: 1-line block ×3, first 2 shown]
	s_waitcnt vmcnt(6) lgkmcnt(6)
	v_add_f64 v[19:20], v[63:64], -v[19:20]
	s_waitcnt lgkmcnt(4)
	v_fma_f64 v[7:8], v[15:16], v[13:14], v[7:8]
	ds_bpermute_b32 v13, v108, v3 offset:16
	ds_bpermute_b32 v14, v108, v4 offset:16
	s_waitcnt vmcnt(5) lgkmcnt(4)
	v_add_f64 v[11:12], v[65:66], -v[11:12]
	s_waitcnt vmcnt(4)
	v_mul_f64 v[21:22], v[59:60], v[21:22]
	v_add_f64 v[9:10], v[9:10], v[59:60]
	s_waitcnt vmcnt(3)
	v_mul_f64 v[15:16], v[69:70], v[19:20]
	s_waitcnt lgkmcnt(0)
	v_fma_f64 v[7:8], v[21:22], v[13:14], v[7:8]
	s_waitcnt vmcnt(2)
	v_add_f64 v[5:6], v[71:72], -v[5:6]
	ds_bpermute_b32 v13, v108, v3 offset:20
	ds_bpermute_b32 v14, v108, v4 offset:20
	v_add_f64 v[9:10], v[9:10], v[69:70]
	s_waitcnt vmcnt(1)
	v_mul_f64 v[11:12], v[67:68], v[11:12]
	ds_bpermute_b32 v19, v108, v3 offset:24
	ds_bpermute_b32 v20, v108, v4 offset:24
	s_waitcnt lgkmcnt(2)
	v_fma_f64 v[7:8], v[15:16], v[13:14], v[7:8]
	ds_bpermute_b32 v13, v108, v3 offset:28
	s_waitcnt vmcnt(0)
	v_mul_f64 v[5:6], v[17:18], v[5:6]
	ds_bpermute_b32 v14, v108, v4 offset:28
	v_add_f64 v[3:4], v[9:10], v[67:68]
	s_waitcnt lgkmcnt(2)
	v_fma_f64 v[7:8], v[11:12], v[19:20], v[7:8]
	s_waitcnt lgkmcnt(0)
	v_mul_f64 v[5:6], v[5:6], v[13:14]
.LBB40_54:                              ;   in Loop: Header=BB40_55 Depth=1
	v_add_f64 v[21:22], v[3:4], v[17:18]
	v_mov_b32_e32 v3, s11
	v_add_co_u32_e32 v76, vcc, s10, v76
	v_addc_co_u32_e32 v77, vcc, v77, v3, vcc
	v_add_co_u32_e32 v78, vcc, s10, v78
	v_addc_co_u32_e32 v79, vcc, v79, v3, vcc
	v_add_co_u32_e32 v75, vcc, s7, v75
	v_addc_co_u32_e32 v109, vcc, 0, v109, vcc
	v_add_co_u32_e32 v23, vcc, s10, v23
	v_addc_co_u32_e32 v24, vcc, v24, v3, vcc
	v_add_co_u32_e32 v27, vcc, s10, v27
	v_addc_co_u32_e32 v28, vcc, v28, v3, vcc
	v_add_co_u32_e32 v31, vcc, s10, v31
	v_addc_co_u32_e32 v32, vcc, v32, v3, vcc
	v_add_co_u32_e32 v35, vcc, s10, v35
	v_addc_co_u32_e32 v36, vcc, v36, v3, vcc
	v_add_co_u32_e32 v39, vcc, s10, v39
	v_addc_co_u32_e32 v40, vcc, v40, v3, vcc
	v_add_co_u32_e32 v43, vcc, s10, v43
	v_addc_co_u32_e32 v44, vcc, v44, v3, vcc
	v_add_co_u32_e32 v47, vcc, s10, v47
	v_addc_co_u32_e32 v48, vcc, v48, v3, vcc
	v_add_co_u32_e32 v25, vcc, s10, v25
	v_addc_co_u32_e32 v26, vcc, v26, v3, vcc
	v_add_co_u32_e32 v29, vcc, s10, v29
	v_addc_co_u32_e32 v30, vcc, v30, v3, vcc
	v_add_co_u32_e32 v33, vcc, s10, v33
	v_addc_co_u32_e32 v34, vcc, v34, v3, vcc
	v_add_co_u32_e32 v37, vcc, s10, v37
	v_addc_co_u32_e32 v38, vcc, v38, v3, vcc
	v_add_co_u32_e32 v41, vcc, s10, v41
	v_addc_co_u32_e32 v42, vcc, v42, v3, vcc
	v_add_co_u32_e32 v45, vcc, s10, v45
	v_addc_co_u32_e32 v46, vcc, v46, v3, vcc
	v_add_co_u32_e32 v49, vcc, s10, v49
	v_addc_co_u32_e32 v50, vcc, v50, v3, vcc
	v_add_co_u32_e32 v80, vcc, s10, v80
	v_addc_co_u32_e32 v81, vcc, v81, v3, vcc
	v_add_co_u32_e32 v82, vcc, s10, v82
	v_addc_co_u32_e32 v83, vcc, v83, v3, vcc
	v_add_co_u32_e32 v84, vcc, s10, v84
	v_addc_co_u32_e32 v85, vcc, v85, v3, vcc
	v_add_co_u32_e32 v86, vcc, s10, v86
	v_addc_co_u32_e32 v87, vcc, v87, v3, vcc
	v_add_co_u32_e32 v88, vcc, s10, v88
	v_addc_co_u32_e32 v89, vcc, v89, v3, vcc
	v_add_co_u32_e32 v90, vcc, s10, v90
	v_addc_co_u32_e32 v91, vcc, v91, v3, vcc
	v_add_co_u32_e32 v92, vcc, s10, v92
	v_addc_co_u32_e32 v93, vcc, v93, v3, vcc
	v_add_co_u32_e32 v94, vcc, s10, v94
	v_addc_co_u32_e32 v95, vcc, v95, v3, vcc
	v_add_co_u32_e32 v96, vcc, s10, v96
	v_addc_co_u32_e32 v97, vcc, v97, v3, vcc
	v_add_co_u32_e32 v98, vcc, s10, v98
	v_addc_co_u32_e32 v99, vcc, v99, v3, vcc
	v_add_co_u32_e32 v100, vcc, s10, v100
	v_addc_co_u32_e32 v101, vcc, v101, v3, vcc
	v_add_co_u32_e32 v102, vcc, s10, v102
	v_addc_co_u32_e32 v103, vcc, v103, v3, vcc
	v_add_f64 v[19:20], v[7:8], v[5:6]
	v_add_co_u32_e32 v104, vcc, s10, v104
	v_addc_co_u32_e32 v105, vcc, v105, v3, vcc
	v_add_co_u32_e32 v106, vcc, s10, v106
	s_add_u32 s18, s18, s7
	v_addc_co_u32_e32 v107, vcc, v107, v3, vcc
	v_mov_b32_e32 v3, s12
	s_addc_u32 s19, s19, 0
	v_mov_b32_e32 v4, s13
	v_cmp_ge_i64_e32 vcc, s[18:19], v[3:4]
	s_add_u32 s16, s16, s7
	s_addc_u32 s17, 0, s17
	s_cbranch_vccnz .LBB40_81
.LBB40_55:                              ; =>This Inner Loop Header: Depth=1
	s_add_u32 s0, s24, s16
	v_mov_b32_e32 v3, s12
	s_addc_u32 s1, 0, s17
	v_mov_b32_e32 v4, s13
	v_cmp_ge_i64_e32 vcc, s[0:1], v[3:4]
	v_add_co_u32_e64 v53, s[0:1], s24, v75
	v_addc_co_u32_e64 v54, s[0:1], 0, v109, s[0:1]
	s_mov_b64 s[0:1], -1
	s_and_b64 vcc, exec, vcc
                                        ; implicit-def: $vgpr17_vgpr18
                                        ; implicit-def: $vgpr5_vgpr6
                                        ; implicit-def: $vgpr3_vgpr4
                                        ; implicit-def: $vgpr7_vgpr8
	s_cbranch_vccz .LBB40_77
; %bb.56:                               ;   in Loop: Header=BB40_55 Depth=1
	s_load_dword s0, s[2:3], 0xc
	v_mov_b32_e32 v59, 0
	v_mov_b32_e32 v55, 0
	;; [unrolled: 1-line block ×4, first 2 shown]
	s_waitcnt lgkmcnt(0)
	s_and_b32 s0, s0, 0xffff
	v_mad_u32_u24 v3, v1, s0, v0
	v_and_b32_e32 v3, 63, v3
	v_mov_b32_e32 v56, 0
	v_mov_b32_e32 v58, 0
	v_cmp_gt_u32_e32 vcc, 8, v3
	s_and_saveexec_b64 s[0:1], vcc
	s_cbranch_execz .LBB40_60
; %bb.57:                               ;   in Loop: Header=BB40_55 Depth=1
	v_add_co_u32_e32 v3, vcc, v53, v3
	v_addc_co_u32_e32 v4, vcc, 0, v54, vcc
	v_cmp_gt_i64_e32 vcc, s[12:13], v[3:4]
	v_mov_b32_e32 v57, 0
	v_mov_b32_e32 v55, 0
	v_mov_b32_e32 v58, 0
	v_mov_b32_e32 v56, 0
	s_and_saveexec_b64 s[26:27], vcc
	s_cbranch_execz .LBB40_59
; %bb.58:                               ;   in Loop: Header=BB40_55 Depth=1
	v_lshlrev_b64 v[3:4], 3, v[3:4]
	v_mov_b32_e32 v6, s23
	v_add_co_u32_e32 v5, vcc, s22, v3
	v_addc_co_u32_e32 v6, vcc, v6, v4, vcc
	v_mov_b32_e32 v7, s21
	v_add_co_u32_e32 v3, vcc, s20, v3
	v_addc_co_u32_e32 v4, vcc, v7, v4, vcc
	global_load_dwordx2 v[57:58], v[3:4], off
	global_load_dwordx2 v[55:56], v[5:6], off
.LBB40_59:                              ;   in Loop: Header=BB40_55 Depth=1
	s_or_b64 exec, exec, s[26:27]
.LBB40_60:                              ;   in Loop: Header=BB40_55 Depth=1
	s_or_b64 exec, exec, s[0:1]
	v_mov_b32_e32 v3, v2
	v_mov_b32_e32 v4, v2
	;; [unrolled: 1-line block ×15, first 2 shown]
	v_cmp_gt_i64_e32 vcc, s[12:13], v[53:54]
	v_mov_b32_e32 v18, v17
	v_mov_b32_e32 v17, v16
	;; [unrolled: 1-line block ×16, first 2 shown]
	s_and_saveexec_b64 s[0:1], vcc
	s_cbranch_execz .LBB40_62
; %bb.61:                               ;   in Loop: Header=BB40_55 Depth=1
	v_add_co_u32_e32 v3, vcc, v76, v51
	v_addc_co_u32_e32 v4, vcc, v77, v52, vcc
	v_add_co_u32_e32 v5, vcc, v78, v51
	v_addc_co_u32_e32 v6, vcc, v79, v52, vcc
	global_load_dwordx2 v[3:4], v[3:4], off
	v_mov_b32_e32 v7, v2
	global_load_dwordx2 v[59:60], v[5:6], off
	v_mov_b32_e32 v5, v2
	v_mov_b32_e32 v6, v2
	;; [unrolled: 1-line block ×13, first 2 shown]
.LBB40_62:                              ;   in Loop: Header=BB40_55 Depth=1
	s_or_b64 exec, exec, s[0:1]
	v_add_co_u32_e32 v61, vcc, 1, v53
	v_addc_co_u32_e32 v62, vcc, 0, v54, vcc
	v_cmp_gt_i64_e32 vcc, s[12:13], v[61:62]
	v_mov_b32_e32 v61, 0
	v_mov_b32_e32 v63, 0
	v_mov_b32_e32 v62, 0
	v_mov_b32_e32 v64, 0
	s_and_saveexec_b64 s[0:1], vcc
	s_cbranch_execz .LBB40_64
; %bb.63:                               ;   in Loop: Header=BB40_55 Depth=1
	v_add_co_u32_e32 v5, vcc, v104, v51
	v_addc_co_u32_e32 v6, vcc, v105, v52, vcc
	v_add_co_u32_e32 v63, vcc, v106, v51
	v_addc_co_u32_e32 v64, vcc, v107, v52, vcc
	global_load_dwordx2 v[5:6], v[5:6], off
	s_nop 0
	global_load_dwordx2 v[63:64], v[63:64], off
.LBB40_64:                              ;   in Loop: Header=BB40_55 Depth=1
	s_or_b64 exec, exec, s[0:1]
	v_add_co_u32_e32 v65, vcc, 2, v53
	v_addc_co_u32_e32 v66, vcc, 0, v54, vcc
	v_cmp_gt_i64_e32 vcc, s[12:13], v[65:66]
	s_and_saveexec_b64 s[0:1], vcc
	s_cbranch_execz .LBB40_66
; %bb.65:                               ;   in Loop: Header=BB40_55 Depth=1
	v_add_co_u32_e32 v7, vcc, v100, v51
	v_addc_co_u32_e32 v8, vcc, v101, v52, vcc
	v_add_co_u32_e32 v61, vcc, v102, v51
	v_addc_co_u32_e32 v62, vcc, v103, v52, vcc
	global_load_dwordx2 v[7:8], v[7:8], off
	s_nop 0
	global_load_dwordx2 v[61:62], v[61:62], off
.LBB40_66:                              ;   in Loop: Header=BB40_55 Depth=1
	s_or_b64 exec, exec, s[0:1]
	v_add_co_u32_e32 v65, vcc, 3, v53
	v_addc_co_u32_e32 v66, vcc, 0, v54, vcc
	v_cmp_gt_i64_e32 vcc, s[12:13], v[65:66]
	v_mov_b32_e32 v65, 0
	v_mov_b32_e32 v67, 0
	v_mov_b32_e32 v66, 0
	v_mov_b32_e32 v68, 0
	s_and_saveexec_b64 s[0:1], vcc
	s_cbranch_execz .LBB40_68
; %bb.67:                               ;   in Loop: Header=BB40_55 Depth=1
	v_add_co_u32_e32 v9, vcc, v96, v51
	v_addc_co_u32_e32 v10, vcc, v97, v52, vcc
	v_add_co_u32_e32 v67, vcc, v98, v51
	v_addc_co_u32_e32 v68, vcc, v99, v52, vcc
	global_load_dwordx2 v[9:10], v[9:10], off
	s_nop 0
	global_load_dwordx2 v[67:68], v[67:68], off
.LBB40_68:                              ;   in Loop: Header=BB40_55 Depth=1
	s_or_b64 exec, exec, s[0:1]
	v_add_co_u32_e32 v69, vcc, 4, v53
	v_addc_co_u32_e32 v70, vcc, 0, v54, vcc
	v_cmp_gt_i64_e32 vcc, s[12:13], v[69:70]
	s_and_saveexec_b64 s[0:1], vcc
	s_cbranch_execz .LBB40_70
; %bb.69:                               ;   in Loop: Header=BB40_55 Depth=1
	v_add_co_u32_e32 v11, vcc, v92, v51
	v_addc_co_u32_e32 v12, vcc, v93, v52, vcc
	v_add_co_u32_e32 v65, vcc, v94, v51
	v_addc_co_u32_e32 v66, vcc, v95, v52, vcc
	global_load_dwordx2 v[11:12], v[11:12], off
	s_nop 0
	global_load_dwordx2 v[65:66], v[65:66], off
.LBB40_70:                              ;   in Loop: Header=BB40_55 Depth=1
	;; [unrolled: 34-line block ×3, first 2 shown]
	s_or_b64 exec, exec, s[0:1]
	v_add_co_u32_e32 v73, vcc, 7, v53
	v_addc_co_u32_e32 v74, vcc, 0, v54, vcc
	v_cmp_gt_i64_e32 vcc, s[12:13], v[73:74]
	v_mov_b32_e32 v73, 0
	v_mov_b32_e32 v74, 0
	s_and_saveexec_b64 s[0:1], vcc
	s_cbranch_execz .LBB40_76
; %bb.75:                               ;   in Loop: Header=BB40_55 Depth=1
	v_add_co_u32_e32 v17, vcc, v80, v51
	v_addc_co_u32_e32 v18, vcc, v81, v52, vcc
	v_add_co_u32_e32 v73, vcc, v82, v51
	v_addc_co_u32_e32 v74, vcc, v83, v52, vcc
	global_load_dwordx2 v[17:18], v[17:18], off
	s_nop 0
	global_load_dwordx2 v[73:74], v[73:74], off
.LBB40_76:                              ;   in Loop: Header=BB40_55 Depth=1
	s_or_b64 exec, exec, s[0:1]
	s_waitcnt vmcnt(1)
	ds_bpermute_b32 v110, v108, v57
	ds_bpermute_b32 v111, v108, v58
	s_waitcnt vmcnt(0)
	ds_bpermute_b32 v112, v108, v55
	ds_bpermute_b32 v114, v108, v57 offset:8
	ds_bpermute_b32 v115, v108, v58 offset:8
	ds_bpermute_b32 v113, v108, v56
	s_waitcnt lgkmcnt(4)
	v_add_f64 v[59:60], v[59:60], -v[110:111]
	ds_bpermute_b32 v110, v108, v57 offset:4
	ds_bpermute_b32 v111, v108, v58 offset:4
	s_waitcnt lgkmcnt(3)
	v_add_f64 v[61:62], v[61:62], -v[114:115]
	ds_bpermute_b32 v114, v108, v57 offset:16
	ds_bpermute_b32 v115, v108, v58 offset:16
	s_mov_b64 s[0:1], 0
	s_waitcnt lgkmcnt(2)
	v_add_f64 v[63:64], v[63:64], -v[110:111]
	v_mul_f64 v[59:60], v[3:4], v[59:60]
	v_add_f64 v[3:4], v[21:22], v[3:4]
	ds_bpermute_b32 v110, v108, v57 offset:12
	ds_bpermute_b32 v111, v108, v58 offset:12
	s_waitcnt lgkmcnt(2)
	v_add_f64 v[65:66], v[65:66], -v[114:115]
	v_mul_f64 v[63:64], v[5:6], v[63:64]
	v_fma_f64 v[59:60], v[59:60], v[112:113], v[19:20]
	ds_bpermute_b32 v112, v108, v55 offset:4
	ds_bpermute_b32 v113, v108, v56 offset:4
	s_waitcnt lgkmcnt(2)
	v_add_f64 v[67:68], v[67:68], -v[110:111]
	v_add_f64 v[3:4], v[5:6], v[3:4]
	v_mul_f64 v[5:6], v[7:8], v[61:62]
	ds_bpermute_b32 v61, v108, v55 offset:8
	ds_bpermute_b32 v62, v108, v56 offset:8
	s_waitcnt lgkmcnt(2)
	v_fma_f64 v[59:60], v[63:64], v[112:113], v[59:60]
	ds_bpermute_b32 v63, v108, v57 offset:20
	ds_bpermute_b32 v64, v108, v58 offset:20
	v_mul_f64 v[67:68], v[9:10], v[67:68]
	v_add_f64 v[3:4], v[7:8], v[3:4]
	ds_bpermute_b32 v7, v108, v55 offset:12
	ds_bpermute_b32 v8, v108, v56 offset:12
	s_waitcnt lgkmcnt(4)
	v_fma_f64 v[5:6], v[5:6], v[61:62], v[59:60]
	s_waitcnt lgkmcnt(2)
	v_add_f64 v[61:62], v[71:72], -v[63:64]
	v_mul_f64 v[63:64], v[11:12], v[65:66]
	ds_bpermute_b32 v59, v108, v57 offset:24
	v_add_f64 v[3:4], v[9:10], v[3:4]
	ds_bpermute_b32 v60, v108, v58 offset:24
	ds_bpermute_b32 v9, v108, v57 offset:28
	;; [unrolled: 1-line block ×3, first 2 shown]
	s_waitcnt lgkmcnt(4)
	v_fma_f64 v[5:6], v[67:68], v[7:8], v[5:6]
	ds_bpermute_b32 v7, v108, v55 offset:16
	ds_bpermute_b32 v8, v108, v56 offset:16
	s_waitcnt lgkmcnt(4)
	v_add_f64 v[57:58], v[69:70], -v[59:60]
	v_mul_f64 v[59:60], v[13:14], v[61:62]
	v_add_f64 v[3:4], v[11:12], v[3:4]
	ds_bpermute_b32 v11, v108, v55 offset:24
	ds_bpermute_b32 v12, v108, v56 offset:24
	s_waitcnt lgkmcnt(2)
	v_fma_f64 v[5:6], v[63:64], v[7:8], v[5:6]
	v_add_f64 v[7:8], v[73:74], -v[9:10]
	ds_bpermute_b32 v9, v108, v55 offset:20
	ds_bpermute_b32 v10, v108, v56 offset:20
	v_mul_f64 v[57:58], v[15:16], v[57:58]
	v_add_f64 v[3:4], v[13:14], v[3:4]
	ds_bpermute_b32 v13, v108, v55 offset:28
	ds_bpermute_b32 v14, v108, v56 offset:28
	s_waitcnt lgkmcnt(2)
	v_fma_f64 v[5:6], v[59:60], v[9:10], v[5:6]
	v_mul_f64 v[9:10], v[17:18], v[7:8]
	v_add_f64 v[3:4], v[15:16], v[3:4]
	v_fma_f64 v[7:8], v[57:58], v[11:12], v[5:6]
	s_waitcnt lgkmcnt(0)
	v_mul_f64 v[5:6], v[9:10], v[13:14]
.LBB40_77:                              ;   in Loop: Header=BB40_55 Depth=1
	s_and_b64 vcc, exec, s[0:1]
	s_cbranch_vccz .LBB40_54
; %bb.78:                               ;   in Loop: Header=BB40_55 Depth=1
	s_load_dword s0, s[2:3], 0x0
	v_mov_b32_e32 v3, 0
	v_mov_b32_e32 v4, 0
	s_waitcnt lgkmcnt(0)
	s_cmp_lt_u32 s6, s0
	s_cselect_b32 s0, 12, 18
	s_add_u32 s0, s2, s0
	s_addc_u32 s1, s3, 0
	global_load_ushort v5, v2, s[0:1]
	s_waitcnt vmcnt(0)
	v_mad_u32_u24 v5, v1, v5, v0
	v_and_b32_e32 v7, 63, v5
	v_mov_b32_e32 v5, 0
	v_mov_b32_e32 v6, 0
	v_cmp_gt_u32_e32 vcc, 8, v7
	s_and_saveexec_b64 s[0:1], vcc
	s_cbranch_execz .LBB40_53
; %bb.79:                               ;   in Loop: Header=BB40_55 Depth=1
	v_add_co_u32_e32 v7, vcc, v53, v7
	v_addc_co_u32_e32 v8, vcc, 0, v54, vcc
	v_cmp_gt_i64_e32 vcc, s[12:13], v[7:8]
	v_mov_b32_e32 v5, 0
	v_mov_b32_e32 v3, 0
	;; [unrolled: 1-line block ×4, first 2 shown]
	s_and_saveexec_b64 s[26:27], vcc
	s_cbranch_execz .LBB40_52
; %bb.80:                               ;   in Loop: Header=BB40_55 Depth=1
	v_lshlrev_b64 v[3:4], 3, v[7:8]
	v_mov_b32_e32 v5, s23
	v_add_co_u32_e32 v7, vcc, s22, v3
	v_addc_co_u32_e32 v8, vcc, v5, v4, vcc
	v_mov_b32_e32 v5, s21
	v_add_co_u32_e32 v9, vcc, s20, v3
	v_addc_co_u32_e32 v10, vcc, v5, v4, vcc
	global_load_dwordx2 v[5:6], v[9:10], off
	global_load_dwordx2 v[3:4], v[7:8], off
	s_branch .LBB40_52
.LBB40_81:
	s_mov_b32 s7, 0
	s_lshl_b64 s[0:1], s[6:7], 5
	v_or_b32_e32 v4, s0, v0
	v_mov_b32_e32 v5, s1
	v_cmp_gt_i64_e32 vcc, s[14:15], v[4:5]
	s_and_saveexec_b64 s[0:1], vcc
	s_cbranch_execz .LBB40_86
; %bb.82:
	s_load_dword s0, s[4:5], 0x4c
	v_mov_b32_e32 v2, 0
	v_mov_b32_e32 v0, s8
	s_waitcnt lgkmcnt(0)
	s_lshr_b32 s0, s0, 16
	v_mad_u64_u32 v[2:3], s[0:1], s0, v0, v[1:2]
	s_load_dwordx4 s[0:3], s[4:5], 0x30
	v_lshlrev_b64 v[0:1], 3, v[4:5]
	v_mul_lo_u32 v3, v3, s14
	v_mul_lo_u32 v6, v2, s15
	s_waitcnt lgkmcnt(0)
	s_cmp_eq_u64 s[0:1], 0
	s_cbranch_scc1 .LBB40_84
; %bb.83:
	v_mad_u64_u32 v[4:5], s[4:5], v2, s14, 0
	v_mov_b32_e32 v7, s1
	v_add3_u32 v5, v5, v6, v3
	v_lshlrev_b64 v[4:5], 3, v[4:5]
	v_add_co_u32_e32 v4, vcc, s0, v4
	v_addc_co_u32_e32 v5, vcc, v7, v5, vcc
	v_add_co_u32_e32 v4, vcc, v4, v0
	v_addc_co_u32_e32 v5, vcc, v5, v1, vcc
	global_store_dwordx2 v[4:5], v[19:20], off
.LBB40_84:
	s_cmp_eq_u64 s[2:3], 0
	s_cbranch_scc1 .LBB40_86
; %bb.85:
	v_mad_u64_u32 v[4:5], s[0:1], v2, s14, 0
	v_mov_b32_e32 v7, s3
	v_add3_u32 v5, v5, v6, v3
	v_lshlrev_b64 v[2:3], 3, v[4:5]
	v_add_co_u32_e32 v2, vcc, s2, v2
	v_addc_co_u32_e32 v3, vcc, v7, v3, vcc
	v_add_co_u32_e32 v0, vcc, v2, v0
	v_addc_co_u32_e32 v1, vcc, v3, v1, vcc
	global_store_dwordx2 v[0:1], v[21:22], off
.LBB40_86:
	s_endpgm
	.section	.rodata,"a",@progbits
	.p2align	6, 0x0
	.amdhsa_kernel _ZN2at6native12_GLOBAL__N_135GammaBetaBackwardCUDAKernelTemplateIddLj32ELj1ELj8ELb1ELb0ELb0EEEvllPKT_S5_PKT0_S8_PS3_S9_
		.amdhsa_group_segment_fixed_size 0
		.amdhsa_private_segment_fixed_size 0
		.amdhsa_kernarg_size 320
		.amdhsa_user_sgpr_count 6
		.amdhsa_user_sgpr_private_segment_buffer 1
		.amdhsa_user_sgpr_dispatch_ptr 0
		.amdhsa_user_sgpr_queue_ptr 0
		.amdhsa_user_sgpr_kernarg_segment_ptr 1
		.amdhsa_user_sgpr_dispatch_id 0
		.amdhsa_user_sgpr_flat_scratch_init 0
		.amdhsa_user_sgpr_private_segment_size 0
		.amdhsa_uses_dynamic_stack 0
		.amdhsa_system_sgpr_private_segment_wavefront_offset 0
		.amdhsa_system_sgpr_workgroup_id_x 1
		.amdhsa_system_sgpr_workgroup_id_y 1
		.amdhsa_system_sgpr_workgroup_id_z 0
		.amdhsa_system_sgpr_workgroup_info 0
		.amdhsa_system_vgpr_workitem_id 1
		.amdhsa_next_free_vgpr 116
		.amdhsa_next_free_sgpr 38
		.amdhsa_reserve_vcc 1
		.amdhsa_reserve_flat_scratch 0
		.amdhsa_float_round_mode_32 0
		.amdhsa_float_round_mode_16_64 0
		.amdhsa_float_denorm_mode_32 3
		.amdhsa_float_denorm_mode_16_64 3
		.amdhsa_dx10_clamp 1
		.amdhsa_ieee_mode 1
		.amdhsa_fp16_overflow 0
		.amdhsa_exception_fp_ieee_invalid_op 0
		.amdhsa_exception_fp_denorm_src 0
		.amdhsa_exception_fp_ieee_div_zero 0
		.amdhsa_exception_fp_ieee_overflow 0
		.amdhsa_exception_fp_ieee_underflow 0
		.amdhsa_exception_fp_ieee_inexact 0
		.amdhsa_exception_int_div_zero 0
	.end_amdhsa_kernel
	.section	.text._ZN2at6native12_GLOBAL__N_135GammaBetaBackwardCUDAKernelTemplateIddLj32ELj1ELj8ELb1ELb0ELb0EEEvllPKT_S5_PKT0_S8_PS3_S9_,"axG",@progbits,_ZN2at6native12_GLOBAL__N_135GammaBetaBackwardCUDAKernelTemplateIddLj32ELj1ELj8ELb1ELb0ELb0EEEvllPKT_S5_PKT0_S8_PS3_S9_,comdat
.Lfunc_end40:
	.size	_ZN2at6native12_GLOBAL__N_135GammaBetaBackwardCUDAKernelTemplateIddLj32ELj1ELj8ELb1ELb0ELb0EEEvllPKT_S5_PKT0_S8_PS3_S9_, .Lfunc_end40-_ZN2at6native12_GLOBAL__N_135GammaBetaBackwardCUDAKernelTemplateIddLj32ELj1ELj8ELb1ELb0ELb0EEEvllPKT_S5_PKT0_S8_PS3_S9_
                                        ; -- End function
	.set _ZN2at6native12_GLOBAL__N_135GammaBetaBackwardCUDAKernelTemplateIddLj32ELj1ELj8ELb1ELb0ELb0EEEvllPKT_S5_PKT0_S8_PS3_S9_.num_vgpr, 116
	.set _ZN2at6native12_GLOBAL__N_135GammaBetaBackwardCUDAKernelTemplateIddLj32ELj1ELj8ELb1ELb0ELb0EEEvllPKT_S5_PKT0_S8_PS3_S9_.num_agpr, 0
	.set _ZN2at6native12_GLOBAL__N_135GammaBetaBackwardCUDAKernelTemplateIddLj32ELj1ELj8ELb1ELb0ELb0EEEvllPKT_S5_PKT0_S8_PS3_S9_.numbered_sgpr, 38
	.set _ZN2at6native12_GLOBAL__N_135GammaBetaBackwardCUDAKernelTemplateIddLj32ELj1ELj8ELb1ELb0ELb0EEEvllPKT_S5_PKT0_S8_PS3_S9_.num_named_barrier, 0
	.set _ZN2at6native12_GLOBAL__N_135GammaBetaBackwardCUDAKernelTemplateIddLj32ELj1ELj8ELb1ELb0ELb0EEEvllPKT_S5_PKT0_S8_PS3_S9_.private_seg_size, 0
	.set _ZN2at6native12_GLOBAL__N_135GammaBetaBackwardCUDAKernelTemplateIddLj32ELj1ELj8ELb1ELb0ELb0EEEvllPKT_S5_PKT0_S8_PS3_S9_.uses_vcc, 1
	.set _ZN2at6native12_GLOBAL__N_135GammaBetaBackwardCUDAKernelTemplateIddLj32ELj1ELj8ELb1ELb0ELb0EEEvllPKT_S5_PKT0_S8_PS3_S9_.uses_flat_scratch, 0
	.set _ZN2at6native12_GLOBAL__N_135GammaBetaBackwardCUDAKernelTemplateIddLj32ELj1ELj8ELb1ELb0ELb0EEEvllPKT_S5_PKT0_S8_PS3_S9_.has_dyn_sized_stack, 0
	.set _ZN2at6native12_GLOBAL__N_135GammaBetaBackwardCUDAKernelTemplateIddLj32ELj1ELj8ELb1ELb0ELb0EEEvllPKT_S5_PKT0_S8_PS3_S9_.has_recursion, 0
	.set _ZN2at6native12_GLOBAL__N_135GammaBetaBackwardCUDAKernelTemplateIddLj32ELj1ELj8ELb1ELb0ELb0EEEvllPKT_S5_PKT0_S8_PS3_S9_.has_indirect_call, 0
	.section	.AMDGPU.csdata,"",@progbits
; Kernel info:
; codeLenInByte = 7980
; TotalNumSgprs: 42
; NumVgprs: 116
; ScratchSize: 0
; MemoryBound: 0
; FloatMode: 240
; IeeeMode: 1
; LDSByteSize: 0 bytes/workgroup (compile time only)
; SGPRBlocks: 5
; VGPRBlocks: 28
; NumSGPRsForWavesPerEU: 42
; NumVGPRsForWavesPerEU: 116
; Occupancy: 2
; WaveLimiterHint : 0
; COMPUTE_PGM_RSRC2:SCRATCH_EN: 0
; COMPUTE_PGM_RSRC2:USER_SGPR: 6
; COMPUTE_PGM_RSRC2:TRAP_HANDLER: 0
; COMPUTE_PGM_RSRC2:TGID_X_EN: 1
; COMPUTE_PGM_RSRC2:TGID_Y_EN: 1
; COMPUTE_PGM_RSRC2:TGID_Z_EN: 0
; COMPUTE_PGM_RSRC2:TIDIG_COMP_CNT: 1
	.section	.text._ZN2at6native12_GLOBAL__N_135GammaBetaBackwardCUDAKernelTemplateIddLj32ELj8ELj64ELb0ELb1ELb0EEEvllPKT_S5_PKT0_S8_PS3_S9_,"axG",@progbits,_ZN2at6native12_GLOBAL__N_135GammaBetaBackwardCUDAKernelTemplateIddLj32ELj8ELj64ELb0ELb1ELb0EEEvllPKT_S5_PKT0_S8_PS3_S9_,comdat
	.globl	_ZN2at6native12_GLOBAL__N_135GammaBetaBackwardCUDAKernelTemplateIddLj32ELj8ELj64ELb0ELb1ELb0EEEvllPKT_S5_PKT0_S8_PS3_S9_ ; -- Begin function _ZN2at6native12_GLOBAL__N_135GammaBetaBackwardCUDAKernelTemplateIddLj32ELj8ELj64ELb0ELb1ELb0EEEvllPKT_S5_PKT0_S8_PS3_S9_
	.p2align	8
	.type	_ZN2at6native12_GLOBAL__N_135GammaBetaBackwardCUDAKernelTemplateIddLj32ELj8ELj64ELb0ELb1ELb0EEEvllPKT_S5_PKT0_S8_PS3_S9_,@function
_ZN2at6native12_GLOBAL__N_135GammaBetaBackwardCUDAKernelTemplateIddLj32ELj8ELj64ELb0ELb1ELb0EEEvllPKT_S5_PKT0_S8_PS3_S9_: ; @_ZN2at6native12_GLOBAL__N_135GammaBetaBackwardCUDAKernelTemplateIddLj32ELj8ELj64ELb0ELb1ELb0EEEvllPKT_S5_PKT0_S8_PS3_S9_
; %bb.0:
	s_load_dwordx4 s[20:23], s[4:5], 0x0
	s_lshl_b32 s24, s7, 6
	s_mov_b32 s25, 0
	v_mov_b32_e32 v2, s24
	v_mov_b32_e32 v3, s25
	s_waitcnt lgkmcnt(0)
	v_cmp_gt_i64_e32 vcc, s[20:21], v[2:3]
	s_cbranch_vccnz .LBB41_2
; %bb.1:
	s_mov_b64 s[0:1], 0
	s_branch .LBB41_3
.LBB41_2:
	s_mov_b64 s[0:1], -1
.LBB41_3:
	s_load_dwordx4 s[16:19], s[4:5], 0x30
	v_mov_b32_e32 v8, 0
	v_mov_b32_e32 v12, 0
	;; [unrolled: 1-line block ×3, first 2 shown]
	s_andn2_b64 vcc, exec, s[0:1]
	v_mov_b32_e32 v13, 0
	v_mbcnt_lo_u32_b32 v14, -1, 0
	s_cbranch_vccnz .LBB41_10
; %bb.4:
	s_load_dword s0, s[4:5], 0x4c
	s_load_dword s2, s[4:5], 0x44
	s_load_dwordx8 s[8:15], s[4:5], 0x10
	v_lshlrev_b32_e32 v2, 3, v1
	v_mbcnt_hi_u32_b32 v4, -1, v14
	v_lshlrev_b32_e32 v4, 2, v4
	v_add_co_u32_e32 v2, vcc, s24, v2
	v_and_b32_e32 v15, 0x100, v4
	s_waitcnt lgkmcnt(0)
	s_lshl_b32 s4, s2, 6
	v_addc_co_u32_e64 v4, s[2:3], 0, 0, vcc
	v_mul_lo_u32 v10, s23, v2
	v_mul_lo_u32 v11, s22, v4
	v_mad_u64_u32 v[8:9], s[2:3], s22, v2, 0
	s_and_b32 s0, s0, 0xffff
	v_mad_u32_u24 v3, v1, s0, v0
	v_and_b32_e32 v3, 63, v3
	v_mov_b32_e32 v7, 0
	v_lshl_add_u32 v6, s6, 5, v0
	v_add3_u32 v9, v9, v11, v10
	v_add_co_u32_e32 v2, vcc, v2, v3
	v_lshlrev_b64 v[8:9], 3, v[8:9]
	v_lshlrev_b64 v[6:7], 3, v[6:7]
	v_cmp_gt_u32_e64 s[0:1], 8, v3
	v_addc_co_u32_e32 v3, vcc, 0, v4, vcc
	v_add_co_u32_e32 v22, vcc, v8, v6
	s_mul_i32 s2, s23, s4
	s_mul_hi_u32 s3, s22, s4
	s_mov_b32 s5, 0
	v_lshlrev_b64 v[4:5], 3, v[2:3]
	v_addc_co_u32_e32 v23, vcc, v9, v7, vcc
	s_add_i32 s3, s3, s2
	s_mul_i32 s2, s22, s4
	v_mov_b32_e32 v12, 0
	v_mov_b32_e32 v8, 0
	v_or_b32_e32 v16, 4, v15
	v_or_b32_e32 v17, 8, v15
	;; [unrolled: 1-line block ×6, first 2 shown]
	s_lshl_b64 s[26:27], s[4:5], 3
	s_lshl_b64 s[28:29], s[2:3], 3
	;; [unrolled: 1-line block ×3, first 2 shown]
	v_mov_b32_e32 v13, 0
	v_mov_b32_e32 v9, 0
	v_or_b32_e32 v24, 28, v15
	s_branch .LBB41_7
.LBB41_5:                               ;   in Loop: Header=BB41_7 Depth=1
	s_or_b64 exec, exec, s[30:31]
.LBB41_6:                               ;   in Loop: Header=BB41_7 Depth=1
	s_or_b64 exec, exec, s[2:3]
	v_mov_b32_e32 v26, s11
	v_add_co_u32_e32 v25, vcc, s10, v22
	v_addc_co_u32_e32 v26, vcc, v26, v23, vcc
	global_load_dwordx2 v[27:28], v[25:26], off
	v_mov_b32_e32 v30, s9
	v_add_co_u32_e32 v29, vcc, s8, v22
	v_mov_b32_e32 v43, s23
	v_add_co_u32_e64 v25, s[2:3], s22, v25
	v_addc_co_u32_e64 v26, s[2:3], v26, v43, s[2:3]
	v_addc_co_u32_e32 v30, vcc, v30, v23, vcc
	global_load_dwordx2 v[31:32], v[25:26], off
	global_load_dwordx2 v[33:34], v[29:30], off
	v_add_co_u32_e32 v29, vcc, s22, v29
	v_addc_co_u32_e32 v30, vcc, v30, v43, vcc
	global_load_dwordx2 v[35:36], v[29:30], off
	s_waitcnt vmcnt(5)
	ds_bpermute_b32 v37, v15, v10
	ds_bpermute_b32 v38, v15, v11
	v_add_co_u32_e32 v29, vcc, s22, v29
	v_addc_co_u32_e32 v30, vcc, v30, v43, vcc
	v_add_co_u32_e32 v25, vcc, s22, v25
	v_addc_co_u32_e32 v26, vcc, v26, v43, vcc
	s_waitcnt vmcnt(4)
	ds_bpermute_b32 v39, v18, v6
	ds_bpermute_b32 v40, v18, v7
	ds_bpermute_b32 v41, v19, v6
	ds_bpermute_b32 v42, v19, v7
	s_add_u32 s24, s24, s4
	s_addc_u32 s25, s25, 0
	v_add_co_u32_e64 v22, s[2:3], s28, v22
	s_waitcnt vmcnt(3) lgkmcnt(4)
	v_add_f64 v[27:28], v[27:28], -v[37:38]
	ds_bpermute_b32 v37, v16, v10
	ds_bpermute_b32 v38, v16, v11
	s_waitcnt vmcnt(2) lgkmcnt(0)
	v_add_f64 v[31:32], v[31:32], -v[37:38]
	s_waitcnt vmcnt(1)
	v_mul_f64 v[27:28], v[33:34], v[27:28]
	ds_bpermute_b32 v37, v15, v6
	ds_bpermute_b32 v38, v15, v7
	v_add_f64 v[8:9], v[8:9], v[33:34]
	s_waitcnt vmcnt(0)
	v_mul_f64 v[31:32], v[35:36], v[31:32]
	s_waitcnt lgkmcnt(0)
	v_fma_f64 v[12:13], v[27:28], v[37:38], v[12:13]
	global_load_dwordx2 v[27:28], v[25:26], off
	ds_bpermute_b32 v37, v16, v6
	ds_bpermute_b32 v38, v16, v7
	v_add_co_u32_e32 v25, vcc, s22, v25
	v_addc_co_u32_e32 v26, vcc, v26, v43, vcc
	s_waitcnt lgkmcnt(0)
	v_fma_f64 v[12:13], v[31:32], v[37:38], v[12:13]
	global_load_dwordx2 v[31:32], v[29:30], off
	ds_bpermute_b32 v37, v17, v10
	ds_bpermute_b32 v38, v17, v11
	v_add_co_u32_e32 v29, vcc, s22, v29
	v_addc_co_u32_e32 v30, vcc, v30, v43, vcc
	v_add_f64 v[8:9], v[8:9], v[35:36]
	s_waitcnt vmcnt(1) lgkmcnt(0)
	v_add_f64 v[27:28], v[27:28], -v[37:38]
	ds_bpermute_b32 v37, v17, v6
	ds_bpermute_b32 v38, v17, v7
	s_waitcnt vmcnt(0)
	v_mul_f64 v[27:28], v[31:32], v[27:28]
	v_add_f64 v[8:9], v[8:9], v[31:32]
	s_waitcnt lgkmcnt(0)
	v_fma_f64 v[12:13], v[27:28], v[37:38], v[12:13]
	global_load_dwordx2 v[27:28], v[25:26], off
	ds_bpermute_b32 v37, v18, v10
	ds_bpermute_b32 v38, v18, v11
	s_waitcnt vmcnt(0) lgkmcnt(0)
	v_add_f64 v[27:28], v[27:28], -v[37:38]
	global_load_dwordx2 v[37:38], v[29:30], off
	s_waitcnt vmcnt(0)
	v_mul_f64 v[27:28], v[37:38], v[27:28]
	v_add_f64 v[8:9], v[8:9], v[37:38]
	v_fma_f64 v[12:13], v[27:28], v[39:40], v[12:13]
	v_add_co_u32_e32 v27, vcc, s22, v29
	v_addc_co_u32_e32 v28, vcc, v30, v43, vcc
	v_add_co_u32_e32 v25, vcc, s22, v25
	v_addc_co_u32_e32 v26, vcc, v26, v43, vcc
	global_load_dwordx2 v[39:40], v[25:26], off
	ds_bpermute_b32 v29, v19, v10
	ds_bpermute_b32 v30, v19, v11
	s_waitcnt vmcnt(0) lgkmcnt(0)
	v_add_f64 v[29:30], v[39:40], -v[29:30]
	global_load_dwordx2 v[39:40], v[27:28], off
	v_add_co_u32_e32 v27, vcc, s22, v27
	v_addc_co_u32_e32 v28, vcc, v28, v43, vcc
	v_add_co_u32_e32 v25, vcc, s22, v25
	v_addc_co_u32_e32 v26, vcc, v26, v43, vcc
	;; [unrolled: 2-line block ×3, first 2 shown]
	global_load_dwordx2 v[25:26], v[25:26], off
	s_waitcnt vmcnt(1)
	v_mul_f64 v[29:30], v[39:40], v[29:30]
	global_load_dwordx2 v[31:32], v[33:34], off
	v_add_f64 v[8:9], v[8:9], v[39:40]
	v_fma_f64 v[12:13], v[29:30], v[41:42], v[12:13]
	ds_bpermute_b32 v29, v20, v10
	ds_bpermute_b32 v30, v20, v11
	;; [unrolled: 1-line block ×6, first 2 shown]
	s_waitcnt vmcnt(1) lgkmcnt(4)
	v_add_f64 v[25:26], v[25:26], -v[29:30]
	v_add_co_u32_e32 v29, vcc, s22, v33
	v_addc_co_u32_e32 v30, vcc, v34, v43, vcc
	v_add_co_u32_e32 v33, vcc, s22, v27
	v_addc_co_u32_e32 v34, vcc, v28, v43, vcc
	global_load_dwordx2 v[27:28], v[27:28], off
	v_add_co_u32_e32 v35, vcc, s22, v33
	v_addc_co_u32_e32 v36, vcc, v34, v43, vcc
	v_add_co_u32_e32 v4, vcc, s26, v4
	s_waitcnt vmcnt(1) lgkmcnt(2)
	v_add_f64 v[31:32], v[31:32], -v[41:42]
	global_load_dwordx2 v[37:38], v[29:30], off
	global_load_dwordx2 v[41:42], v[33:34], off
	;; [unrolled: 1-line block ×3, first 2 shown]
	ds_bpermute_b32 v29, v20, v6
	ds_bpermute_b32 v30, v20, v7
	s_waitcnt vmcnt(3)
	v_mul_f64 v[25:26], v[27:28], v[25:26]
	v_add_f64 v[8:9], v[8:9], v[27:28]
	v_mov_b32_e32 v27, s27
	v_addc_co_u32_e32 v5, vcc, v5, v27, vcc
	v_add_co_u32_e32 v2, vcc, s4, v2
	v_addc_co_u32_e32 v3, vcc, 0, v3, vcc
	s_waitcnt lgkmcnt(0)
	v_fma_f64 v[12:13], v[25:26], v[29:30], v[12:13]
	ds_bpermute_b32 v25, v21, v6
	ds_bpermute_b32 v26, v21, v7
	;; [unrolled: 1-line block ×4, first 2 shown]
	s_waitcnt vmcnt(2)
	v_add_f64 v[10:11], v[37:38], -v[10:11]
	s_waitcnt vmcnt(1)
	v_mul_f64 v[31:32], v[41:42], v[31:32]
	v_add_f64 v[8:9], v[8:9], v[41:42]
	s_waitcnt vmcnt(0)
	v_mul_f64 v[10:11], v[43:44], v[10:11]
	s_waitcnt lgkmcnt(2)
	v_fma_f64 v[12:13], v[31:32], v[25:26], v[12:13]
	v_add_f64 v[8:9], v[8:9], v[43:44]
	s_waitcnt lgkmcnt(0)
	v_fma_f64 v[12:13], v[10:11], v[6:7], v[12:13]
	v_mov_b32_e32 v6, s20
	v_mov_b32_e32 v7, s21
	v_cmp_lt_i64_e32 vcc, s[24:25], v[6:7]
	v_mov_b32_e32 v10, s29
	v_addc_co_u32_e64 v23, s[2:3], v23, v10, s[2:3]
	s_cbranch_vccz .LBB41_10
.LBB41_7:                               ; =>This Inner Loop Header: Depth=1
	v_mov_b32_e32 v6, 0
	v_mov_b32_e32 v10, 0
	;; [unrolled: 1-line block ×4, first 2 shown]
	s_and_saveexec_b64 s[2:3], s[0:1]
	s_cbranch_execz .LBB41_6
; %bb.8:                                ;   in Loop: Header=BB41_7 Depth=1
	v_cmp_gt_i64_e32 vcc, s[20:21], v[2:3]
	v_mov_b32_e32 v10, 0
	v_mov_b32_e32 v6, 0
	;; [unrolled: 1-line block ×4, first 2 shown]
	s_and_saveexec_b64 s[30:31], vcc
	s_cbranch_execz .LBB41_5
; %bb.9:                                ;   in Loop: Header=BB41_7 Depth=1
	v_mov_b32_e32 v6, s15
	v_add_co_u32_e32 v25, vcc, s14, v4
	v_addc_co_u32_e32 v26, vcc, v6, v5, vcc
	v_mov_b32_e32 v6, s13
	v_add_co_u32_e32 v27, vcc, s12, v4
	v_addc_co_u32_e32 v28, vcc, v6, v5, vcc
	global_load_dwordx2 v[10:11], v[27:28], off
	global_load_dwordx2 v[6:7], v[25:26], off
	s_branch .LBB41_5
.LBB41_10:
	v_mad_u32_u24 v2, v1, 33, v0
	v_lshl_add_u32 v3, v2, 3, 0
	ds_write_b64 v3, v[12:13]
	ds_write_b64 v3, v[8:9] offset:2112
	v_sub_u32_e32 v9, v2, v1
	s_movk_i32 s0, 0x800
	v_cmp_gt_u32_e32 vcc, s0, v9
	s_waitcnt lgkmcnt(0)
	s_barrier
	s_and_saveexec_b64 s[0:1], vcc
	s_cbranch_execz .LBB41_74
; %bb.11:
	v_and_b32_e32 v1, 63, v9
	v_lshrrev_b32_e32 v8, 6, v9
	v_cmp_gt_u32_e64 s[0:1], 8, v1
	v_mul_u32_u24_e32 v7, 33, v1
                                        ; implicit-def: $vgpr1_vgpr2
                                        ; implicit-def: $vgpr3_vgpr4
	s_and_saveexec_b64 s[2:3], s[0:1]
	s_cbranch_execz .LBB41_13
; %bb.12:
	v_add_u32_e32 v1, v8, v7
	v_lshl_add_u32 v1, v1, 3, 0
	ds_read_b64 v[3:4], v1
	ds_read_b64 v[1:2], v1 offset:2112
.LBB41_13:
	s_or_b64 exec, exec, s[2:3]
	v_mbcnt_hi_u32_b32 v14, -1, v14
	v_and_b32_e32 v5, 64, v14
	v_add_u32_e32 v15, 64, v5
	v_xor_b32_e32 v5, 4, v14
	v_cmp_lt_i32_e32 vcc, v5, v15
	v_cndmask_b32_e32 v5, v14, v5, vcc
	v_lshlrev_b32_e32 v10, 2, v5
	s_waitcnt lgkmcnt(1)
	ds_bpermute_b32 v5, v10, v3
	ds_bpermute_b32 v6, v10, v4
	s_waitcnt lgkmcnt(2)
	ds_bpermute_b32 v11, v10, v1
	ds_bpermute_b32 v12, v10, v2
	s_mov_b32 s7, 0
	s_lshl_b64 s[4:5], s[6:7], 5
	s_waitcnt lgkmcnt(2)
	v_add_f64 v[3:4], v[3:4], v[5:6]
	v_xor_b32_e32 v5, 2, v14
	s_waitcnt lgkmcnt(0)
	v_add_f64 v[1:2], v[1:2], v[11:12]
	v_cmp_lt_i32_e32 vcc, v5, v15
	v_cndmask_b32_e32 v5, v14, v5, vcc
	v_lshlrev_b32_e32 v11, 2, v5
	s_cmp_lg_u64 s[16:17], 0
	s_cselect_b64 s[8:9], -1, 0
	ds_bpermute_b32 v5, v11, v3
	ds_bpermute_b32 v6, v11, v4
	;; [unrolled: 1-line block ×4, first 2 shown]
	s_cmp_lg_u64 s[18:19], 0
	v_cmp_eq_u32_e64 s[2:3], 0, v0
	s_waitcnt lgkmcnt(2)
	v_add_f64 v[3:4], v[3:4], v[5:6]
	s_cselect_b64 s[6:7], -1, 0
	s_waitcnt lgkmcnt(0)
	v_add_f64 v[5:6], v[1:2], v[12:13]
	v_xor_b32_e32 v1, 1, v14
	v_cmp_lt_i32_e32 vcc, v1, v15
	v_cndmask_b32_e32 v1, v14, v1, vcc
	v_lshlrev_b32_e32 v12, 2, v1
	ds_bpermute_b32 v1, v12, v3
	ds_bpermute_b32 v2, v12, v4
	ds_bpermute_b32 v13, v12, v5
	ds_bpermute_b32 v14, v12, v6
	s_waitcnt lgkmcnt(2)
	v_add_f64 v[1:2], v[3:4], v[1:2]
	s_waitcnt lgkmcnt(0)
	v_add_f64 v[3:4], v[5:6], v[13:14]
	s_and_saveexec_b64 s[10:11], s[2:3]
	s_cbranch_execz .LBB41_18
; %bb.14:
	v_mov_b32_e32 v6, s5
	v_or_b32_e32 v5, s4, v8
	v_lshlrev_b64 v[5:6], 3, v[5:6]
	s_andn2_b64 vcc, exec, s[8:9]
	s_cbranch_vccnz .LBB41_16
; %bb.15:
	v_mov_b32_e32 v0, s17
	v_add_co_u32_e32 v13, vcc, s16, v5
	v_addc_co_u32_e32 v14, vcc, v0, v6, vcc
	global_store_dwordx2 v[13:14], v[1:2], off
.LBB41_16:
	s_andn2_b64 vcc, exec, s[6:7]
	s_cbranch_vccnz .LBB41_18
; %bb.17:
	v_mov_b32_e32 v0, s19
	v_add_co_u32_e32 v5, vcc, s18, v5
	v_addc_co_u32_e32 v6, vcc, v0, v6, vcc
	global_store_dwordx2 v[5:6], v[3:4], off
.LBB41_18:
	s_or_b64 exec, exec, s[10:11]
	s_movk_i32 s10, 0x700
	v_cmp_gt_u32_e32 vcc, s10, v9
	s_and_b64 exec, exec, vcc
	s_cbranch_execz .LBB41_74
; %bb.19:
	s_and_saveexec_b64 s[10:11], s[0:1]
	s_cbranch_execz .LBB41_21
; %bb.20:
	v_add_u32_e32 v0, v8, v7
	v_lshl_add_u32 v0, v0, 3, 0
	ds_read_b64 v[1:2], v0 offset:32
	ds_read_b64 v[3:4], v0 offset:2144
.LBB41_21:
	s_or_b64 exec, exec, s[10:11]
	s_waitcnt lgkmcnt(1)
	ds_bpermute_b32 v5, v10, v1
	ds_bpermute_b32 v6, v10, v2
	s_waitcnt lgkmcnt(2)
	ds_bpermute_b32 v13, v10, v3
	ds_bpermute_b32 v14, v10, v4
	s_waitcnt lgkmcnt(2)
	v_add_f64 v[0:1], v[1:2], v[5:6]
	s_waitcnt lgkmcnt(0)
	v_add_f64 v[2:3], v[3:4], v[13:14]
	ds_bpermute_b32 v4, v11, v0
	ds_bpermute_b32 v5, v11, v1
	;; [unrolled: 1-line block ×4, first 2 shown]
	s_waitcnt lgkmcnt(2)
	v_add_f64 v[0:1], v[0:1], v[4:5]
	s_waitcnt lgkmcnt(0)
	v_add_f64 v[2:3], v[2:3], v[13:14]
	ds_bpermute_b32 v4, v12, v0
	ds_bpermute_b32 v5, v12, v1
	ds_bpermute_b32 v13, v12, v2
	ds_bpermute_b32 v14, v12, v3
	s_waitcnt lgkmcnt(2)
	v_add_f64 v[0:1], v[0:1], v[4:5]
	s_waitcnt lgkmcnt(0)
	v_add_f64 v[2:3], v[2:3], v[13:14]
	s_and_saveexec_b64 s[10:11], s[2:3]
	s_cbranch_execz .LBB41_26
; %bb.22:
	s_andn2_b64 vcc, exec, s[8:9]
	s_cbranch_vccnz .LBB41_24
; %bb.23:
	v_mov_b32_e32 v5, s5
	v_add_co_u32_e32 v4, vcc, s4, v8
	v_addc_co_u32_e32 v5, vcc, 0, v5, vcc
	v_lshlrev_b64 v[4:5], 3, v[4:5]
	v_mov_b32_e32 v6, s17
	v_add_co_u32_e32 v4, vcc, s16, v4
	v_addc_co_u32_e32 v5, vcc, v6, v5, vcc
	global_store_dwordx2 v[4:5], v[0:1], off offset:32
.LBB41_24:
	s_andn2_b64 vcc, exec, s[6:7]
	s_cbranch_vccnz .LBB41_26
; %bb.25:
	v_mov_b32_e32 v5, s5
	v_add_co_u32_e32 v4, vcc, s4, v8
	v_addc_co_u32_e32 v5, vcc, 0, v5, vcc
	v_lshlrev_b64 v[4:5], 3, v[4:5]
	v_mov_b32_e32 v6, s19
	v_add_co_u32_e32 v4, vcc, s18, v4
	v_addc_co_u32_e32 v5, vcc, v6, v5, vcc
	global_store_dwordx2 v[4:5], v[2:3], off offset:32
.LBB41_26:
	s_or_b64 exec, exec, s[10:11]
	s_movk_i32 s10, 0x600
	v_cmp_gt_u32_e32 vcc, s10, v9
	s_and_b64 exec, exec, vcc
	s_cbranch_execz .LBB41_74
; %bb.27:
	s_and_saveexec_b64 s[10:11], s[0:1]
	s_cbranch_execz .LBB41_29
; %bb.28:
	v_add_u32_e32 v0, v8, v7
	v_lshl_add_u32 v2, v0, 3, 0
	ds_read_b64 v[0:1], v2 offset:64
	ds_read_b64 v[2:3], v2 offset:2176
.LBB41_29:
	s_or_b64 exec, exec, s[10:11]
	s_waitcnt lgkmcnt(1)
	ds_bpermute_b32 v4, v10, v0
	ds_bpermute_b32 v5, v10, v1
	s_waitcnt lgkmcnt(2)
	ds_bpermute_b32 v13, v10, v2
	ds_bpermute_b32 v14, v10, v3
	s_waitcnt lgkmcnt(2)
	v_add_f64 v[0:1], v[0:1], v[4:5]
	s_waitcnt lgkmcnt(0)
	v_add_f64 v[2:3], v[2:3], v[13:14]
	ds_bpermute_b32 v4, v11, v0
	ds_bpermute_b32 v5, v11, v1
	ds_bpermute_b32 v13, v11, v2
	ds_bpermute_b32 v14, v11, v3
	s_waitcnt lgkmcnt(2)
	v_add_f64 v[0:1], v[0:1], v[4:5]
	s_waitcnt lgkmcnt(0)
	v_add_f64 v[2:3], v[2:3], v[13:14]
	ds_bpermute_b32 v4, v12, v0
	ds_bpermute_b32 v5, v12, v1
	;; [unrolled: 1-line block ×4, first 2 shown]
	s_waitcnt lgkmcnt(2)
	v_add_f64 v[0:1], v[0:1], v[4:5]
	s_waitcnt lgkmcnt(0)
	v_add_f64 v[2:3], v[2:3], v[13:14]
	s_and_saveexec_b64 s[10:11], s[2:3]
	s_cbranch_execz .LBB41_34
; %bb.30:
	s_andn2_b64 vcc, exec, s[8:9]
	s_cbranch_vccnz .LBB41_32
; %bb.31:
	v_mov_b32_e32 v5, s5
	v_add_co_u32_e32 v4, vcc, s4, v8
	v_addc_co_u32_e32 v5, vcc, 0, v5, vcc
	v_lshlrev_b64 v[4:5], 3, v[4:5]
	v_mov_b32_e32 v6, s17
	v_add_co_u32_e32 v4, vcc, s16, v4
	v_addc_co_u32_e32 v5, vcc, v6, v5, vcc
	global_store_dwordx2 v[4:5], v[0:1], off offset:64
.LBB41_32:
	s_andn2_b64 vcc, exec, s[6:7]
	s_cbranch_vccnz .LBB41_34
; %bb.33:
	v_mov_b32_e32 v5, s5
	v_add_co_u32_e32 v4, vcc, s4, v8
	v_addc_co_u32_e32 v5, vcc, 0, v5, vcc
	v_lshlrev_b64 v[4:5], 3, v[4:5]
	v_mov_b32_e32 v6, s19
	v_add_co_u32_e32 v4, vcc, s18, v4
	v_addc_co_u32_e32 v5, vcc, v6, v5, vcc
	global_store_dwordx2 v[4:5], v[2:3], off offset:64
.LBB41_34:
	s_or_b64 exec, exec, s[10:11]
	s_movk_i32 s10, 0x500
	v_cmp_gt_u32_e32 vcc, s10, v9
	s_and_b64 exec, exec, vcc
	s_cbranch_execz .LBB41_74
; %bb.35:
	s_and_saveexec_b64 s[10:11], s[0:1]
	s_cbranch_execz .LBB41_37
; %bb.36:
	v_add_u32_e32 v0, v8, v7
	v_lshl_add_u32 v2, v0, 3, 0
	ds_read_b64 v[0:1], v2 offset:96
	ds_read_b64 v[2:3], v2 offset:2208
.LBB41_37:
	s_or_b64 exec, exec, s[10:11]
	s_waitcnt lgkmcnt(1)
	ds_bpermute_b32 v4, v10, v0
	ds_bpermute_b32 v5, v10, v1
	s_waitcnt lgkmcnt(2)
	ds_bpermute_b32 v13, v10, v2
	ds_bpermute_b32 v14, v10, v3
	s_waitcnt lgkmcnt(2)
	v_add_f64 v[0:1], v[0:1], v[4:5]
	s_waitcnt lgkmcnt(0)
	v_add_f64 v[2:3], v[2:3], v[13:14]
	ds_bpermute_b32 v4, v11, v0
	ds_bpermute_b32 v5, v11, v1
	;; [unrolled: 1-line block ×4, first 2 shown]
	s_waitcnt lgkmcnt(2)
	v_add_f64 v[0:1], v[0:1], v[4:5]
	s_waitcnt lgkmcnt(0)
	v_add_f64 v[2:3], v[2:3], v[13:14]
	ds_bpermute_b32 v4, v12, v0
	ds_bpermute_b32 v5, v12, v1
	;; [unrolled: 1-line block ×4, first 2 shown]
	s_waitcnt lgkmcnt(2)
	v_add_f64 v[0:1], v[0:1], v[4:5]
	s_waitcnt lgkmcnt(0)
	v_add_f64 v[2:3], v[2:3], v[13:14]
	s_and_saveexec_b64 s[10:11], s[2:3]
	s_cbranch_execz .LBB41_42
; %bb.38:
	s_andn2_b64 vcc, exec, s[8:9]
	s_cbranch_vccnz .LBB41_40
; %bb.39:
	v_mov_b32_e32 v5, s5
	v_add_co_u32_e32 v4, vcc, s4, v8
	v_addc_co_u32_e32 v5, vcc, 0, v5, vcc
	v_lshlrev_b64 v[4:5], 3, v[4:5]
	v_mov_b32_e32 v6, s17
	v_add_co_u32_e32 v4, vcc, s16, v4
	v_addc_co_u32_e32 v5, vcc, v6, v5, vcc
	global_store_dwordx2 v[4:5], v[0:1], off offset:96
.LBB41_40:
	s_andn2_b64 vcc, exec, s[6:7]
	s_cbranch_vccnz .LBB41_42
; %bb.41:
	v_mov_b32_e32 v5, s5
	v_add_co_u32_e32 v4, vcc, s4, v8
	v_addc_co_u32_e32 v5, vcc, 0, v5, vcc
	v_lshlrev_b64 v[4:5], 3, v[4:5]
	v_mov_b32_e32 v6, s19
	v_add_co_u32_e32 v4, vcc, s18, v4
	v_addc_co_u32_e32 v5, vcc, v6, v5, vcc
	global_store_dwordx2 v[4:5], v[2:3], off offset:96
.LBB41_42:
	s_or_b64 exec, exec, s[10:11]
	s_movk_i32 s10, 0x400
	v_cmp_gt_u32_e32 vcc, s10, v9
	s_and_b64 exec, exec, vcc
	s_cbranch_execz .LBB41_74
; %bb.43:
	s_and_saveexec_b64 s[10:11], s[0:1]
	s_cbranch_execz .LBB41_45
; %bb.44:
	v_add_u32_e32 v0, v8, v7
	v_lshl_add_u32 v2, v0, 3, 0
	ds_read_b64 v[0:1], v2 offset:128
	ds_read_b64 v[2:3], v2 offset:2240
.LBB41_45:
	s_or_b64 exec, exec, s[10:11]
	s_waitcnt lgkmcnt(1)
	ds_bpermute_b32 v4, v10, v0
	ds_bpermute_b32 v5, v10, v1
	s_waitcnt lgkmcnt(2)
	ds_bpermute_b32 v13, v10, v2
	ds_bpermute_b32 v14, v10, v3
	s_waitcnt lgkmcnt(2)
	v_add_f64 v[0:1], v[0:1], v[4:5]
	s_waitcnt lgkmcnt(0)
	v_add_f64 v[2:3], v[2:3], v[13:14]
	ds_bpermute_b32 v4, v11, v0
	ds_bpermute_b32 v5, v11, v1
	;; [unrolled: 1-line block ×4, first 2 shown]
	s_waitcnt lgkmcnt(2)
	v_add_f64 v[0:1], v[0:1], v[4:5]
	s_waitcnt lgkmcnt(0)
	v_add_f64 v[2:3], v[2:3], v[13:14]
	ds_bpermute_b32 v4, v12, v0
	ds_bpermute_b32 v5, v12, v1
	ds_bpermute_b32 v13, v12, v2
	ds_bpermute_b32 v14, v12, v3
	s_waitcnt lgkmcnt(2)
	v_add_f64 v[0:1], v[0:1], v[4:5]
	s_waitcnt lgkmcnt(0)
	v_add_f64 v[2:3], v[2:3], v[13:14]
	s_and_saveexec_b64 s[10:11], s[2:3]
	s_cbranch_execz .LBB41_50
; %bb.46:
	s_andn2_b64 vcc, exec, s[8:9]
	s_cbranch_vccnz .LBB41_48
; %bb.47:
	v_mov_b32_e32 v5, s5
	v_add_co_u32_e32 v4, vcc, s4, v8
	v_addc_co_u32_e32 v5, vcc, 0, v5, vcc
	v_lshlrev_b64 v[4:5], 3, v[4:5]
	v_mov_b32_e32 v6, s17
	v_add_co_u32_e32 v4, vcc, s16, v4
	v_addc_co_u32_e32 v5, vcc, v6, v5, vcc
	global_store_dwordx2 v[4:5], v[0:1], off offset:128
.LBB41_48:
	s_andn2_b64 vcc, exec, s[6:7]
	s_cbranch_vccnz .LBB41_50
; %bb.49:
	v_mov_b32_e32 v5, s5
	v_add_co_u32_e32 v4, vcc, s4, v8
	v_addc_co_u32_e32 v5, vcc, 0, v5, vcc
	v_lshlrev_b64 v[4:5], 3, v[4:5]
	v_mov_b32_e32 v6, s19
	v_add_co_u32_e32 v4, vcc, s18, v4
	v_addc_co_u32_e32 v5, vcc, v6, v5, vcc
	global_store_dwordx2 v[4:5], v[2:3], off offset:128
.LBB41_50:
	s_or_b64 exec, exec, s[10:11]
	s_movk_i32 s10, 0x300
	v_cmp_gt_u32_e32 vcc, s10, v9
	s_and_b64 exec, exec, vcc
	s_cbranch_execz .LBB41_74
; %bb.51:
	s_and_saveexec_b64 s[10:11], s[0:1]
	s_cbranch_execz .LBB41_53
; %bb.52:
	v_add_u32_e32 v0, v8, v7
	v_lshl_add_u32 v2, v0, 3, 0
	ds_read_b64 v[0:1], v2 offset:160
	ds_read_b64 v[2:3], v2 offset:2272
.LBB41_53:
	s_or_b64 exec, exec, s[10:11]
	s_waitcnt lgkmcnt(1)
	ds_bpermute_b32 v4, v10, v0
	ds_bpermute_b32 v5, v10, v1
	s_waitcnt lgkmcnt(2)
	ds_bpermute_b32 v13, v10, v2
	ds_bpermute_b32 v14, v10, v3
	s_waitcnt lgkmcnt(2)
	v_add_f64 v[0:1], v[0:1], v[4:5]
	s_waitcnt lgkmcnt(0)
	v_add_f64 v[2:3], v[2:3], v[13:14]
	ds_bpermute_b32 v4, v11, v0
	ds_bpermute_b32 v5, v11, v1
	;; [unrolled: 1-line block ×4, first 2 shown]
	s_waitcnt lgkmcnt(2)
	v_add_f64 v[0:1], v[0:1], v[4:5]
	s_waitcnt lgkmcnt(0)
	v_add_f64 v[2:3], v[2:3], v[13:14]
	ds_bpermute_b32 v4, v12, v0
	ds_bpermute_b32 v5, v12, v1
	;; [unrolled: 1-line block ×4, first 2 shown]
	s_waitcnt lgkmcnt(2)
	v_add_f64 v[0:1], v[0:1], v[4:5]
	s_waitcnt lgkmcnt(0)
	v_add_f64 v[2:3], v[2:3], v[13:14]
	s_and_saveexec_b64 s[10:11], s[2:3]
	s_cbranch_execz .LBB41_58
; %bb.54:
	s_andn2_b64 vcc, exec, s[8:9]
	s_cbranch_vccnz .LBB41_56
; %bb.55:
	v_mov_b32_e32 v5, s5
	v_add_co_u32_e32 v4, vcc, s4, v8
	v_addc_co_u32_e32 v5, vcc, 0, v5, vcc
	v_lshlrev_b64 v[4:5], 3, v[4:5]
	v_mov_b32_e32 v6, s17
	v_add_co_u32_e32 v4, vcc, s16, v4
	v_addc_co_u32_e32 v5, vcc, v6, v5, vcc
	global_store_dwordx2 v[4:5], v[0:1], off offset:160
.LBB41_56:
	s_andn2_b64 vcc, exec, s[6:7]
	s_cbranch_vccnz .LBB41_58
; %bb.57:
	v_mov_b32_e32 v5, s5
	v_add_co_u32_e32 v4, vcc, s4, v8
	v_addc_co_u32_e32 v5, vcc, 0, v5, vcc
	v_lshlrev_b64 v[4:5], 3, v[4:5]
	v_mov_b32_e32 v6, s19
	v_add_co_u32_e32 v4, vcc, s18, v4
	v_addc_co_u32_e32 v5, vcc, v6, v5, vcc
	global_store_dwordx2 v[4:5], v[2:3], off offset:160
.LBB41_58:
	s_or_b64 exec, exec, s[10:11]
	s_movk_i32 s10, 0x200
	v_cmp_gt_u32_e32 vcc, s10, v9
	s_and_b64 exec, exec, vcc
	s_cbranch_execz .LBB41_74
; %bb.59:
	s_and_saveexec_b64 s[10:11], s[0:1]
	s_cbranch_execz .LBB41_61
; %bb.60:
	v_add_u32_e32 v0, v8, v7
	v_lshl_add_u32 v2, v0, 3, 0
	ds_read_b64 v[0:1], v2 offset:192
	ds_read_b64 v[2:3], v2 offset:2304
.LBB41_61:
	s_or_b64 exec, exec, s[10:11]
	s_waitcnt lgkmcnt(1)
	ds_bpermute_b32 v4, v10, v0
	ds_bpermute_b32 v5, v10, v1
	s_waitcnt lgkmcnt(2)
	ds_bpermute_b32 v13, v10, v2
	ds_bpermute_b32 v14, v10, v3
	s_waitcnt lgkmcnt(2)
	v_add_f64 v[0:1], v[0:1], v[4:5]
	s_waitcnt lgkmcnt(0)
	v_add_f64 v[2:3], v[2:3], v[13:14]
	ds_bpermute_b32 v4, v11, v0
	ds_bpermute_b32 v5, v11, v1
	;; [unrolled: 1-line block ×4, first 2 shown]
	s_waitcnt lgkmcnt(2)
	v_add_f64 v[0:1], v[0:1], v[4:5]
	s_waitcnt lgkmcnt(0)
	v_add_f64 v[2:3], v[2:3], v[13:14]
	ds_bpermute_b32 v4, v12, v0
	ds_bpermute_b32 v5, v12, v1
	ds_bpermute_b32 v13, v12, v2
	ds_bpermute_b32 v14, v12, v3
	s_waitcnt lgkmcnt(2)
	v_add_f64 v[0:1], v[0:1], v[4:5]
	s_waitcnt lgkmcnt(0)
	v_add_f64 v[2:3], v[2:3], v[13:14]
	s_and_saveexec_b64 s[10:11], s[2:3]
	s_cbranch_execz .LBB41_66
; %bb.62:
	s_andn2_b64 vcc, exec, s[8:9]
	s_cbranch_vccnz .LBB41_64
; %bb.63:
	v_mov_b32_e32 v5, s5
	v_add_co_u32_e32 v4, vcc, s4, v8
	v_addc_co_u32_e32 v5, vcc, 0, v5, vcc
	v_lshlrev_b64 v[4:5], 3, v[4:5]
	v_mov_b32_e32 v6, s17
	v_add_co_u32_e32 v4, vcc, s16, v4
	v_addc_co_u32_e32 v5, vcc, v6, v5, vcc
	global_store_dwordx2 v[4:5], v[0:1], off offset:192
.LBB41_64:
	s_andn2_b64 vcc, exec, s[6:7]
	s_cbranch_vccnz .LBB41_66
; %bb.65:
	v_mov_b32_e32 v5, s5
	v_add_co_u32_e32 v4, vcc, s4, v8
	v_addc_co_u32_e32 v5, vcc, 0, v5, vcc
	v_lshlrev_b64 v[4:5], 3, v[4:5]
	v_mov_b32_e32 v6, s19
	v_add_co_u32_e32 v4, vcc, s18, v4
	v_addc_co_u32_e32 v5, vcc, v6, v5, vcc
	global_store_dwordx2 v[4:5], v[2:3], off offset:192
.LBB41_66:
	s_or_b64 exec, exec, s[10:11]
	s_movk_i32 s10, 0x100
	v_cmp_gt_u32_e32 vcc, s10, v9
	s_and_b64 exec, exec, vcc
	s_cbranch_execz .LBB41_74
; %bb.67:
	s_and_saveexec_b64 s[10:11], s[0:1]
	s_cbranch_execz .LBB41_69
; %bb.68:
	v_add_u32_e32 v0, v8, v7
	v_lshl_add_u32 v2, v0, 3, 0
	ds_read_b64 v[0:1], v2 offset:224
	ds_read_b64 v[2:3], v2 offset:2336
.LBB41_69:
	s_or_b64 exec, exec, s[10:11]
	s_waitcnt lgkmcnt(1)
	ds_bpermute_b32 v4, v10, v0
	ds_bpermute_b32 v5, v10, v1
	s_waitcnt lgkmcnt(2)
	ds_bpermute_b32 v6, v10, v2
	ds_bpermute_b32 v7, v10, v3
	s_waitcnt lgkmcnt(2)
	v_add_f64 v[0:1], v[0:1], v[4:5]
	s_waitcnt lgkmcnt(0)
	v_add_f64 v[2:3], v[2:3], v[6:7]
	ds_bpermute_b32 v4, v11, v0
	ds_bpermute_b32 v5, v11, v1
	;; [unrolled: 1-line block ×4, first 2 shown]
	s_waitcnt lgkmcnt(2)
	v_add_f64 v[4:5], v[0:1], v[4:5]
	s_waitcnt lgkmcnt(0)
	v_add_f64 v[0:1], v[2:3], v[6:7]
	ds_bpermute_b32 v6, v12, v4
	ds_bpermute_b32 v7, v12, v5
	;; [unrolled: 1-line block ×4, first 2 shown]
	s_and_b64 exec, exec, s[2:3]
	s_cbranch_execz .LBB41_74
; %bb.70:
	s_andn2_b64 vcc, exec, s[8:9]
	s_cbranch_vccnz .LBB41_72
; %bb.71:
	s_waitcnt lgkmcnt(2)
	v_add_f64 v[4:5], v[4:5], v[6:7]
	v_mov_b32_e32 v7, s5
	v_add_co_u32_e32 v6, vcc, s4, v8
	v_addc_co_u32_e32 v7, vcc, 0, v7, vcc
	v_lshlrev_b64 v[6:7], 3, v[6:7]
	v_mov_b32_e32 v9, s17
	v_add_co_u32_e32 v6, vcc, s16, v6
	v_addc_co_u32_e32 v7, vcc, v9, v7, vcc
	global_store_dwordx2 v[6:7], v[4:5], off offset:224
.LBB41_72:
	s_andn2_b64 vcc, exec, s[6:7]
	s_cbranch_vccnz .LBB41_74
; %bb.73:
	s_waitcnt lgkmcnt(0)
	v_add_f64 v[0:1], v[0:1], v[2:3]
	v_mov_b32_e32 v3, s5
	v_add_co_u32_e32 v2, vcc, s4, v8
	v_addc_co_u32_e32 v3, vcc, 0, v3, vcc
	v_lshlrev_b64 v[2:3], 3, v[2:3]
	v_mov_b32_e32 v4, s19
	v_add_co_u32_e32 v2, vcc, s18, v2
	v_addc_co_u32_e32 v3, vcc, v4, v3, vcc
	global_store_dwordx2 v[2:3], v[0:1], off offset:224
.LBB41_74:
	s_endpgm
	.section	.rodata,"a",@progbits
	.p2align	6, 0x0
	.amdhsa_kernel _ZN2at6native12_GLOBAL__N_135GammaBetaBackwardCUDAKernelTemplateIddLj32ELj8ELj64ELb0ELb1ELb0EEEvllPKT_S5_PKT0_S8_PS3_S9_
		.amdhsa_group_segment_fixed_size 0
		.amdhsa_private_segment_fixed_size 0
		.amdhsa_kernarg_size 320
		.amdhsa_user_sgpr_count 6
		.amdhsa_user_sgpr_private_segment_buffer 1
		.amdhsa_user_sgpr_dispatch_ptr 0
		.amdhsa_user_sgpr_queue_ptr 0
		.amdhsa_user_sgpr_kernarg_segment_ptr 1
		.amdhsa_user_sgpr_dispatch_id 0
		.amdhsa_user_sgpr_flat_scratch_init 0
		.amdhsa_user_sgpr_private_segment_size 0
		.amdhsa_uses_dynamic_stack 0
		.amdhsa_system_sgpr_private_segment_wavefront_offset 0
		.amdhsa_system_sgpr_workgroup_id_x 1
		.amdhsa_system_sgpr_workgroup_id_y 1
		.amdhsa_system_sgpr_workgroup_id_z 0
		.amdhsa_system_sgpr_workgroup_info 0
		.amdhsa_system_vgpr_workitem_id 1
		.amdhsa_next_free_vgpr 45
		.amdhsa_next_free_sgpr 32
		.amdhsa_reserve_vcc 1
		.amdhsa_reserve_flat_scratch 0
		.amdhsa_float_round_mode_32 0
		.amdhsa_float_round_mode_16_64 0
		.amdhsa_float_denorm_mode_32 3
		.amdhsa_float_denorm_mode_16_64 3
		.amdhsa_dx10_clamp 1
		.amdhsa_ieee_mode 1
		.amdhsa_fp16_overflow 0
		.amdhsa_exception_fp_ieee_invalid_op 0
		.amdhsa_exception_fp_denorm_src 0
		.amdhsa_exception_fp_ieee_div_zero 0
		.amdhsa_exception_fp_ieee_overflow 0
		.amdhsa_exception_fp_ieee_underflow 0
		.amdhsa_exception_fp_ieee_inexact 0
		.amdhsa_exception_int_div_zero 0
	.end_amdhsa_kernel
	.section	.text._ZN2at6native12_GLOBAL__N_135GammaBetaBackwardCUDAKernelTemplateIddLj32ELj8ELj64ELb0ELb1ELb0EEEvllPKT_S5_PKT0_S8_PS3_S9_,"axG",@progbits,_ZN2at6native12_GLOBAL__N_135GammaBetaBackwardCUDAKernelTemplateIddLj32ELj8ELj64ELb0ELb1ELb0EEEvllPKT_S5_PKT0_S8_PS3_S9_,comdat
.Lfunc_end41:
	.size	_ZN2at6native12_GLOBAL__N_135GammaBetaBackwardCUDAKernelTemplateIddLj32ELj8ELj64ELb0ELb1ELb0EEEvllPKT_S5_PKT0_S8_PS3_S9_, .Lfunc_end41-_ZN2at6native12_GLOBAL__N_135GammaBetaBackwardCUDAKernelTemplateIddLj32ELj8ELj64ELb0ELb1ELb0EEEvllPKT_S5_PKT0_S8_PS3_S9_
                                        ; -- End function
	.set _ZN2at6native12_GLOBAL__N_135GammaBetaBackwardCUDAKernelTemplateIddLj32ELj8ELj64ELb0ELb1ELb0EEEvllPKT_S5_PKT0_S8_PS3_S9_.num_vgpr, 45
	.set _ZN2at6native12_GLOBAL__N_135GammaBetaBackwardCUDAKernelTemplateIddLj32ELj8ELj64ELb0ELb1ELb0EEEvllPKT_S5_PKT0_S8_PS3_S9_.num_agpr, 0
	.set _ZN2at6native12_GLOBAL__N_135GammaBetaBackwardCUDAKernelTemplateIddLj32ELj8ELj64ELb0ELb1ELb0EEEvllPKT_S5_PKT0_S8_PS3_S9_.numbered_sgpr, 32
	.set _ZN2at6native12_GLOBAL__N_135GammaBetaBackwardCUDAKernelTemplateIddLj32ELj8ELj64ELb0ELb1ELb0EEEvllPKT_S5_PKT0_S8_PS3_S9_.num_named_barrier, 0
	.set _ZN2at6native12_GLOBAL__N_135GammaBetaBackwardCUDAKernelTemplateIddLj32ELj8ELj64ELb0ELb1ELb0EEEvllPKT_S5_PKT0_S8_PS3_S9_.private_seg_size, 0
	.set _ZN2at6native12_GLOBAL__N_135GammaBetaBackwardCUDAKernelTemplateIddLj32ELj8ELj64ELb0ELb1ELb0EEEvllPKT_S5_PKT0_S8_PS3_S9_.uses_vcc, 1
	.set _ZN2at6native12_GLOBAL__N_135GammaBetaBackwardCUDAKernelTemplateIddLj32ELj8ELj64ELb0ELb1ELb0EEEvllPKT_S5_PKT0_S8_PS3_S9_.uses_flat_scratch, 0
	.set _ZN2at6native12_GLOBAL__N_135GammaBetaBackwardCUDAKernelTemplateIddLj32ELj8ELj64ELb0ELb1ELb0EEEvllPKT_S5_PKT0_S8_PS3_S9_.has_dyn_sized_stack, 0
	.set _ZN2at6native12_GLOBAL__N_135GammaBetaBackwardCUDAKernelTemplateIddLj32ELj8ELj64ELb0ELb1ELb0EEEvllPKT_S5_PKT0_S8_PS3_S9_.has_recursion, 0
	.set _ZN2at6native12_GLOBAL__N_135GammaBetaBackwardCUDAKernelTemplateIddLj32ELj8ELj64ELb0ELb1ELb0EEEvllPKT_S5_PKT0_S8_PS3_S9_.has_indirect_call, 0
	.section	.AMDGPU.csdata,"",@progbits
; Kernel info:
; codeLenInByte = 4256
; TotalNumSgprs: 36
; NumVgprs: 45
; ScratchSize: 0
; MemoryBound: 0
; FloatMode: 240
; IeeeMode: 1
; LDSByteSize: 0 bytes/workgroup (compile time only)
; SGPRBlocks: 4
; VGPRBlocks: 11
; NumSGPRsForWavesPerEU: 36
; NumVGPRsForWavesPerEU: 45
; Occupancy: 5
; WaveLimiterHint : 0
; COMPUTE_PGM_RSRC2:SCRATCH_EN: 0
; COMPUTE_PGM_RSRC2:USER_SGPR: 6
; COMPUTE_PGM_RSRC2:TRAP_HANDLER: 0
; COMPUTE_PGM_RSRC2:TGID_X_EN: 1
; COMPUTE_PGM_RSRC2:TGID_Y_EN: 1
; COMPUTE_PGM_RSRC2:TGID_Z_EN: 0
; COMPUTE_PGM_RSRC2:TIDIG_COMP_CNT: 1
	.section	.text._ZN2at6native12_GLOBAL__N_135GammaBetaBackwardCUDAKernelTemplateIddLj32ELj8ELj64ELb0ELb0ELb0EEEvllPKT_S5_PKT0_S8_PS3_S9_,"axG",@progbits,_ZN2at6native12_GLOBAL__N_135GammaBetaBackwardCUDAKernelTemplateIddLj32ELj8ELj64ELb0ELb0ELb0EEEvllPKT_S5_PKT0_S8_PS3_S9_,comdat
	.globl	_ZN2at6native12_GLOBAL__N_135GammaBetaBackwardCUDAKernelTemplateIddLj32ELj8ELj64ELb0ELb0ELb0EEEvllPKT_S5_PKT0_S8_PS3_S9_ ; -- Begin function _ZN2at6native12_GLOBAL__N_135GammaBetaBackwardCUDAKernelTemplateIddLj32ELj8ELj64ELb0ELb0ELb0EEEvllPKT_S5_PKT0_S8_PS3_S9_
	.p2align	8
	.type	_ZN2at6native12_GLOBAL__N_135GammaBetaBackwardCUDAKernelTemplateIddLj32ELj8ELj64ELb0ELb0ELb0EEEvllPKT_S5_PKT0_S8_PS3_S9_,@function
_ZN2at6native12_GLOBAL__N_135GammaBetaBackwardCUDAKernelTemplateIddLj32ELj8ELj64ELb0ELb0ELb0EEEvllPKT_S5_PKT0_S8_PS3_S9_: ; @_ZN2at6native12_GLOBAL__N_135GammaBetaBackwardCUDAKernelTemplateIddLj32ELj8ELj64ELb0ELb0ELb0EEEvllPKT_S5_PKT0_S8_PS3_S9_
; %bb.0:
	s_load_dwordx8 s[12:19], s[4:5], 0x0
	s_load_dwordx4 s[20:23], s[4:5], 0x20
	s_lshl_b32 s33, s6, 5
	s_or_b32 s0, s33, 31
	v_mov_b32_e32 v2, s0
	v_mov_b32_e32 v3, 0
	s_lshl_b32 s10, s7, 6
	s_mov_b32 s11, 0
	s_waitcnt lgkmcnt(0)
	v_cmp_le_i64_e32 vcc, s[14:15], v[2:3]
	v_mov_b32_e32 v2, s10
	v_mov_b32_e32 v3, s11
	v_cmp_gt_i64_e64 s[0:1], s[12:13], v[2:3]
	v_cndmask_b32_e64 v2, 0, 1, s[0:1]
	v_cmp_ne_u32_e64 s[0:1], 1, v2
	s_cbranch_vccz .LBB42_48
; %bb.1:
	v_mov_b32_e32 v21, 0
	v_mov_b32_e32 v19, 0
	;; [unrolled: 1-line block ×3, first 2 shown]
	s_and_b64 vcc, exec, s[0:1]
	v_mov_b32_e32 v20, 0
	s_cbranch_vccnz .LBB42_49
; %bb.2:
	v_lshlrev_b32_e32 v45, 3, v1
	v_add_co_u32_e32 v9, vcc, s10, v45
	v_addc_co_u32_e64 v10, s[2:3], 0, 0, vcc
	v_mul_lo_u32 v7, s15, v9
	v_mul_lo_u32 v8, s14, v10
	v_mad_u64_u32 v[5:6], s[2:3], s14, v9, 0
	v_mov_b32_e32 v2, 0
	s_load_dword s7, s[4:5], 0x44
	v_add_u32_e32 v3, s33, v0
	v_mov_b32_e32 v4, v2
	v_add3_u32 v6, v6, v8, v7
	v_cmp_gt_i64_e64 s[2:3], s[14:15], v[3:4]
	v_lshlrev_b64 v[23:24], 3, v[3:4]
	v_lshlrev_b64 v[3:4], 3, v[5:6]
	s_add_u32 s24, s4, 64
	v_mov_b32_e32 v7, s17
	v_add_co_u32_e32 v46, vcc, s16, v3
	s_addc_u32 s25, s5, 0
	s_waitcnt lgkmcnt(0)
	s_lshl_b32 s7, s7, 6
	v_addc_co_u32_e32 v47, vcc, v7, v4, vcc
	s_mul_i32 s8, s15, s7
	s_mul_hi_u32 s9, s14, s7
	v_add_co_u32_e32 v7, vcc, 7, v9
	s_add_i32 s9, s9, s8
	s_mul_i32 s8, s14, s7
	v_addc_co_u32_e32 v8, vcc, 0, v10, vcc
	s_lshl_b64 s[26:27], s[8:9], 3
	v_mul_lo_u32 v12, s15, v7
	v_mul_lo_u32 v13, s14, v8
	v_mad_u64_u32 v[7:8], s[8:9], s14, v7, 0
	v_mov_b32_e32 v11, s19
	v_add_co_u32_e32 v48, vcc, s18, v3
	v_add3_u32 v8, v8, v13, v12
	v_addc_co_u32_e32 v49, vcc, v11, v4, vcc
	v_lshlrev_b64 v[3:4], 3, v[7:8]
	v_mov_b32_e32 v7, s17
	v_add_co_u32_e32 v50, vcc, s16, v3
	v_addc_co_u32_e32 v51, vcc, v7, v4, vcc
	v_add_co_u32_e32 v7, vcc, 6, v9
	v_addc_co_u32_e32 v8, vcc, 0, v10, vcc
	v_mul_lo_u32 v12, s15, v7
	v_mul_lo_u32 v13, s14, v8
	v_mad_u64_u32 v[7:8], s[8:9], s14, v7, 0
	v_add_co_u32_e32 v52, vcc, s18, v3
	v_add3_u32 v8, v8, v13, v12
	v_addc_co_u32_e32 v53, vcc, v11, v4, vcc
	v_lshlrev_b64 v[3:4], 3, v[7:8]
	v_mov_b32_e32 v7, s17
	v_add_co_u32_e32 v54, vcc, s16, v3
	v_addc_co_u32_e32 v55, vcc, v7, v4, vcc
	v_add_co_u32_e32 v7, vcc, 5, v9
	v_addc_co_u32_e32 v8, vcc, 0, v10, vcc
	v_mul_lo_u32 v12, s15, v7
	v_mul_lo_u32 v13, s14, v8
	v_mad_u64_u32 v[7:8], s[8:9], s14, v7, 0
	;; [unrolled: 12-line block ×5, first 2 shown]
	v_add_co_u32_e32 v68, vcc, s18, v3
	v_add3_u32 v8, v8, v10, v9
	v_addc_co_u32_e32 v69, vcc, v11, v4, vcc
	v_lshlrev_b64 v[3:4], 3, v[7:8]
	v_mov_b32_e32 v7, s17
	v_add_co_u32_e32 v70, vcc, s16, v3
	v_addc_co_u32_e32 v71, vcc, v7, v4, vcc
	v_mov_b32_e32 v7, s19
	v_add_co_u32_e32 v72, vcc, s18, v3
	v_addc_co_u32_e32 v73, vcc, v7, v4, vcc
	;; [unrolled: 3-line block ×3, first 2 shown]
	v_lshlrev_b64 v[3:4], 3, v[3:4]
	v_mov_b32_e32 v5, s17
	v_add_co_u32_e32 v74, vcc, s16, v3
	v_addc_co_u32_e32 v75, vcc, v5, v4, vcc
	v_add_co_u32_e32 v76, vcc, s18, v3
	v_mbcnt_lo_u32_b32 v3, -1, 0
	v_mbcnt_hi_u32_b32 v3, -1, v3
	v_mov_b32_e32 v5, s19
	s_add_u32 s28, s10, 63
	v_mov_b32_e32 v19, 0
	v_lshlrev_b32_e32 v3, 2, v3
	v_mov_b32_e32 v21, 0
	v_addc_co_u32_e32 v77, vcc, v5, v4, vcc
	s_addc_u32 s29, 0, 0
	v_mov_b32_e32 v20, 0
	v_and_b32_e32 v78, 0x100, v3
	v_mov_b32_e32 v22, 0
	s_mov_b64 s[30:31], s[10:11]
	s_branch .LBB42_5
.LBB42_3:                               ;   in Loop: Header=BB42_5 Depth=1
	s_or_b64 exec, exec, s[8:9]
	s_waitcnt vmcnt(1)
	ds_bpermute_b32 v79, v78, v25
	ds_bpermute_b32 v80, v78, v26
	s_waitcnt vmcnt(0)
	ds_bpermute_b32 v81, v78, v27
	ds_bpermute_b32 v83, v78, v25 offset:8
	ds_bpermute_b32 v84, v78, v26 offset:8
	ds_bpermute_b32 v82, v78, v28
	s_waitcnt lgkmcnt(4)
	v_add_f64 v[29:30], v[29:30], -v[79:80]
	ds_bpermute_b32 v79, v78, v25 offset:4
	ds_bpermute_b32 v80, v78, v26 offset:4
	s_waitcnt lgkmcnt(3)
	v_add_f64 v[33:34], v[33:34], -v[83:84]
	s_waitcnt lgkmcnt(0)
	v_add_f64 v[37:38], v[37:38], -v[79:80]
	v_mul_f64 v[29:30], v[3:4], v[29:30]
	v_add_f64 v[3:4], v[21:22], v[3:4]
	ds_bpermute_b32 v21, v78, v25 offset:12
	ds_bpermute_b32 v22, v78, v26 offset:12
	;; [unrolled: 1-line block ×4, first 2 shown]
	v_mul_f64 v[37:38], v[5:6], v[37:38]
	v_fma_f64 v[19:20], v[29:30], v[81:82], v[19:20]
	ds_bpermute_b32 v29, v78, v27 offset:4
	ds_bpermute_b32 v30, v78, v28 offset:4
	s_waitcnt lgkmcnt(4)
	v_add_f64 v[21:22], v[39:40], -v[21:22]
	v_add_f64 v[3:4], v[5:6], v[3:4]
	v_mul_f64 v[5:6], v[7:8], v[33:34]
	s_waitcnt lgkmcnt(2)
	v_add_f64 v[35:36], v[35:36], -v[79:80]
	ds_bpermute_b32 v33, v78, v25 offset:20
	s_waitcnt lgkmcnt(1)
	v_fma_f64 v[19:20], v[37:38], v[29:30], v[19:20]
	ds_bpermute_b32 v29, v78, v27 offset:8
	ds_bpermute_b32 v30, v78, v28 offset:8
	v_mul_f64 v[21:22], v[9:10], v[21:22]
	v_add_f64 v[3:4], v[7:8], v[3:4]
	ds_bpermute_b32 v34, v78, v26 offset:20
	ds_bpermute_b32 v7, v78, v27 offset:12
	;; [unrolled: 1-line block ×3, first 2 shown]
	s_waitcnt lgkmcnt(3)
	v_fma_f64 v[5:6], v[5:6], v[29:30], v[19:20]
	ds_bpermute_b32 v19, v78, v25 offset:24
	s_waitcnt lgkmcnt(3)
	v_add_f64 v[29:30], v[43:44], -v[33:34]
	v_mul_f64 v[33:34], v[11:12], v[35:36]
	v_add_f64 v[3:4], v[9:10], v[3:4]
	ds_bpermute_b32 v20, v78, v26 offset:24
	s_waitcnt lgkmcnt(2)
	v_fma_f64 v[5:6], v[21:22], v[7:8], v[5:6]
	ds_bpermute_b32 v7, v78, v27 offset:16
	ds_bpermute_b32 v8, v78, v28 offset:16
	s_waitcnt lgkmcnt(2)
	v_add_f64 v[9:10], v[41:42], -v[19:20]
	v_mul_f64 v[19:20], v[13:14], v[29:30]
	v_add_f64 v[3:4], v[11:12], v[3:4]
	ds_bpermute_b32 v11, v78, v27 offset:24
	ds_bpermute_b32 v12, v78, v28 offset:24
	s_waitcnt lgkmcnt(2)
	v_fma_f64 v[5:6], v[33:34], v[7:8], v[5:6]
	ds_bpermute_b32 v7, v78, v27 offset:20
	ds_bpermute_b32 v8, v78, v28 offset:20
	v_mul_f64 v[9:10], v[15:16], v[9:10]
	ds_bpermute_b32 v27, v78, v27 offset:28
	v_add_f64 v[3:4], v[13:14], v[3:4]
	ds_bpermute_b32 v28, v78, v28 offset:28
	s_waitcnt lgkmcnt(2)
	v_fma_f64 v[7:8], v[19:20], v[7:8], v[5:6]
	v_add_f64 v[5:6], v[15:16], v[3:4]
	v_fma_f64 v[3:4], v[9:10], v[11:12], v[7:8]
	ds_bpermute_b32 v7, v78, v25 offset:28
	ds_bpermute_b32 v8, v78, v26 offset:28
.LBB42_4:                               ;   in Loop: Header=BB42_5 Depth=1
	v_mov_b32_e32 v9, s27
	v_add_co_u32_e32 v46, vcc, s26, v46
	v_addc_co_u32_e32 v47, vcc, v47, v9, vcc
	v_add_co_u32_e32 v48, vcc, s26, v48
	v_addc_co_u32_e32 v49, vcc, v49, v9, vcc
	;; [unrolled: 2-line block ×5, first 2 shown]
	v_add_co_u32_e32 v56, vcc, s26, v56
	s_waitcnt lgkmcnt(0)
	v_add_f64 v[7:8], v[31:32], -v[7:8]
	v_addc_co_u32_e32 v57, vcc, v57, v9, vcc
	v_add_co_u32_e32 v58, vcc, s26, v58
	v_addc_co_u32_e32 v59, vcc, v59, v9, vcc
	v_add_co_u32_e32 v60, vcc, s26, v60
	;; [unrolled: 2-line block ×4, first 2 shown]
	v_add_f64 v[21:22], v[5:6], v[17:18]
	v_mul_f64 v[5:6], v[17:18], v[7:8]
	v_addc_co_u32_e32 v65, vcc, v65, v9, vcc
	v_add_co_u32_e32 v66, vcc, s26, v66
	v_addc_co_u32_e32 v67, vcc, v67, v9, vcc
	v_add_co_u32_e32 v68, vcc, s26, v68
	;; [unrolled: 2-line block ×4, first 2 shown]
	v_fma_f64 v[19:20], v[5:6], v[27:28], v[3:4]
	v_addc_co_u32_e32 v73, vcc, v73, v9, vcc
	v_add_co_u32_e32 v74, vcc, s26, v74
	v_addc_co_u32_e32 v75, vcc, v75, v9, vcc
	s_add_u32 s30, s30, s7
	v_add_co_u32_e32 v76, vcc, s26, v76
	v_mov_b32_e32 v3, s12
	s_addc_u32 s31, s31, 0
	v_addc_co_u32_e32 v77, vcc, v77, v9, vcc
	v_mov_b32_e32 v4, s13
	v_cmp_lt_i64_e32 vcc, s[30:31], v[3:4]
	s_add_u32 s28, s28, s7
	s_addc_u32 s29, s29, 0
	s_cbranch_vccz .LBB42_49
.LBB42_5:                               ; =>This Inner Loop Header: Depth=1
	v_mov_b32_e32 v3, s12
	v_mov_b32_e32 v4, s13
	v_cmp_ge_i64_e32 vcc, s[28:29], v[3:4]
	v_mov_b32_e32 v3, s29
	v_add_co_u32_e64 v79, s[8:9], s28, v45
	v_addc_co_u32_e64 v80, s[8:9], 0, v3, s[8:9]
	s_mov_b64 s[8:9], -1
	s_and_b64 vcc, exec, vcc
                                        ; implicit-def: $vgpr3_vgpr4_vgpr5_vgpr6_vgpr7_vgpr8_vgpr9_vgpr10_vgpr11_vgpr12_vgpr13_vgpr14_vgpr15_vgpr16_vgpr17_vgpr18
                                        ; implicit-def: $vgpr27_vgpr28
                                        ; implicit-def: $vgpr31_vgpr32
                                        ; implicit-def: $vgpr7
                                        ; implicit-def: $vgpr5_vgpr6
                                        ; implicit-def: $vgpr3_vgpr4
	s_cbranch_vccz .LBB42_27
; %bb.6:                                ;   in Loop: Header=BB42_5 Depth=1
	s_load_dword s8, s[24:25], 0xc
	v_mov_b32_e32 v29, 0
	v_mov_b32_e32 v27, 0
	;; [unrolled: 1-line block ×4, first 2 shown]
	s_waitcnt lgkmcnt(0)
	s_and_b32 s8, s8, 0xffff
	v_mad_u32_u24 v3, v1, s8, v0
	v_and_b32_e32 v3, 63, v3
	v_mov_b32_e32 v28, 0
	v_mov_b32_e32 v26, 0
	v_cmp_gt_u32_e32 vcc, 8, v3
	s_and_saveexec_b64 s[8:9], vcc
	s_cbranch_execz .LBB42_10
; %bb.7:                                ;   in Loop: Header=BB42_5 Depth=1
	v_add_co_u32_e32 v3, vcc, v79, v3
	v_addc_co_u32_e32 v4, vcc, 0, v80, vcc
	v_add_co_u32_e32 v3, vcc, 0xffffffc1, v3
	v_addc_co_u32_e32 v4, vcc, -1, v4, vcc
	v_cmp_gt_i64_e32 vcc, s[12:13], v[3:4]
	v_mov_b32_e32 v25, 0
	v_mov_b32_e32 v27, 0
	;; [unrolled: 1-line block ×4, first 2 shown]
	s_and_saveexec_b64 s[34:35], vcc
	s_cbranch_execz .LBB42_9
; %bb.8:                                ;   in Loop: Header=BB42_5 Depth=1
	v_lshlrev_b64 v[3:4], 3, v[3:4]
	v_mov_b32_e32 v6, s23
	v_add_co_u32_e32 v5, vcc, s22, v3
	v_addc_co_u32_e32 v6, vcc, v6, v4, vcc
	v_mov_b32_e32 v7, s21
	v_add_co_u32_e32 v3, vcc, s20, v3
	v_addc_co_u32_e32 v4, vcc, v7, v4, vcc
	global_load_dwordx2 v[25:26], v[3:4], off
	global_load_dwordx2 v[27:28], v[5:6], off
.LBB42_9:                               ;   in Loop: Header=BB42_5 Depth=1
	s_or_b64 exec, exec, s[34:35]
.LBB42_10:                              ;   in Loop: Header=BB42_5 Depth=1
	s_or_b64 exec, exec, s[8:9]
	v_add_co_u32_e32 v3, vcc, 0xffffffc1, v79
	v_addc_co_u32_e32 v4, vcc, -1, v80, vcc
	v_cmp_gt_i64_e32 vcc, s[12:13], v[3:4]
	v_mov_b32_e32 v3, v2
	v_mov_b32_e32 v4, v2
	;; [unrolled: 1-line block ×31, first 2 shown]
	s_and_b64 s[34:35], s[2:3], vcc
	s_and_saveexec_b64 s[8:9], s[34:35]
	s_cbranch_execz .LBB42_12
; %bb.11:                               ;   in Loop: Header=BB42_5 Depth=1
	v_add_co_u32_e32 v3, vcc, v46, v23
	v_addc_co_u32_e32 v4, vcc, v47, v24, vcc
	v_add_co_u32_e32 v5, vcc, v48, v23
	v_addc_co_u32_e32 v6, vcc, v49, v24, vcc
	global_load_dwordx2 v[3:4], v[3:4], off
	v_mov_b32_e32 v7, v2
	global_load_dwordx2 v[29:30], v[5:6], off
	v_mov_b32_e32 v5, v2
	v_mov_b32_e32 v6, v2
	;; [unrolled: 1-line block ×13, first 2 shown]
.LBB42_12:                              ;   in Loop: Header=BB42_5 Depth=1
	s_or_b64 exec, exec, s[8:9]
	v_add_co_u32_e32 v31, vcc, 0xffffffc2, v79
	v_addc_co_u32_e32 v32, vcc, -1, v80, vcc
	v_cmp_gt_i64_e32 vcc, s[12:13], v[31:32]
	v_mov_b32_e32 v33, 0
	v_mov_b32_e32 v35, 0
	v_mov_b32_e32 v34, 0
	v_mov_b32_e32 v36, 0
	s_and_b64 s[34:35], s[2:3], vcc
	s_and_saveexec_b64 s[8:9], s[34:35]
	s_cbranch_execz .LBB42_14
; %bb.13:                               ;   in Loop: Header=BB42_5 Depth=1
	v_add_co_u32_e32 v5, vcc, v74, v23
	v_addc_co_u32_e32 v6, vcc, v75, v24, vcc
	v_add_co_u32_e32 v31, vcc, v76, v23
	v_addc_co_u32_e32 v32, vcc, v77, v24, vcc
	global_load_dwordx2 v[5:6], v[5:6], off
	s_nop 0
	global_load_dwordx2 v[35:36], v[31:32], off
.LBB42_14:                              ;   in Loop: Header=BB42_5 Depth=1
	s_or_b64 exec, exec, s[8:9]
	v_add_co_u32_e32 v31, vcc, 0xffffffc3, v79
	v_addc_co_u32_e32 v32, vcc, -1, v80, vcc
	v_cmp_gt_i64_e32 vcc, s[12:13], v[31:32]
	s_and_b64 s[34:35], s[2:3], vcc
	s_and_saveexec_b64 s[8:9], s[34:35]
	s_cbranch_execz .LBB42_16
; %bb.15:                               ;   in Loop: Header=BB42_5 Depth=1
	v_add_co_u32_e32 v7, vcc, v70, v23
	v_addc_co_u32_e32 v8, vcc, v71, v24, vcc
	v_add_co_u32_e32 v31, vcc, v72, v23
	v_addc_co_u32_e32 v32, vcc, v73, v24, vcc
	global_load_dwordx2 v[7:8], v[7:8], off
	s_nop 0
	global_load_dwordx2 v[33:34], v[31:32], off
.LBB42_16:                              ;   in Loop: Header=BB42_5 Depth=1
	s_or_b64 exec, exec, s[8:9]
	v_add_co_u32_e32 v31, vcc, 0xffffffc4, v79
	v_addc_co_u32_e32 v32, vcc, -1, v80, vcc
	v_cmp_gt_i64_e32 vcc, s[12:13], v[31:32]
	v_mov_b32_e32 v37, 0
	v_mov_b32_e32 v39, 0
	v_mov_b32_e32 v38, 0
	v_mov_b32_e32 v40, 0
	s_and_b64 s[34:35], s[2:3], vcc
	s_and_saveexec_b64 s[8:9], s[34:35]
	s_cbranch_execz .LBB42_18
; %bb.17:                               ;   in Loop: Header=BB42_5 Depth=1
	v_add_co_u32_e32 v9, vcc, v66, v23
	v_addc_co_u32_e32 v10, vcc, v67, v24, vcc
	v_add_co_u32_e32 v31, vcc, v68, v23
	v_addc_co_u32_e32 v32, vcc, v69, v24, vcc
	global_load_dwordx2 v[9:10], v[9:10], off
	s_nop 0
	global_load_dwordx2 v[39:40], v[31:32], off
.LBB42_18:                              ;   in Loop: Header=BB42_5 Depth=1
	s_or_b64 exec, exec, s[8:9]
	v_add_co_u32_e32 v31, vcc, 0xffffffc5, v79
	v_addc_co_u32_e32 v32, vcc, -1, v80, vcc
	v_cmp_gt_i64_e32 vcc, s[12:13], v[31:32]
	s_and_b64 s[34:35], s[2:3], vcc
	s_and_saveexec_b64 s[8:9], s[34:35]
	s_cbranch_execz .LBB42_20
; %bb.19:                               ;   in Loop: Header=BB42_5 Depth=1
	v_add_co_u32_e32 v11, vcc, v62, v23
	v_addc_co_u32_e32 v12, vcc, v63, v24, vcc
	v_add_co_u32_e32 v31, vcc, v64, v23
	v_addc_co_u32_e32 v32, vcc, v65, v24, vcc
	global_load_dwordx2 v[11:12], v[11:12], off
	s_nop 0
	global_load_dwordx2 v[37:38], v[31:32], off
.LBB42_20:                              ;   in Loop: Header=BB42_5 Depth=1
	;; [unrolled: 36-line block ×3, first 2 shown]
	s_or_b64 exec, exec, s[8:9]
	v_add_co_u32_e32 v31, vcc, 0xffffffc8, v79
	v_addc_co_u32_e32 v32, vcc, -1, v80, vcc
	v_cmp_gt_i64_e32 vcc, s[12:13], v[31:32]
	v_mov_b32_e32 v31, 0
	v_mov_b32_e32 v32, 0
	s_and_b64 s[34:35], s[2:3], vcc
	s_and_saveexec_b64 s[8:9], s[34:35]
	s_cbranch_execz .LBB42_26
; %bb.25:                               ;   in Loop: Header=BB42_5 Depth=1
	v_add_co_u32_e32 v17, vcc, v50, v23
	v_addc_co_u32_e32 v18, vcc, v51, v24, vcc
	v_add_co_u32_e32 v31, vcc, v52, v23
	v_addc_co_u32_e32 v32, vcc, v53, v24, vcc
	global_load_dwordx2 v[17:18], v[17:18], off
	s_nop 0
	global_load_dwordx2 v[31:32], v[31:32], off
.LBB42_26:                              ;   in Loop: Header=BB42_5 Depth=1
	s_or_b64 exec, exec, s[8:9]
	s_waitcnt vmcnt(1)
	ds_bpermute_b32 v81, v78, v25
	ds_bpermute_b32 v82, v78, v26
	s_waitcnt vmcnt(0)
	ds_bpermute_b32 v83, v78, v27
	ds_bpermute_b32 v85, v78, v25 offset:8
	ds_bpermute_b32 v86, v78, v26 offset:8
	ds_bpermute_b32 v84, v78, v28
	s_waitcnt lgkmcnt(4)
	v_add_f64 v[29:30], v[29:30], -v[81:82]
	ds_bpermute_b32 v81, v78, v25 offset:4
	ds_bpermute_b32 v82, v78, v26 offset:4
	s_waitcnt lgkmcnt(3)
	v_add_f64 v[33:34], v[33:34], -v[85:86]
	ds_bpermute_b32 v85, v78, v25 offset:16
	ds_bpermute_b32 v86, v78, v26 offset:16
	s_mov_b64 s[8:9], 0
	s_waitcnt lgkmcnt(2)
	v_add_f64 v[35:36], v[35:36], -v[81:82]
	v_mul_f64 v[29:30], v[3:4], v[29:30]
	v_add_f64 v[3:4], v[21:22], v[3:4]
	ds_bpermute_b32 v81, v78, v25 offset:12
	ds_bpermute_b32 v82, v78, v26 offset:12
	s_waitcnt lgkmcnt(2)
	v_add_f64 v[37:38], v[37:38], -v[85:86]
	v_mul_f64 v[35:36], v[5:6], v[35:36]
	v_fma_f64 v[29:30], v[29:30], v[83:84], v[19:20]
	ds_bpermute_b32 v83, v78, v27 offset:4
	ds_bpermute_b32 v84, v78, v28 offset:4
	s_waitcnt lgkmcnt(2)
	v_add_f64 v[39:40], v[39:40], -v[81:82]
	v_add_f64 v[3:4], v[5:6], v[3:4]
	v_mul_f64 v[5:6], v[7:8], v[33:34]
	ds_bpermute_b32 v33, v78, v27 offset:8
	ds_bpermute_b32 v34, v78, v28 offset:8
	s_waitcnt lgkmcnt(2)
	v_fma_f64 v[29:30], v[35:36], v[83:84], v[29:30]
	ds_bpermute_b32 v35, v78, v25 offset:20
	ds_bpermute_b32 v36, v78, v26 offset:20
	v_mul_f64 v[39:40], v[9:10], v[39:40]
	v_add_f64 v[3:4], v[7:8], v[3:4]
	ds_bpermute_b32 v7, v78, v27 offset:12
	ds_bpermute_b32 v8, v78, v28 offset:12
	s_waitcnt lgkmcnt(4)
	v_fma_f64 v[5:6], v[5:6], v[33:34], v[29:30]
	s_waitcnt lgkmcnt(2)
	v_add_f64 v[33:34], v[43:44], -v[35:36]
	v_mul_f64 v[35:36], v[11:12], v[37:38]
	ds_bpermute_b32 v29, v78, v25 offset:24
	v_add_f64 v[3:4], v[9:10], v[3:4]
	ds_bpermute_b32 v30, v78, v26 offset:24
	s_waitcnt lgkmcnt(2)
	v_fma_f64 v[5:6], v[39:40], v[7:8], v[5:6]
	ds_bpermute_b32 v7, v78, v27 offset:16
	ds_bpermute_b32 v8, v78, v28 offset:16
	s_waitcnt lgkmcnt(2)
	v_add_f64 v[9:10], v[41:42], -v[29:30]
	v_mul_f64 v[29:30], v[13:14], v[33:34]
	v_add_f64 v[3:4], v[11:12], v[3:4]
	ds_bpermute_b32 v11, v78, v27 offset:24
	ds_bpermute_b32 v12, v78, v28 offset:24
	s_waitcnt lgkmcnt(2)
	v_fma_f64 v[5:6], v[35:36], v[7:8], v[5:6]
	ds_bpermute_b32 v7, v78, v27 offset:20
	ds_bpermute_b32 v8, v78, v28 offset:20
	v_mul_f64 v[9:10], v[15:16], v[9:10]
	ds_bpermute_b32 v27, v78, v27 offset:28
	v_add_f64 v[3:4], v[13:14], v[3:4]
	ds_bpermute_b32 v28, v78, v28 offset:28
	s_waitcnt lgkmcnt(2)
	v_fma_f64 v[7:8], v[29:30], v[7:8], v[5:6]
	v_add_f64 v[5:6], v[15:16], v[3:4]
	v_fma_f64 v[3:4], v[9:10], v[11:12], v[7:8]
	ds_bpermute_b32 v7, v78, v25 offset:28
	ds_bpermute_b32 v8, v78, v26 offset:28
.LBB42_27:                              ;   in Loop: Header=BB42_5 Depth=1
	s_and_b64 vcc, exec, s[8:9]
	s_cbranch_vccz .LBB42_4
; %bb.28:                               ;   in Loop: Header=BB42_5 Depth=1
	s_load_dword s8, s[24:25], 0x0
	v_mov_b32_e32 v29, 0
	s_waitcnt lgkmcnt(0)
	v_mov_b32_e32 v27, 0
	v_mov_b32_e32 v25, 0
	;; [unrolled: 1-line block ×3, first 2 shown]
	s_cmp_lt_u32 s6, s8
	s_cselect_b32 s8, 12, 18
	s_add_u32 s8, s24, s8
	s_addc_u32 s9, s25, 0
	global_load_ushort v3, v2, s[8:9]
	v_mov_b32_e32 v28, 0
	v_mov_b32_e32 v26, 0
	s_waitcnt vmcnt(0)
	v_mad_u32_u24 v3, v1, v3, v0
	v_and_b32_e32 v3, 63, v3
	v_cmp_gt_u32_e32 vcc, 8, v3
	s_and_saveexec_b64 s[8:9], vcc
	s_cbranch_execz .LBB42_32
; %bb.29:                               ;   in Loop: Header=BB42_5 Depth=1
	v_add_co_u32_e32 v3, vcc, v79, v3
	v_addc_co_u32_e32 v4, vcc, 0, v80, vcc
	v_add_co_u32_e32 v3, vcc, 0xffffffc1, v3
	v_addc_co_u32_e32 v4, vcc, -1, v4, vcc
	v_cmp_gt_i64_e32 vcc, s[12:13], v[3:4]
	v_mov_b32_e32 v25, 0
	v_mov_b32_e32 v27, 0
	;; [unrolled: 1-line block ×4, first 2 shown]
	s_and_saveexec_b64 s[34:35], vcc
	s_cbranch_execz .LBB42_31
; %bb.30:                               ;   in Loop: Header=BB42_5 Depth=1
	v_lshlrev_b64 v[3:4], 3, v[3:4]
	v_mov_b32_e32 v6, s23
	v_add_co_u32_e32 v5, vcc, s22, v3
	v_addc_co_u32_e32 v6, vcc, v6, v4, vcc
	v_mov_b32_e32 v7, s21
	v_add_co_u32_e32 v3, vcc, s20, v3
	v_addc_co_u32_e32 v4, vcc, v7, v4, vcc
	global_load_dwordx2 v[25:26], v[3:4], off
	global_load_dwordx2 v[27:28], v[5:6], off
.LBB42_31:                              ;   in Loop: Header=BB42_5 Depth=1
	s_or_b64 exec, exec, s[34:35]
.LBB42_32:                              ;   in Loop: Header=BB42_5 Depth=1
	s_or_b64 exec, exec, s[8:9]
	v_mov_b32_e32 v3, v2
	v_mov_b32_e32 v4, v2
	;; [unrolled: 1-line block ×31, first 2 shown]
	s_and_saveexec_b64 s[8:9], s[2:3]
	s_cbranch_execz .LBB42_34
; %bb.33:                               ;   in Loop: Header=BB42_5 Depth=1
	v_add_co_u32_e32 v3, vcc, v46, v23
	v_addc_co_u32_e32 v4, vcc, v47, v24, vcc
	v_add_co_u32_e32 v5, vcc, v48, v23
	v_addc_co_u32_e32 v6, vcc, v49, v24, vcc
	global_load_dwordx2 v[3:4], v[3:4], off
	v_mov_b32_e32 v7, v2
	global_load_dwordx2 v[29:30], v[5:6], off
	v_mov_b32_e32 v5, v2
	v_mov_b32_e32 v6, v2
	;; [unrolled: 1-line block ×13, first 2 shown]
.LBB42_34:                              ;   in Loop: Header=BB42_5 Depth=1
	s_or_b64 exec, exec, s[8:9]
	v_mov_b32_e32 v33, 0
	v_mov_b32_e32 v37, 0
	v_mov_b32_e32 v34, 0
	v_mov_b32_e32 v38, 0
	s_and_saveexec_b64 s[8:9], s[2:3]
	s_cbranch_execz .LBB42_36
; %bb.35:                               ;   in Loop: Header=BB42_5 Depth=1
	v_add_co_u32_e32 v5, vcc, v74, v23
	v_addc_co_u32_e32 v6, vcc, v75, v24, vcc
	v_add_co_u32_e32 v31, vcc, v76, v23
	v_addc_co_u32_e32 v32, vcc, v77, v24, vcc
	global_load_dwordx2 v[5:6], v[5:6], off
	s_nop 0
	global_load_dwordx2 v[37:38], v[31:32], off
.LBB42_36:                              ;   in Loop: Header=BB42_5 Depth=1
	s_or_b64 exec, exec, s[8:9]
	s_and_saveexec_b64 s[8:9], s[2:3]
	s_cbranch_execz .LBB42_38
; %bb.37:                               ;   in Loop: Header=BB42_5 Depth=1
	v_add_co_u32_e32 v7, vcc, v70, v23
	v_addc_co_u32_e32 v8, vcc, v71, v24, vcc
	v_add_co_u32_e32 v31, vcc, v72, v23
	v_addc_co_u32_e32 v32, vcc, v73, v24, vcc
	global_load_dwordx2 v[7:8], v[7:8], off
	s_nop 0
	global_load_dwordx2 v[33:34], v[31:32], off
.LBB42_38:                              ;   in Loop: Header=BB42_5 Depth=1
	s_or_b64 exec, exec, s[8:9]
	v_mov_b32_e32 v35, 0
	v_mov_b32_e32 v39, 0
	v_mov_b32_e32 v36, 0
	v_mov_b32_e32 v40, 0
	s_and_saveexec_b64 s[8:9], s[2:3]
	s_cbranch_execz .LBB42_40
; %bb.39:                               ;   in Loop: Header=BB42_5 Depth=1
	v_add_co_u32_e32 v9, vcc, v66, v23
	v_addc_co_u32_e32 v10, vcc, v67, v24, vcc
	v_add_co_u32_e32 v31, vcc, v68, v23
	v_addc_co_u32_e32 v32, vcc, v69, v24, vcc
	global_load_dwordx2 v[9:10], v[9:10], off
	s_nop 0
	global_load_dwordx2 v[39:40], v[31:32], off
.LBB42_40:                              ;   in Loop: Header=BB42_5 Depth=1
	s_or_b64 exec, exec, s[8:9]
	s_and_saveexec_b64 s[8:9], s[2:3]
	s_cbranch_execz .LBB42_42
; %bb.41:                               ;   in Loop: Header=BB42_5 Depth=1
	v_add_co_u32_e32 v11, vcc, v62, v23
	v_addc_co_u32_e32 v12, vcc, v63, v24, vcc
	v_add_co_u32_e32 v31, vcc, v64, v23
	v_addc_co_u32_e32 v32, vcc, v65, v24, vcc
	global_load_dwordx2 v[11:12], v[11:12], off
	s_nop 0
	global_load_dwordx2 v[35:36], v[31:32], off
.LBB42_42:                              ;   in Loop: Header=BB42_5 Depth=1
	;; [unrolled: 28-line block ×3, first 2 shown]
	s_or_b64 exec, exec, s[8:9]
	v_mov_b32_e32 v31, 0
	v_mov_b32_e32 v32, 0
	s_and_saveexec_b64 s[8:9], s[2:3]
	s_cbranch_execz .LBB42_3
; %bb.47:                               ;   in Loop: Header=BB42_5 Depth=1
	v_add_co_u32_e32 v17, vcc, v50, v23
	v_addc_co_u32_e32 v18, vcc, v51, v24, vcc
	v_add_co_u32_e32 v31, vcc, v52, v23
	v_addc_co_u32_e32 v32, vcc, v53, v24, vcc
	global_load_dwordx2 v[17:18], v[17:18], off
	s_nop 0
	global_load_dwordx2 v[31:32], v[31:32], off
	s_branch .LBB42_3
.LBB42_48:
                                        ; implicit-def: $vgpr21_vgpr22
                                        ; implicit-def: $vgpr19_vgpr20
	s_branch .LBB42_50
.LBB42_49:
	s_cbranch_execnz .LBB42_81
.LBB42_50:
	v_mov_b32_e32 v21, 0
	v_mov_b32_e32 v19, 0
	;; [unrolled: 1-line block ×3, first 2 shown]
	s_and_b64 vcc, exec, s[0:1]
	v_mov_b32_e32 v20, 0
	s_cbranch_vccnz .LBB42_81
; %bb.51:
	v_lshlrev_b32_e32 v73, 3, v1
	v_add_co_u32_e32 v8, vcc, s10, v73
	v_addc_co_u32_e64 v9, s[0:1], 0, 0, vcc
	s_load_dword s7, s[4:5], 0x44
	v_mul_lo_u32 v4, s15, v8
	v_mul_lo_u32 v5, s14, v9
	v_mad_u64_u32 v[2:3], s[0:1], s14, v8, 0
	s_add_u32 s2, s4, 64
	s_addc_u32 s3, s5, 0
	v_add3_u32 v3, v3, v5, v4
	s_waitcnt lgkmcnt(0)
	s_lshl_b32 s7, s7, 6
	v_lshlrev_b64 v[4:5], 3, v[2:3]
	s_mul_i32 s0, s15, s7
	s_mul_hi_u32 s1, s14, s7
	v_mov_b32_e32 v6, s17
	v_add_co_u32_e32 v74, vcc, s16, v4
	s_add_i32 s1, s1, s0
	s_mul_i32 s0, s14, s7
	v_addc_co_u32_e32 v75, vcc, v6, v5, vcc
	s_lshl_b64 s[8:9], s[0:1], 3
	v_mov_b32_e32 v6, s19
	v_add_co_u32_e32 v76, vcc, s18, v4
	s_add_u32 s24, s10, 63
	v_addc_co_u32_e32 v77, vcc, v6, v5, vcc
	s_addc_u32 s25, 0, 0
	v_lshlrev_b32_e32 v4, 6, v1
	s_lshl_b64 s[0:1], s[10:11], 3
	v_mov_b32_e32 v5, s1
	v_add_co_u32_e32 v10, vcc, s0, v4
	v_addc_co_u32_e32 v11, vcc, 0, v5, vcc
	v_add_co_u32_e32 v12, vcc, 8, v10
	v_addc_co_u32_e32 v6, vcc, 0, v11, vcc
	v_mov_b32_e32 v4, s16
	v_mul_lo_u32 v14, s14, v6
	v_mov_b32_e32 v6, s18
	v_mov_b32_e32 v5, s17
	v_mov_b32_e32 v7, s19
	v_mad_u64_u32 v[23:24], s[0:1], s14, v12, v[4:5]
	v_mul_lo_u32 v15, s15, v12
	v_mad_u64_u32 v[25:26], s[0:1], s14, v12, v[6:7]
	v_add_co_u32_e32 v12, vcc, 16, v10
	v_addc_co_u32_e32 v16, vcc, 0, v11, vcc
	v_mov_b32_e32 v13, s15
	v_add_co_u32_e32 v2, vcc, s14, v2
	v_addc_co_u32_e32 v3, vcc, v3, v13, vcc
	v_mul_lo_u32 v17, s15, v12
	v_mad_u64_u32 v[27:28], s[0:1], s14, v12, v[4:5]
	v_mad_u64_u32 v[29:30], s[0:1], s14, v12, v[6:7]
	v_add_co_u32_e32 v12, vcc, 24, v10
	v_addc_co_u32_e32 v13, vcc, 0, v11, vcc
	v_add3_u32 v24, v15, v24, v14
	v_add3_u32 v26, v15, v26, v14
	v_mul_lo_u32 v13, s14, v13
	v_mul_lo_u32 v14, s15, v12
	v_mad_u64_u32 v[31:32], s[0:1], s14, v12, v[4:5]
	v_mad_u64_u32 v[33:34], s[0:1], s14, v12, v[6:7]
	v_add_co_u32_e32 v12, vcc, 32, v10
	v_mul_lo_u32 v16, s14, v16
	v_addc_co_u32_e32 v15, vcc, 0, v11, vcc
	v_mul_lo_u32 v18, s15, v12
	v_mad_u64_u32 v[35:36], s[0:1], s14, v12, v[4:5]
	v_mad_u64_u32 v[37:38], s[0:1], s14, v12, v[6:7]
	v_add_co_u32_e32 v12, vcc, 40, v10
	v_add3_u32 v32, v14, v32, v13
	v_add3_u32 v34, v14, v34, v13
	v_addc_co_u32_e32 v13, vcc, 0, v11, vcc
	v_mul_lo_u32 v14, s15, v12
	v_mad_u64_u32 v[39:40], s[0:1], s14, v12, v[4:5]
	v_mad_u64_u32 v[41:42], s[0:1], s14, v12, v[6:7]
	v_add_co_u32_e32 v12, vcc, 48, v10
	v_add3_u32 v28, v17, v28, v16
	v_add3_u32 v30, v17, v30, v16
	v_addc_co_u32_e32 v16, vcc, 0, v11, vcc
	v_add_co_u32_e32 v10, vcc, 56, v10
	v_addc_co_u32_e32 v11, vcc, 0, v11, vcc
	v_mad_u64_u32 v[43:44], s[0:1], s14, v12, v[4:5]
	v_mad_u64_u32 v[47:48], s[0:1], s14, v10, v[4:5]
	v_add_co_u32_e32 v4, vcc, 7, v8
	v_addc_co_u32_e32 v5, vcc, 0, v9, vcc
	v_mad_u64_u32 v[45:46], s[0:1], s14, v12, v[6:7]
	v_mad_u64_u32 v[49:50], s[0:1], s14, v10, v[6:7]
	v_mul_lo_u32 v6, s15, v10
	v_mul_lo_u32 v7, s14, v5
	;; [unrolled: 1-line block ×3, first 2 shown]
	v_mad_u64_u32 v[4:5], s[0:1], s14, v4, 0
	v_mul_lo_u32 v11, s14, v11
	v_mul_lo_u32 v17, s15, v12
	v_add3_u32 v5, v5, v7, v10
	v_lshlrev_b64 v[4:5], 3, v[4:5]
	v_add3_u32 v48, v6, v48, v11
	v_add3_u32 v50, v6, v50, v11
	v_mov_b32_e32 v6, s17
	v_add_co_u32_e32 v78, vcc, s16, v4
	v_addc_co_u32_e32 v79, vcc, v6, v5, vcc
	v_add_co_u32_e32 v6, vcc, 6, v8
	v_addc_co_u32_e32 v7, vcc, 0, v9, vcc
	v_mul_lo_u32 v11, s14, v7
	v_mul_lo_u32 v12, s15, v6
	v_mad_u64_u32 v[6:7], s[0:1], s14, v6, 0
	v_mov_b32_e32 v10, s19
	v_add_co_u32_e32 v80, vcc, s18, v4
	v_add3_u32 v7, v7, v11, v12
	v_addc_co_u32_e32 v81, vcc, v10, v5, vcc
	v_lshlrev_b64 v[4:5], 3, v[6:7]
	v_mov_b32_e32 v6, s17
	v_add_co_u32_e32 v82, vcc, s16, v4
	v_addc_co_u32_e32 v83, vcc, v6, v5, vcc
	v_add_co_u32_e32 v6, vcc, 5, v8
	v_addc_co_u32_e32 v7, vcc, 0, v9, vcc
	v_mul_lo_u32 v11, s14, v7
	v_mul_lo_u32 v12, s15, v6
	v_mad_u64_u32 v[6:7], s[0:1], s14, v6, 0
	v_add_co_u32_e32 v84, vcc, s18, v4
	v_add3_u32 v7, v7, v11, v12
	v_addc_co_u32_e32 v85, vcc, v10, v5, vcc
	v_lshlrev_b64 v[4:5], 3, v[6:7]
	v_mov_b32_e32 v6, s17
	v_add_co_u32_e32 v86, vcc, s16, v4
	v_addc_co_u32_e32 v87, vcc, v6, v5, vcc
	v_add_co_u32_e32 v6, vcc, 4, v8
	v_addc_co_u32_e32 v7, vcc, 0, v9, vcc
	v_mul_lo_u32 v11, s14, v7
	v_mul_lo_u32 v12, s15, v6
	v_mad_u64_u32 v[6:7], s[0:1], s14, v6, 0
	;; [unrolled: 12-line block ×4, first 2 shown]
	v_add_co_u32_e32 v96, vcc, s18, v4
	v_add3_u32 v7, v7, v8, v9
	v_addc_co_u32_e32 v97, vcc, v10, v5, vcc
	v_lshlrev_b64 v[4:5], 3, v[6:7]
	v_mov_b32_e32 v6, s17
	v_add_co_u32_e32 v98, vcc, s16, v4
	v_addc_co_u32_e32 v99, vcc, v6, v5, vcc
	v_mov_b32_e32 v6, s19
	v_add_co_u32_e32 v100, vcc, s18, v4
	v_lshlrev_b64 v[2:3], 3, v[2:3]
	v_addc_co_u32_e32 v101, vcc, v6, v5, vcc
	v_mov_b32_e32 v4, s17
	v_add_co_u32_e32 v102, vcc, s16, v2
	v_addc_co_u32_e32 v103, vcc, v4, v3, vcc
	v_mov_b32_e32 v4, s19
	v_add_co_u32_e32 v104, vcc, s18, v2
	v_mov_b32_e32 v2, 0
	v_mul_lo_u32 v15, s14, v15
	v_mul_lo_u32 v13, s14, v13
	;; [unrolled: 1-line block ×3, first 2 shown]
	v_addc_co_u32_e32 v105, vcc, v4, v3, vcc
	v_add_u32_e32 v3, s33, v0
	v_mov_b32_e32 v4, v2
	v_lshlrev_b64 v[51:52], 3, v[3:4]
	v_mbcnt_lo_u32_b32 v3, -1, 0
	v_mbcnt_hi_u32_b32 v3, -1, v3
	v_lshlrev_b32_e32 v3, 2, v3
	v_mov_b32_e32 v19, 0
	v_mov_b32_e32 v21, 0
	v_add3_u32 v36, v18, v36, v15
	v_add3_u32 v38, v18, v38, v15
	;; [unrolled: 1-line block ×6, first 2 shown]
	v_mov_b32_e32 v20, 0
	v_mov_b32_e32 v22, 0
	v_and_b32_e32 v106, 0x100, v3
	s_branch .LBB42_55
.LBB42_52:                              ;   in Loop: Header=BB42_55 Depth=1
	s_or_b64 exec, exec, s[16:17]
.LBB42_53:                              ;   in Loop: Header=BB42_55 Depth=1
	s_or_b64 exec, exec, s[0:1]
	v_add_co_u32_e32 v7, vcc, v76, v51
	v_addc_co_u32_e32 v8, vcc, v77, v52, vcc
	global_load_dwordx2 v[7:8], v[7:8], off
	v_add_co_u32_e32 v9, vcc, v74, v51
	v_addc_co_u32_e32 v10, vcc, v75, v52, vcc
	v_add_co_u32_e32 v11, vcc, v25, v51
	v_addc_co_u32_e32 v12, vcc, v26, v52, vcc
	global_load_dwordx2 v[9:10], v[9:10], off
	v_add_co_u32_e32 v13, vcc, v23, v51
	global_load_dwordx2 v[11:12], v[11:12], off
	v_addc_co_u32_e32 v14, vcc, v24, v52, vcc
	v_add_co_u32_e32 v15, vcc, v29, v51
	v_addc_co_u32_e32 v16, vcc, v30, v52, vcc
	global_load_dwordx2 v[53:54], v[15:16], off
	global_load_dwordx2 v[55:56], v[13:14], off
	v_add_co_u32_e32 v13, vcc, v27, v51
	v_addc_co_u32_e32 v14, vcc, v28, v52, vcc
	v_add_co_u32_e32 v15, vcc, v33, v51
	v_addc_co_u32_e32 v16, vcc, v34, v52, vcc
	global_load_dwordx2 v[13:14], v[13:14], off
	v_add_co_u32_e32 v17, vcc, v37, v51
	global_load_dwordx2 v[15:16], v[15:16], off
	v_addc_co_u32_e32 v18, vcc, v38, v52, vcc
	v_add_co_u32_e32 v57, vcc, v31, v51
	v_addc_co_u32_e32 v58, vcc, v32, v52, vcc
	global_load_dwordx2 v[57:58], v[57:58], off
	v_add_co_u32_e32 v59, vcc, v41, v51
	global_load_dwordx2 v[61:62], v[17:18], off
	v_addc_co_u32_e32 v60, vcc, v42, v52, vcc
	v_add_co_u32_e32 v17, vcc, v45, v51
	v_addc_co_u32_e32 v18, vcc, v46, v52, vcc
	global_load_dwordx2 v[63:64], v[59:60], off
	global_load_dwordx2 v[65:66], v[17:18], off
	v_add_co_u32_e32 v17, vcc, v35, v51
	v_addc_co_u32_e32 v18, vcc, v36, v52, vcc
	global_load_dwordx2 v[59:60], v[17:18], off
	v_add_co_u32_e32 v17, vcc, v39, v51
	v_addc_co_u32_e32 v18, vcc, v40, v52, vcc
	v_add_co_u32_e32 v67, vcc, v49, v51
	v_addc_co_u32_e32 v68, vcc, v50, v52, vcc
	global_load_dwordx2 v[69:70], v[17:18], off
	global_load_dwordx2 v[71:72], v[67:68], off
	v_add_co_u32_e32 v17, vcc, v43, v51
	v_addc_co_u32_e32 v18, vcc, v44, v52, vcc
	global_load_dwordx2 v[67:68], v[17:18], off
	v_add_co_u32_e32 v17, vcc, v47, v51
	v_addc_co_u32_e32 v18, vcc, v48, v52, vcc
	global_load_dwordx2 v[17:18], v[17:18], off
	s_waitcnt vmcnt(17)
	ds_bpermute_b32 v107, v106, v5
	ds_bpermute_b32 v108, v106, v6
	ds_bpermute_b32 v109, v106, v5 offset:8
	ds_bpermute_b32 v110, v106, v6 offset:8
	;; [unrolled: 1-line block ×4, first 2 shown]
	s_waitcnt vmcnt(15) lgkmcnt(4)
	v_add_f64 v[7:8], v[7:8], -v[107:108]
	ds_bpermute_b32 v107, v106, v5 offset:4
	ds_bpermute_b32 v108, v106, v6 offset:4
	s_waitcnt vmcnt(14)
	v_mul_f64 v[7:8], v[9:10], v[7:8]
	v_add_f64 v[9:10], v[21:22], v[9:10]
	ds_bpermute_b32 v21, v106, v5 offset:16
	s_waitcnt vmcnt(13) lgkmcnt(1)
	v_add_f64 v[11:12], v[11:12], -v[107:108]
	ds_bpermute_b32 v107, v106, v3
	ds_bpermute_b32 v108, v106, v4
	ds_bpermute_b32 v22, v106, v6 offset:16
	s_waitcnt vmcnt(12)
	v_add_f64 v[53:54], v[53:54], -v[109:110]
	s_waitcnt lgkmcnt(1)
	v_fma_f64 v[7:8], v[7:8], v[107:108], v[19:20]
	s_waitcnt vmcnt(11)
	v_mul_f64 v[11:12], v[55:56], v[11:12]
	ds_bpermute_b32 v19, v106, v3 offset:4
	ds_bpermute_b32 v20, v106, v4 offset:4
	v_add_f64 v[9:10], v[9:10], v[55:56]
	s_waitcnt vmcnt(10)
	v_mul_f64 v[53:54], v[13:14], v[53:54]
	s_waitcnt lgkmcnt(0)
	v_fma_f64 v[7:8], v[11:12], v[19:20], v[7:8]
	ds_bpermute_b32 v11, v106, v3 offset:8
	s_waitcnt vmcnt(9)
	v_add_f64 v[15:16], v[15:16], -v[111:112]
	ds_bpermute_b32 v12, v106, v4 offset:8
	v_add_f64 v[9:10], v[9:10], v[13:14]
	ds_bpermute_b32 v19, v106, v5 offset:20
	ds_bpermute_b32 v20, v106, v6 offset:20
	;; [unrolled: 1-line block ×3, first 2 shown]
	s_waitcnt lgkmcnt(3)
	v_fma_f64 v[7:8], v[53:54], v[11:12], v[7:8]
	ds_bpermute_b32 v14, v106, v4 offset:12
	s_waitcnt vmcnt(8)
	v_mul_f64 v[15:16], v[57:58], v[15:16]
	ds_bpermute_b32 v11, v106, v5 offset:24
	s_waitcnt vmcnt(7)
	v_add_f64 v[21:22], v[61:62], -v[21:22]
	v_add_f64 v[9:10], v[9:10], v[57:58]
	ds_bpermute_b32 v12, v106, v6 offset:24
	ds_bpermute_b32 v5, v106, v5 offset:28
	;; [unrolled: 1-line block ×3, first 2 shown]
	s_waitcnt vmcnt(6) lgkmcnt(6)
	v_add_f64 v[19:20], v[63:64], -v[19:20]
	s_waitcnt lgkmcnt(4)
	v_fma_f64 v[7:8], v[15:16], v[13:14], v[7:8]
	ds_bpermute_b32 v13, v106, v3 offset:16
	ds_bpermute_b32 v14, v106, v4 offset:16
	s_waitcnt vmcnt(5) lgkmcnt(4)
	v_add_f64 v[11:12], v[65:66], -v[11:12]
	s_waitcnt vmcnt(4)
	v_mul_f64 v[21:22], v[59:60], v[21:22]
	v_add_f64 v[9:10], v[9:10], v[59:60]
	s_waitcnt vmcnt(3)
	v_mul_f64 v[15:16], v[69:70], v[19:20]
	s_waitcnt lgkmcnt(0)
	v_fma_f64 v[7:8], v[21:22], v[13:14], v[7:8]
	s_waitcnt vmcnt(2)
	v_add_f64 v[5:6], v[71:72], -v[5:6]
	ds_bpermute_b32 v13, v106, v3 offset:20
	ds_bpermute_b32 v14, v106, v4 offset:20
	v_add_f64 v[9:10], v[9:10], v[69:70]
	s_waitcnt vmcnt(1)
	v_mul_f64 v[11:12], v[67:68], v[11:12]
	ds_bpermute_b32 v19, v106, v3 offset:24
	ds_bpermute_b32 v20, v106, v4 offset:24
	s_waitcnt lgkmcnt(2)
	v_fma_f64 v[7:8], v[15:16], v[13:14], v[7:8]
	ds_bpermute_b32 v13, v106, v3 offset:28
	s_waitcnt vmcnt(0)
	v_mul_f64 v[5:6], v[17:18], v[5:6]
	ds_bpermute_b32 v14, v106, v4 offset:28
	v_add_f64 v[3:4], v[9:10], v[67:68]
	s_waitcnt lgkmcnt(2)
	v_fma_f64 v[7:8], v[11:12], v[19:20], v[7:8]
	s_waitcnt lgkmcnt(0)
	v_mul_f64 v[5:6], v[5:6], v[13:14]
.LBB42_54:                              ;   in Loop: Header=BB42_55 Depth=1
	v_add_f64 v[19:20], v[7:8], v[5:6]
	v_mov_b32_e32 v5, s9
	v_add_co_u32_e32 v74, vcc, s8, v74
	v_addc_co_u32_e32 v75, vcc, v75, v5, vcc
	v_add_co_u32_e32 v76, vcc, s8, v76
	v_addc_co_u32_e32 v77, vcc, v77, v5, vcc
	v_add_co_u32_e32 v23, vcc, s8, v23
	v_addc_co_u32_e32 v24, vcc, v24, v5, vcc
	v_add_co_u32_e32 v27, vcc, s8, v27
	v_addc_co_u32_e32 v28, vcc, v28, v5, vcc
	v_add_co_u32_e32 v31, vcc, s8, v31
	v_addc_co_u32_e32 v32, vcc, v32, v5, vcc
	v_add_co_u32_e32 v35, vcc, s8, v35
	v_addc_co_u32_e32 v36, vcc, v36, v5, vcc
	v_add_co_u32_e32 v39, vcc, s8, v39
	v_addc_co_u32_e32 v40, vcc, v40, v5, vcc
	v_add_co_u32_e32 v43, vcc, s8, v43
	v_addc_co_u32_e32 v44, vcc, v44, v5, vcc
	v_add_co_u32_e32 v47, vcc, s8, v47
	v_addc_co_u32_e32 v48, vcc, v48, v5, vcc
	v_add_co_u32_e32 v25, vcc, s8, v25
	v_addc_co_u32_e32 v26, vcc, v26, v5, vcc
	v_add_co_u32_e32 v29, vcc, s8, v29
	v_addc_co_u32_e32 v30, vcc, v30, v5, vcc
	v_add_co_u32_e32 v33, vcc, s8, v33
	v_addc_co_u32_e32 v34, vcc, v34, v5, vcc
	v_add_co_u32_e32 v37, vcc, s8, v37
	v_addc_co_u32_e32 v38, vcc, v38, v5, vcc
	v_add_co_u32_e32 v41, vcc, s8, v41
	v_addc_co_u32_e32 v42, vcc, v42, v5, vcc
	v_add_co_u32_e32 v45, vcc, s8, v45
	v_addc_co_u32_e32 v46, vcc, v46, v5, vcc
	v_add_co_u32_e32 v49, vcc, s8, v49
	v_addc_co_u32_e32 v50, vcc, v50, v5, vcc
	v_add_co_u32_e32 v78, vcc, s8, v78
	v_addc_co_u32_e32 v79, vcc, v79, v5, vcc
	v_add_co_u32_e32 v80, vcc, s8, v80
	v_addc_co_u32_e32 v81, vcc, v81, v5, vcc
	v_add_co_u32_e32 v82, vcc, s8, v82
	v_addc_co_u32_e32 v83, vcc, v83, v5, vcc
	v_add_co_u32_e32 v84, vcc, s8, v84
	v_addc_co_u32_e32 v85, vcc, v85, v5, vcc
	v_add_co_u32_e32 v86, vcc, s8, v86
	v_addc_co_u32_e32 v87, vcc, v87, v5, vcc
	v_add_co_u32_e32 v88, vcc, s8, v88
	v_addc_co_u32_e32 v89, vcc, v89, v5, vcc
	v_add_co_u32_e32 v90, vcc, s8, v90
	v_addc_co_u32_e32 v91, vcc, v91, v5, vcc
	v_add_co_u32_e32 v92, vcc, s8, v92
	v_addc_co_u32_e32 v93, vcc, v93, v5, vcc
	v_add_co_u32_e32 v94, vcc, s8, v94
	v_addc_co_u32_e32 v95, vcc, v95, v5, vcc
	v_add_co_u32_e32 v96, vcc, s8, v96
	v_addc_co_u32_e32 v97, vcc, v97, v5, vcc
	v_add_co_u32_e32 v98, vcc, s8, v98
	v_add_f64 v[21:22], v[3:4], v[17:18]
	v_addc_co_u32_e32 v99, vcc, v99, v5, vcc
	v_add_co_u32_e32 v100, vcc, s8, v100
	v_addc_co_u32_e32 v101, vcc, v101, v5, vcc
	s_add_u32 s10, s10, s7
	v_add_co_u32_e32 v102, vcc, s8, v102
	v_mov_b32_e32 v3, s12
	s_addc_u32 s11, s11, 0
	v_addc_co_u32_e32 v103, vcc, v103, v5, vcc
	v_mov_b32_e32 v4, s13
	v_cmp_ge_i64_e32 vcc, s[10:11], v[3:4]
	s_add_u32 s24, s24, s7
	v_add_co_u32_e64 v104, s[0:1], s8, v104
	s_addc_u32 s25, s25, 0
	v_addc_co_u32_e64 v105, s[0:1], v105, v5, s[0:1]
	s_cbranch_vccnz .LBB42_81
.LBB42_55:                              ; =>This Inner Loop Header: Depth=1
	v_mov_b32_e32 v3, s12
	v_mov_b32_e32 v4, s13
	v_cmp_ge_i64_e32 vcc, s[24:25], v[3:4]
	v_mov_b32_e32 v3, s25
	v_add_co_u32_e64 v107, s[0:1], s24, v73
	v_addc_co_u32_e64 v108, s[0:1], 0, v3, s[0:1]
	s_mov_b64 s[0:1], -1
	s_and_b64 vcc, exec, vcc
                                        ; implicit-def: $vgpr17_vgpr18
                                        ; implicit-def: $vgpr5_vgpr6
                                        ; implicit-def: $vgpr3_vgpr4
                                        ; implicit-def: $vgpr7_vgpr8
	s_cbranch_vccz .LBB42_77
; %bb.56:                               ;   in Loop: Header=BB42_55 Depth=1
	s_load_dword s0, s[2:3], 0xc
	v_mov_b32_e32 v57, 0
	v_mov_b32_e32 v53, 0
	;; [unrolled: 1-line block ×4, first 2 shown]
	s_waitcnt lgkmcnt(0)
	s_and_b32 s0, s0, 0xffff
	v_mad_u32_u24 v3, v1, s0, v0
	v_and_b32_e32 v3, 63, v3
	v_mov_b32_e32 v54, 0
	v_mov_b32_e32 v56, 0
	v_cmp_gt_u32_e32 vcc, 8, v3
	s_and_saveexec_b64 s[0:1], vcc
	s_cbranch_execz .LBB42_60
; %bb.57:                               ;   in Loop: Header=BB42_55 Depth=1
	v_add_co_u32_e32 v3, vcc, v107, v3
	v_addc_co_u32_e32 v4, vcc, 0, v108, vcc
	v_add_co_u32_e32 v3, vcc, 0xffffffc1, v3
	v_addc_co_u32_e32 v4, vcc, -1, v4, vcc
	v_cmp_gt_i64_e32 vcc, s[12:13], v[3:4]
	v_mov_b32_e32 v55, 0
	v_mov_b32_e32 v53, 0
	;; [unrolled: 1-line block ×4, first 2 shown]
	s_and_saveexec_b64 s[16:17], vcc
	s_cbranch_execz .LBB42_59
; %bb.58:                               ;   in Loop: Header=BB42_55 Depth=1
	v_lshlrev_b64 v[3:4], 3, v[3:4]
	v_mov_b32_e32 v6, s23
	v_add_co_u32_e32 v5, vcc, s22, v3
	v_addc_co_u32_e32 v6, vcc, v6, v4, vcc
	v_mov_b32_e32 v7, s21
	v_add_co_u32_e32 v3, vcc, s20, v3
	v_addc_co_u32_e32 v4, vcc, v7, v4, vcc
	global_load_dwordx2 v[55:56], v[3:4], off
	global_load_dwordx2 v[53:54], v[5:6], off
.LBB42_59:                              ;   in Loop: Header=BB42_55 Depth=1
	s_or_b64 exec, exec, s[16:17]
.LBB42_60:                              ;   in Loop: Header=BB42_55 Depth=1
	s_or_b64 exec, exec, s[0:1]
	v_add_co_u32_e32 v3, vcc, 0xffffffc1, v107
	v_addc_co_u32_e32 v4, vcc, -1, v108, vcc
	v_cmp_gt_i64_e32 vcc, s[12:13], v[3:4]
	v_mov_b32_e32 v3, v2
	v_mov_b32_e32 v4, v2
	;; [unrolled: 1-line block ×31, first 2 shown]
	s_and_saveexec_b64 s[0:1], vcc
	s_cbranch_execz .LBB42_62
; %bb.61:                               ;   in Loop: Header=BB42_55 Depth=1
	v_add_co_u32_e32 v3, vcc, v74, v51
	v_addc_co_u32_e32 v4, vcc, v75, v52, vcc
	v_add_co_u32_e32 v5, vcc, v76, v51
	v_addc_co_u32_e32 v6, vcc, v77, v52, vcc
	global_load_dwordx2 v[3:4], v[3:4], off
	v_mov_b32_e32 v7, v2
	global_load_dwordx2 v[57:58], v[5:6], off
	v_mov_b32_e32 v5, v2
	v_mov_b32_e32 v6, v2
	;; [unrolled: 1-line block ×13, first 2 shown]
.LBB42_62:                              ;   in Loop: Header=BB42_55 Depth=1
	s_or_b64 exec, exec, s[0:1]
	v_add_co_u32_e32 v59, vcc, 0xffffffc2, v107
	v_addc_co_u32_e32 v60, vcc, -1, v108, vcc
	v_cmp_gt_i64_e32 vcc, s[12:13], v[59:60]
	v_mov_b32_e32 v59, 0
	v_mov_b32_e32 v61, 0
	v_mov_b32_e32 v60, 0
	v_mov_b32_e32 v62, 0
	s_and_saveexec_b64 s[0:1], vcc
	s_cbranch_execz .LBB42_64
; %bb.63:                               ;   in Loop: Header=BB42_55 Depth=1
	v_add_co_u32_e32 v5, vcc, v102, v51
	v_addc_co_u32_e32 v6, vcc, v103, v52, vcc
	v_add_co_u32_e32 v61, vcc, v104, v51
	v_addc_co_u32_e32 v62, vcc, v105, v52, vcc
	global_load_dwordx2 v[5:6], v[5:6], off
	s_nop 0
	global_load_dwordx2 v[61:62], v[61:62], off
.LBB42_64:                              ;   in Loop: Header=BB42_55 Depth=1
	s_or_b64 exec, exec, s[0:1]
	v_add_co_u32_e32 v63, vcc, 0xffffffc3, v107
	v_addc_co_u32_e32 v64, vcc, -1, v108, vcc
	v_cmp_gt_i64_e32 vcc, s[12:13], v[63:64]
	s_and_saveexec_b64 s[0:1], vcc
	s_cbranch_execz .LBB42_66
; %bb.65:                               ;   in Loop: Header=BB42_55 Depth=1
	v_add_co_u32_e32 v7, vcc, v98, v51
	v_addc_co_u32_e32 v8, vcc, v99, v52, vcc
	v_add_co_u32_e32 v59, vcc, v100, v51
	v_addc_co_u32_e32 v60, vcc, v101, v52, vcc
	global_load_dwordx2 v[7:8], v[7:8], off
	s_nop 0
	global_load_dwordx2 v[59:60], v[59:60], off
.LBB42_66:                              ;   in Loop: Header=BB42_55 Depth=1
	s_or_b64 exec, exec, s[0:1]
	v_add_co_u32_e32 v63, vcc, 0xffffffc4, v107
	v_addc_co_u32_e32 v64, vcc, -1, v108, vcc
	v_cmp_gt_i64_e32 vcc, s[12:13], v[63:64]
	v_mov_b32_e32 v63, 0
	v_mov_b32_e32 v65, 0
	v_mov_b32_e32 v64, 0
	v_mov_b32_e32 v66, 0
	s_and_saveexec_b64 s[0:1], vcc
	s_cbranch_execz .LBB42_68
; %bb.67:                               ;   in Loop: Header=BB42_55 Depth=1
	v_add_co_u32_e32 v9, vcc, v94, v51
	v_addc_co_u32_e32 v10, vcc, v95, v52, vcc
	v_add_co_u32_e32 v65, vcc, v96, v51
	v_addc_co_u32_e32 v66, vcc, v97, v52, vcc
	global_load_dwordx2 v[9:10], v[9:10], off
	s_nop 0
	global_load_dwordx2 v[65:66], v[65:66], off
.LBB42_68:                              ;   in Loop: Header=BB42_55 Depth=1
	s_or_b64 exec, exec, s[0:1]
	v_add_co_u32_e32 v67, vcc, 0xffffffc5, v107
	v_addc_co_u32_e32 v68, vcc, -1, v108, vcc
	v_cmp_gt_i64_e32 vcc, s[12:13], v[67:68]
	s_and_saveexec_b64 s[0:1], vcc
	s_cbranch_execz .LBB42_70
; %bb.69:                               ;   in Loop: Header=BB42_55 Depth=1
	v_add_co_u32_e32 v11, vcc, v90, v51
	v_addc_co_u32_e32 v12, vcc, v91, v52, vcc
	v_add_co_u32_e32 v63, vcc, v92, v51
	v_addc_co_u32_e32 v64, vcc, v93, v52, vcc
	global_load_dwordx2 v[11:12], v[11:12], off
	s_nop 0
	global_load_dwordx2 v[63:64], v[63:64], off
.LBB42_70:                              ;   in Loop: Header=BB42_55 Depth=1
	;; [unrolled: 34-line block ×3, first 2 shown]
	s_or_b64 exec, exec, s[0:1]
	v_add_co_u32_e32 v71, vcc, 0xffffffc8, v107
	v_addc_co_u32_e32 v72, vcc, -1, v108, vcc
	v_cmp_gt_i64_e32 vcc, s[12:13], v[71:72]
	v_mov_b32_e32 v71, 0
	v_mov_b32_e32 v72, 0
	s_and_saveexec_b64 s[0:1], vcc
	s_cbranch_execz .LBB42_76
; %bb.75:                               ;   in Loop: Header=BB42_55 Depth=1
	v_add_co_u32_e32 v17, vcc, v78, v51
	v_addc_co_u32_e32 v18, vcc, v79, v52, vcc
	v_add_co_u32_e32 v71, vcc, v80, v51
	v_addc_co_u32_e32 v72, vcc, v81, v52, vcc
	global_load_dwordx2 v[17:18], v[17:18], off
	s_nop 0
	global_load_dwordx2 v[71:72], v[71:72], off
.LBB42_76:                              ;   in Loop: Header=BB42_55 Depth=1
	s_or_b64 exec, exec, s[0:1]
	s_waitcnt vmcnt(1)
	ds_bpermute_b32 v109, v106, v55
	ds_bpermute_b32 v110, v106, v56
	s_waitcnt vmcnt(0)
	ds_bpermute_b32 v111, v106, v53
	ds_bpermute_b32 v113, v106, v55 offset:8
	ds_bpermute_b32 v114, v106, v56 offset:8
	ds_bpermute_b32 v112, v106, v54
	s_waitcnt lgkmcnt(4)
	v_add_f64 v[57:58], v[57:58], -v[109:110]
	ds_bpermute_b32 v109, v106, v55 offset:4
	ds_bpermute_b32 v110, v106, v56 offset:4
	s_waitcnt lgkmcnt(3)
	v_add_f64 v[59:60], v[59:60], -v[113:114]
	ds_bpermute_b32 v113, v106, v55 offset:16
	ds_bpermute_b32 v114, v106, v56 offset:16
	s_mov_b64 s[0:1], 0
	s_waitcnt lgkmcnt(2)
	v_add_f64 v[61:62], v[61:62], -v[109:110]
	v_mul_f64 v[57:58], v[3:4], v[57:58]
	v_add_f64 v[3:4], v[21:22], v[3:4]
	ds_bpermute_b32 v109, v106, v55 offset:12
	ds_bpermute_b32 v110, v106, v56 offset:12
	s_waitcnt lgkmcnt(2)
	v_add_f64 v[63:64], v[63:64], -v[113:114]
	v_mul_f64 v[61:62], v[5:6], v[61:62]
	v_fma_f64 v[57:58], v[57:58], v[111:112], v[19:20]
	ds_bpermute_b32 v111, v106, v53 offset:4
	ds_bpermute_b32 v112, v106, v54 offset:4
	s_waitcnt lgkmcnt(2)
	v_add_f64 v[65:66], v[65:66], -v[109:110]
	v_add_f64 v[3:4], v[5:6], v[3:4]
	v_mul_f64 v[5:6], v[7:8], v[59:60]
	ds_bpermute_b32 v59, v106, v53 offset:8
	ds_bpermute_b32 v60, v106, v54 offset:8
	s_waitcnt lgkmcnt(2)
	v_fma_f64 v[57:58], v[61:62], v[111:112], v[57:58]
	ds_bpermute_b32 v61, v106, v55 offset:20
	ds_bpermute_b32 v62, v106, v56 offset:20
	v_mul_f64 v[65:66], v[9:10], v[65:66]
	v_add_f64 v[3:4], v[7:8], v[3:4]
	ds_bpermute_b32 v7, v106, v53 offset:12
	ds_bpermute_b32 v8, v106, v54 offset:12
	s_waitcnt lgkmcnt(4)
	v_fma_f64 v[5:6], v[5:6], v[59:60], v[57:58]
	s_waitcnt lgkmcnt(2)
	v_add_f64 v[59:60], v[69:70], -v[61:62]
	v_mul_f64 v[61:62], v[11:12], v[63:64]
	ds_bpermute_b32 v57, v106, v55 offset:24
	v_add_f64 v[3:4], v[9:10], v[3:4]
	ds_bpermute_b32 v58, v106, v56 offset:24
	ds_bpermute_b32 v9, v106, v55 offset:28
	;; [unrolled: 1-line block ×3, first 2 shown]
	s_waitcnt lgkmcnt(4)
	v_fma_f64 v[5:6], v[65:66], v[7:8], v[5:6]
	ds_bpermute_b32 v7, v106, v53 offset:16
	ds_bpermute_b32 v8, v106, v54 offset:16
	s_waitcnt lgkmcnt(4)
	v_add_f64 v[55:56], v[67:68], -v[57:58]
	v_mul_f64 v[57:58], v[13:14], v[59:60]
	v_add_f64 v[3:4], v[11:12], v[3:4]
	ds_bpermute_b32 v11, v106, v53 offset:24
	ds_bpermute_b32 v12, v106, v54 offset:24
	s_waitcnt lgkmcnt(2)
	v_fma_f64 v[5:6], v[61:62], v[7:8], v[5:6]
	v_add_f64 v[7:8], v[71:72], -v[9:10]
	ds_bpermute_b32 v9, v106, v53 offset:20
	ds_bpermute_b32 v10, v106, v54 offset:20
	v_mul_f64 v[55:56], v[15:16], v[55:56]
	v_add_f64 v[3:4], v[13:14], v[3:4]
	ds_bpermute_b32 v13, v106, v53 offset:28
	ds_bpermute_b32 v14, v106, v54 offset:28
	s_waitcnt lgkmcnt(2)
	v_fma_f64 v[5:6], v[57:58], v[9:10], v[5:6]
	v_mul_f64 v[9:10], v[17:18], v[7:8]
	v_add_f64 v[3:4], v[15:16], v[3:4]
	v_fma_f64 v[7:8], v[55:56], v[11:12], v[5:6]
	s_waitcnt lgkmcnt(0)
	v_mul_f64 v[5:6], v[9:10], v[13:14]
.LBB42_77:                              ;   in Loop: Header=BB42_55 Depth=1
	s_and_b64 vcc, exec, s[0:1]
	s_cbranch_vccz .LBB42_54
; %bb.78:                               ;   in Loop: Header=BB42_55 Depth=1
	s_load_dword s0, s[2:3], 0x0
	v_mov_b32_e32 v3, 0
	v_mov_b32_e32 v4, 0
	s_waitcnt lgkmcnt(0)
	s_cmp_lt_u32 s6, s0
	s_cselect_b32 s0, 12, 18
	s_add_u32 s0, s2, s0
	s_addc_u32 s1, s3, 0
	global_load_ushort v5, v2, s[0:1]
	s_waitcnt vmcnt(0)
	v_mad_u32_u24 v5, v1, v5, v0
	v_and_b32_e32 v7, 63, v5
	v_mov_b32_e32 v5, 0
	v_mov_b32_e32 v6, 0
	v_cmp_gt_u32_e32 vcc, 8, v7
	s_and_saveexec_b64 s[0:1], vcc
	s_cbranch_execz .LBB42_53
; %bb.79:                               ;   in Loop: Header=BB42_55 Depth=1
	v_add_co_u32_e32 v3, vcc, v107, v7
	v_addc_co_u32_e32 v4, vcc, 0, v108, vcc
	v_add_co_u32_e32 v7, vcc, 0xffffffc1, v3
	v_addc_co_u32_e32 v8, vcc, -1, v4, vcc
	v_cmp_gt_i64_e32 vcc, s[12:13], v[7:8]
	v_mov_b32_e32 v5, 0
	v_mov_b32_e32 v3, 0
	;; [unrolled: 1-line block ×4, first 2 shown]
	s_and_saveexec_b64 s[16:17], vcc
	s_cbranch_execz .LBB42_52
; %bb.80:                               ;   in Loop: Header=BB42_55 Depth=1
	v_lshlrev_b64 v[3:4], 3, v[7:8]
	v_mov_b32_e32 v5, s23
	v_add_co_u32_e32 v7, vcc, s22, v3
	v_addc_co_u32_e32 v8, vcc, v5, v4, vcc
	v_mov_b32_e32 v5, s21
	v_add_co_u32_e32 v9, vcc, s20, v3
	v_addc_co_u32_e32 v10, vcc, v5, v4, vcc
	global_load_dwordx2 v[5:6], v[9:10], off
	global_load_dwordx2 v[3:4], v[7:8], off
	s_branch .LBB42_52
.LBB42_81:
	v_mad_u32_u24 v2, v1, 33, v0
	v_sub_u32_e32 v6, v2, v1
	s_movk_i32 s0, 0x800
	v_lshl_add_u32 v3, v2, 3, 0
	v_cmp_gt_u32_e32 vcc, s0, v6
	ds_write_b64 v3, v[19:20]
	ds_write_b64 v3, v[21:22] offset:2112
	s_waitcnt lgkmcnt(0)
	s_barrier
	s_and_saveexec_b64 s[0:1], vcc
	s_cbranch_execz .LBB42_145
; %bb.82:
	s_load_dwordx4 s[8:11], s[4:5], 0x30
	v_and_b32_e32 v1, 63, v6
	v_lshrrev_b32_e32 v8, 6, v6
	v_cmp_gt_u32_e64 s[0:1], 8, v1
	v_mul_u32_u24_e32 v7, 33, v1
                                        ; implicit-def: $vgpr1_vgpr2
                                        ; implicit-def: $vgpr3_vgpr4
	s_and_saveexec_b64 s[2:3], s[0:1]
	s_cbranch_execz .LBB42_84
; %bb.83:
	v_add_u32_e32 v1, v8, v7
	v_lshl_add_u32 v1, v1, 3, 0
	ds_read_b64 v[3:4], v1
	ds_read_b64 v[1:2], v1 offset:2112
.LBB42_84:
	s_or_b64 exec, exec, s[2:3]
	v_mbcnt_lo_u32_b32 v5, -1, 0
	v_mbcnt_hi_u32_b32 v5, -1, v5
	v_and_b32_e32 v9, 64, v5
	v_add_u32_e32 v15, 64, v9
	v_xor_b32_e32 v9, 4, v5
	v_cmp_lt_i32_e32 vcc, v9, v15
	v_cndmask_b32_e32 v9, v5, v9, vcc
	v_lshlrev_b32_e32 v9, 2, v9
	s_waitcnt lgkmcnt(0)
	ds_bpermute_b32 v10, v9, v3
	ds_bpermute_b32 v11, v9, v4
	ds_bpermute_b32 v12, v9, v1
	ds_bpermute_b32 v13, v9, v2
	v_cmp_eq_u32_e64 s[2:3], 0, v0
	s_mov_b32 s7, 0
	s_waitcnt lgkmcnt(2)
	v_add_f64 v[3:4], v[3:4], v[10:11]
	v_xor_b32_e32 v10, 2, v5
	s_waitcnt lgkmcnt(0)
	v_add_f64 v[1:2], v[1:2], v[12:13]
	v_cmp_lt_i32_e32 vcc, v10, v15
	v_cndmask_b32_e32 v10, v5, v10, vcc
	v_lshlrev_b32_e32 v10, 2, v10
	s_lshl_b64 s[4:5], s[6:7], 5
	s_cmp_lg_u64 s[8:9], 0
	ds_bpermute_b32 v11, v10, v3
	ds_bpermute_b32 v12, v10, v4
	;; [unrolled: 1-line block ×4, first 2 shown]
	s_cselect_b64 s[12:13], -1, 0
	s_cmp_lg_u64 s[10:11], 0
	s_waitcnt lgkmcnt(2)
	v_add_f64 v[3:4], v[3:4], v[11:12]
	s_cselect_b64 s[6:7], -1, 0
	s_waitcnt lgkmcnt(0)
	v_add_f64 v[12:13], v[1:2], v[13:14]
	v_xor_b32_e32 v1, 1, v5
	v_cmp_lt_i32_e32 vcc, v1, v15
	v_cndmask_b32_e32 v1, v5, v1, vcc
	v_lshlrev_b32_e32 v11, 2, v1
	v_mov_b32_e32 v5, s5
	ds_bpermute_b32 v1, v11, v3
	ds_bpermute_b32 v2, v11, v4
	ds_bpermute_b32 v14, v11, v12
	ds_bpermute_b32 v15, v11, v13
	s_waitcnt lgkmcnt(2)
	v_add_f64 v[0:1], v[3:4], v[1:2]
	v_or_b32_e32 v4, s4, v8
	s_waitcnt lgkmcnt(0)
	v_add_f64 v[2:3], v[12:13], v[14:15]
	v_cmp_gt_i64_e32 vcc, s[14:15], v[4:5]
	s_and_b64 s[18:19], s[2:3], vcc
	s_and_saveexec_b64 s[16:17], s[18:19]
	s_cbranch_execz .LBB42_89
; %bb.85:
	v_lshlrev_b64 v[4:5], 3, v[4:5]
	s_andn2_b64 vcc, exec, s[12:13]
	s_cbranch_vccnz .LBB42_87
; %bb.86:
	v_mov_b32_e32 v13, s9
	v_add_co_u32_e32 v12, vcc, s8, v4
	v_addc_co_u32_e32 v13, vcc, v13, v5, vcc
	global_store_dwordx2 v[12:13], v[0:1], off
.LBB42_87:
	s_andn2_b64 vcc, exec, s[6:7]
	s_cbranch_vccnz .LBB42_89
; %bb.88:
	v_mov_b32_e32 v12, s11
	v_add_co_u32_e32 v4, vcc, s10, v4
	v_addc_co_u32_e32 v5, vcc, v12, v5, vcc
	global_store_dwordx2 v[4:5], v[2:3], off
.LBB42_89:
	s_or_b64 exec, exec, s[16:17]
	s_movk_i32 s16, 0x700
	v_cmp_gt_u32_e32 vcc, s16, v6
	s_and_b64 exec, exec, vcc
	s_cbranch_execz .LBB42_145
; %bb.90:
	s_and_saveexec_b64 s[16:17], s[0:1]
	s_cbranch_execz .LBB42_92
; %bb.91:
	v_add_u32_e32 v0, v8, v7
	v_lshl_add_u32 v2, v0, 3, 0
	ds_read_b64 v[0:1], v2 offset:32
	ds_read_b64 v[2:3], v2 offset:2144
.LBB42_92:
	s_or_b64 exec, exec, s[16:17]
	s_waitcnt lgkmcnt(1)
	ds_bpermute_b32 v4, v9, v0
	ds_bpermute_b32 v5, v9, v1
	s_waitcnt lgkmcnt(2)
	ds_bpermute_b32 v12, v9, v2
	ds_bpermute_b32 v13, v9, v3
	v_add_u32_e32 v14, 4, v8
	s_waitcnt lgkmcnt(2)
	v_add_f64 v[0:1], v[0:1], v[4:5]
	s_waitcnt lgkmcnt(0)
	v_add_f64 v[2:3], v[2:3], v[12:13]
	ds_bpermute_b32 v4, v10, v0
	ds_bpermute_b32 v5, v10, v1
	ds_bpermute_b32 v12, v10, v2
	ds_bpermute_b32 v13, v10, v3
	s_waitcnt lgkmcnt(2)
	v_add_f64 v[0:1], v[0:1], v[4:5]
	s_waitcnt lgkmcnt(0)
	v_add_f64 v[2:3], v[2:3], v[12:13]
	ds_bpermute_b32 v4, v11, v0
	ds_bpermute_b32 v5, v11, v1
	ds_bpermute_b32 v12, v11, v2
	ds_bpermute_b32 v13, v11, v3
	s_waitcnt lgkmcnt(2)
	v_add_f64 v[0:1], v[0:1], v[4:5]
	v_mov_b32_e32 v5, s5
	s_waitcnt lgkmcnt(0)
	v_add_f64 v[2:3], v[2:3], v[12:13]
	v_add_co_u32_e32 v4, vcc, s4, v14
	v_addc_co_u32_e32 v5, vcc, 0, v5, vcc
	v_cmp_gt_i64_e32 vcc, s[14:15], v[4:5]
	s_and_b64 s[18:19], s[2:3], vcc
	s_and_saveexec_b64 s[16:17], s[18:19]
	s_cbranch_execz .LBB42_97
; %bb.93:
	s_andn2_b64 vcc, exec, s[12:13]
	s_cbranch_vccnz .LBB42_95
; %bb.94:
	v_mov_b32_e32 v5, s5
	v_add_co_u32_e32 v4, vcc, s4, v8
	v_addc_co_u32_e32 v5, vcc, 0, v5, vcc
	v_lshlrev_b64 v[4:5], 3, v[4:5]
	v_mov_b32_e32 v12, s9
	v_add_co_u32_e32 v4, vcc, s8, v4
	v_addc_co_u32_e32 v5, vcc, v12, v5, vcc
	global_store_dwordx2 v[4:5], v[0:1], off offset:32
.LBB42_95:
	s_andn2_b64 vcc, exec, s[6:7]
	s_cbranch_vccnz .LBB42_97
; %bb.96:
	v_mov_b32_e32 v5, s5
	v_add_co_u32_e32 v4, vcc, s4, v8
	v_addc_co_u32_e32 v5, vcc, 0, v5, vcc
	v_lshlrev_b64 v[4:5], 3, v[4:5]
	v_mov_b32_e32 v12, s11
	v_add_co_u32_e32 v4, vcc, s10, v4
	v_addc_co_u32_e32 v5, vcc, v12, v5, vcc
	global_store_dwordx2 v[4:5], v[2:3], off offset:32
.LBB42_97:
	s_or_b64 exec, exec, s[16:17]
	s_movk_i32 s16, 0x600
	v_cmp_gt_u32_e32 vcc, s16, v6
	s_and_b64 exec, exec, vcc
	s_cbranch_execz .LBB42_145
; %bb.98:
	s_and_saveexec_b64 s[16:17], s[0:1]
	s_cbranch_execz .LBB42_100
; %bb.99:
	v_add_u32_e32 v0, v8, v7
	v_lshl_add_u32 v2, v0, 3, 0
	ds_read_b64 v[0:1], v2 offset:64
	ds_read_b64 v[2:3], v2 offset:2176
.LBB42_100:
	s_or_b64 exec, exec, s[16:17]
	s_waitcnt lgkmcnt(1)
	ds_bpermute_b32 v4, v9, v0
	ds_bpermute_b32 v5, v9, v1
	s_waitcnt lgkmcnt(2)
	ds_bpermute_b32 v12, v9, v2
	ds_bpermute_b32 v13, v9, v3
	v_add_u32_e32 v14, 8, v8
	s_waitcnt lgkmcnt(2)
	v_add_f64 v[0:1], v[0:1], v[4:5]
	s_waitcnt lgkmcnt(0)
	v_add_f64 v[2:3], v[2:3], v[12:13]
	ds_bpermute_b32 v4, v10, v0
	ds_bpermute_b32 v5, v10, v1
	ds_bpermute_b32 v12, v10, v2
	ds_bpermute_b32 v13, v10, v3
	s_waitcnt lgkmcnt(2)
	v_add_f64 v[0:1], v[0:1], v[4:5]
	s_waitcnt lgkmcnt(0)
	v_add_f64 v[2:3], v[2:3], v[12:13]
	ds_bpermute_b32 v4, v11, v0
	ds_bpermute_b32 v5, v11, v1
	;; [unrolled: 1-line block ×4, first 2 shown]
	s_waitcnt lgkmcnt(2)
	v_add_f64 v[0:1], v[0:1], v[4:5]
	v_mov_b32_e32 v5, s5
	s_waitcnt lgkmcnt(0)
	v_add_f64 v[2:3], v[2:3], v[12:13]
	v_add_co_u32_e32 v4, vcc, s4, v14
	v_addc_co_u32_e32 v5, vcc, 0, v5, vcc
	v_cmp_gt_i64_e32 vcc, s[14:15], v[4:5]
	s_and_b64 s[18:19], s[2:3], vcc
	s_and_saveexec_b64 s[16:17], s[18:19]
	s_cbranch_execz .LBB42_105
; %bb.101:
	s_andn2_b64 vcc, exec, s[12:13]
	s_cbranch_vccnz .LBB42_103
; %bb.102:
	v_mov_b32_e32 v5, s5
	v_add_co_u32_e32 v4, vcc, s4, v8
	v_addc_co_u32_e32 v5, vcc, 0, v5, vcc
	v_lshlrev_b64 v[4:5], 3, v[4:5]
	v_mov_b32_e32 v12, s9
	v_add_co_u32_e32 v4, vcc, s8, v4
	v_addc_co_u32_e32 v5, vcc, v12, v5, vcc
	global_store_dwordx2 v[4:5], v[0:1], off offset:64
.LBB42_103:
	s_andn2_b64 vcc, exec, s[6:7]
	s_cbranch_vccnz .LBB42_105
; %bb.104:
	v_mov_b32_e32 v5, s5
	v_add_co_u32_e32 v4, vcc, s4, v8
	v_addc_co_u32_e32 v5, vcc, 0, v5, vcc
	v_lshlrev_b64 v[4:5], 3, v[4:5]
	v_mov_b32_e32 v12, s11
	v_add_co_u32_e32 v4, vcc, s10, v4
	v_addc_co_u32_e32 v5, vcc, v12, v5, vcc
	global_store_dwordx2 v[4:5], v[2:3], off offset:64
.LBB42_105:
	s_or_b64 exec, exec, s[16:17]
	s_movk_i32 s16, 0x500
	v_cmp_gt_u32_e32 vcc, s16, v6
	s_and_b64 exec, exec, vcc
	s_cbranch_execz .LBB42_145
; %bb.106:
	s_and_saveexec_b64 s[16:17], s[0:1]
	s_cbranch_execz .LBB42_108
; %bb.107:
	v_add_u32_e32 v0, v8, v7
	v_lshl_add_u32 v2, v0, 3, 0
	ds_read_b64 v[0:1], v2 offset:96
	ds_read_b64 v[2:3], v2 offset:2208
.LBB42_108:
	s_or_b64 exec, exec, s[16:17]
	s_waitcnt lgkmcnt(1)
	ds_bpermute_b32 v4, v9, v0
	ds_bpermute_b32 v5, v9, v1
	s_waitcnt lgkmcnt(2)
	ds_bpermute_b32 v12, v9, v2
	ds_bpermute_b32 v13, v9, v3
	v_add_u32_e32 v14, 12, v8
	s_waitcnt lgkmcnt(2)
	v_add_f64 v[0:1], v[0:1], v[4:5]
	s_waitcnt lgkmcnt(0)
	v_add_f64 v[2:3], v[2:3], v[12:13]
	ds_bpermute_b32 v4, v10, v0
	ds_bpermute_b32 v5, v10, v1
	ds_bpermute_b32 v12, v10, v2
	ds_bpermute_b32 v13, v10, v3
	s_waitcnt lgkmcnt(2)
	v_add_f64 v[0:1], v[0:1], v[4:5]
	s_waitcnt lgkmcnt(0)
	v_add_f64 v[2:3], v[2:3], v[12:13]
	ds_bpermute_b32 v4, v11, v0
	ds_bpermute_b32 v5, v11, v1
	;; [unrolled: 1-line block ×4, first 2 shown]
	s_waitcnt lgkmcnt(2)
	v_add_f64 v[0:1], v[0:1], v[4:5]
	v_mov_b32_e32 v5, s5
	s_waitcnt lgkmcnt(0)
	v_add_f64 v[2:3], v[2:3], v[12:13]
	v_add_co_u32_e32 v4, vcc, s4, v14
	v_addc_co_u32_e32 v5, vcc, 0, v5, vcc
	v_cmp_gt_i64_e32 vcc, s[14:15], v[4:5]
	s_and_b64 s[18:19], s[2:3], vcc
	s_and_saveexec_b64 s[16:17], s[18:19]
	s_cbranch_execz .LBB42_113
; %bb.109:
	s_andn2_b64 vcc, exec, s[12:13]
	s_cbranch_vccnz .LBB42_111
; %bb.110:
	v_mov_b32_e32 v5, s5
	v_add_co_u32_e32 v4, vcc, s4, v8
	v_addc_co_u32_e32 v5, vcc, 0, v5, vcc
	v_lshlrev_b64 v[4:5], 3, v[4:5]
	v_mov_b32_e32 v12, s9
	v_add_co_u32_e32 v4, vcc, s8, v4
	v_addc_co_u32_e32 v5, vcc, v12, v5, vcc
	global_store_dwordx2 v[4:5], v[0:1], off offset:96
.LBB42_111:
	s_andn2_b64 vcc, exec, s[6:7]
	s_cbranch_vccnz .LBB42_113
; %bb.112:
	v_mov_b32_e32 v5, s5
	v_add_co_u32_e32 v4, vcc, s4, v8
	v_addc_co_u32_e32 v5, vcc, 0, v5, vcc
	v_lshlrev_b64 v[4:5], 3, v[4:5]
	v_mov_b32_e32 v12, s11
	v_add_co_u32_e32 v4, vcc, s10, v4
	v_addc_co_u32_e32 v5, vcc, v12, v5, vcc
	global_store_dwordx2 v[4:5], v[2:3], off offset:96
.LBB42_113:
	s_or_b64 exec, exec, s[16:17]
	s_movk_i32 s16, 0x400
	v_cmp_gt_u32_e32 vcc, s16, v6
	s_and_b64 exec, exec, vcc
	s_cbranch_execz .LBB42_145
; %bb.114:
	s_and_saveexec_b64 s[16:17], s[0:1]
	s_cbranch_execz .LBB42_116
; %bb.115:
	v_add_u32_e32 v0, v8, v7
	v_lshl_add_u32 v2, v0, 3, 0
	ds_read_b64 v[0:1], v2 offset:128
	ds_read_b64 v[2:3], v2 offset:2240
.LBB42_116:
	s_or_b64 exec, exec, s[16:17]
	s_waitcnt lgkmcnt(1)
	ds_bpermute_b32 v4, v9, v0
	ds_bpermute_b32 v5, v9, v1
	s_waitcnt lgkmcnt(2)
	ds_bpermute_b32 v12, v9, v2
	ds_bpermute_b32 v13, v9, v3
	s_waitcnt lgkmcnt(2)
	v_add_f64 v[0:1], v[0:1], v[4:5]
	s_waitcnt lgkmcnt(0)
	v_add_f64 v[2:3], v[2:3], v[12:13]
	ds_bpermute_b32 v4, v10, v0
	ds_bpermute_b32 v5, v10, v1
	;; [unrolled: 1-line block ×4, first 2 shown]
	s_waitcnt lgkmcnt(2)
	v_add_f64 v[0:1], v[0:1], v[4:5]
	s_waitcnt lgkmcnt(0)
	v_add_f64 v[2:3], v[2:3], v[12:13]
	ds_bpermute_b32 v4, v11, v0
	ds_bpermute_b32 v5, v11, v1
	;; [unrolled: 1-line block ×4, first 2 shown]
	s_waitcnt lgkmcnt(2)
	v_add_f64 v[0:1], v[0:1], v[4:5]
	v_add_u32_e32 v4, 16, v8
	s_waitcnt lgkmcnt(0)
	v_add_f64 v[2:3], v[2:3], v[12:13]
	v_or_b32_e32 v4, s4, v4
	v_mov_b32_e32 v5, s5
	v_cmp_gt_i64_e32 vcc, s[14:15], v[4:5]
	s_and_b64 s[18:19], s[2:3], vcc
	s_and_saveexec_b64 s[16:17], s[18:19]
	s_cbranch_execz .LBB42_121
; %bb.117:
	s_andn2_b64 vcc, exec, s[12:13]
	s_cbranch_vccnz .LBB42_119
; %bb.118:
	v_mov_b32_e32 v5, s5
	v_add_co_u32_e32 v4, vcc, s4, v8
	v_addc_co_u32_e32 v5, vcc, 0, v5, vcc
	v_lshlrev_b64 v[4:5], 3, v[4:5]
	v_mov_b32_e32 v12, s9
	v_add_co_u32_e32 v4, vcc, s8, v4
	v_addc_co_u32_e32 v5, vcc, v12, v5, vcc
	global_store_dwordx2 v[4:5], v[0:1], off offset:128
.LBB42_119:
	s_andn2_b64 vcc, exec, s[6:7]
	s_cbranch_vccnz .LBB42_121
; %bb.120:
	v_mov_b32_e32 v5, s5
	v_add_co_u32_e32 v4, vcc, s4, v8
	v_addc_co_u32_e32 v5, vcc, 0, v5, vcc
	v_lshlrev_b64 v[4:5], 3, v[4:5]
	v_mov_b32_e32 v12, s11
	v_add_co_u32_e32 v4, vcc, s10, v4
	v_addc_co_u32_e32 v5, vcc, v12, v5, vcc
	global_store_dwordx2 v[4:5], v[2:3], off offset:128
.LBB42_121:
	s_or_b64 exec, exec, s[16:17]
	s_movk_i32 s16, 0x300
	v_cmp_gt_u32_e32 vcc, s16, v6
	s_and_b64 exec, exec, vcc
	s_cbranch_execz .LBB42_145
; %bb.122:
	s_and_saveexec_b64 s[16:17], s[0:1]
	s_cbranch_execz .LBB42_124
; %bb.123:
	v_add_u32_e32 v0, v8, v7
	v_lshl_add_u32 v2, v0, 3, 0
	ds_read_b64 v[0:1], v2 offset:160
	ds_read_b64 v[2:3], v2 offset:2272
.LBB42_124:
	s_or_b64 exec, exec, s[16:17]
	s_waitcnt lgkmcnt(1)
	ds_bpermute_b32 v4, v9, v0
	ds_bpermute_b32 v5, v9, v1
	s_waitcnt lgkmcnt(2)
	ds_bpermute_b32 v12, v9, v2
	ds_bpermute_b32 v13, v9, v3
	v_add_u32_e32 v14, 20, v8
	s_waitcnt lgkmcnt(2)
	v_add_f64 v[0:1], v[0:1], v[4:5]
	s_waitcnt lgkmcnt(0)
	v_add_f64 v[2:3], v[2:3], v[12:13]
	ds_bpermute_b32 v4, v10, v0
	ds_bpermute_b32 v5, v10, v1
	;; [unrolled: 1-line block ×4, first 2 shown]
	s_waitcnt lgkmcnt(2)
	v_add_f64 v[0:1], v[0:1], v[4:5]
	s_waitcnt lgkmcnt(0)
	v_add_f64 v[2:3], v[2:3], v[12:13]
	ds_bpermute_b32 v4, v11, v0
	ds_bpermute_b32 v5, v11, v1
	;; [unrolled: 1-line block ×4, first 2 shown]
	s_waitcnt lgkmcnt(2)
	v_add_f64 v[0:1], v[0:1], v[4:5]
	v_mov_b32_e32 v5, s5
	s_waitcnt lgkmcnt(0)
	v_add_f64 v[2:3], v[2:3], v[12:13]
	v_add_co_u32_e32 v4, vcc, s4, v14
	v_addc_co_u32_e32 v5, vcc, 0, v5, vcc
	v_cmp_gt_i64_e32 vcc, s[14:15], v[4:5]
	s_and_b64 s[18:19], s[2:3], vcc
	s_and_saveexec_b64 s[16:17], s[18:19]
	s_cbranch_execz .LBB42_129
; %bb.125:
	s_andn2_b64 vcc, exec, s[12:13]
	s_cbranch_vccnz .LBB42_127
; %bb.126:
	v_mov_b32_e32 v5, s5
	v_add_co_u32_e32 v4, vcc, s4, v8
	v_addc_co_u32_e32 v5, vcc, 0, v5, vcc
	v_lshlrev_b64 v[4:5], 3, v[4:5]
	v_mov_b32_e32 v12, s9
	v_add_co_u32_e32 v4, vcc, s8, v4
	v_addc_co_u32_e32 v5, vcc, v12, v5, vcc
	global_store_dwordx2 v[4:5], v[0:1], off offset:160
.LBB42_127:
	s_andn2_b64 vcc, exec, s[6:7]
	s_cbranch_vccnz .LBB42_129
; %bb.128:
	v_mov_b32_e32 v5, s5
	v_add_co_u32_e32 v4, vcc, s4, v8
	v_addc_co_u32_e32 v5, vcc, 0, v5, vcc
	v_lshlrev_b64 v[4:5], 3, v[4:5]
	v_mov_b32_e32 v12, s11
	v_add_co_u32_e32 v4, vcc, s10, v4
	v_addc_co_u32_e32 v5, vcc, v12, v5, vcc
	global_store_dwordx2 v[4:5], v[2:3], off offset:160
.LBB42_129:
	s_or_b64 exec, exec, s[16:17]
	s_movk_i32 s16, 0x200
	v_cmp_gt_u32_e32 vcc, s16, v6
	s_and_b64 exec, exec, vcc
	s_cbranch_execz .LBB42_145
; %bb.130:
	s_and_saveexec_b64 s[16:17], s[0:1]
	s_cbranch_execz .LBB42_132
; %bb.131:
	v_add_u32_e32 v0, v8, v7
	v_lshl_add_u32 v2, v0, 3, 0
	ds_read_b64 v[0:1], v2 offset:192
	ds_read_b64 v[2:3], v2 offset:2304
.LBB42_132:
	s_or_b64 exec, exec, s[16:17]
	s_waitcnt lgkmcnt(1)
	ds_bpermute_b32 v4, v9, v0
	ds_bpermute_b32 v5, v9, v1
	s_waitcnt lgkmcnt(2)
	ds_bpermute_b32 v12, v9, v2
	ds_bpermute_b32 v13, v9, v3
	s_waitcnt lgkmcnt(2)
	v_add_f64 v[0:1], v[0:1], v[4:5]
	s_waitcnt lgkmcnt(0)
	v_add_f64 v[2:3], v[2:3], v[12:13]
	ds_bpermute_b32 v4, v10, v0
	ds_bpermute_b32 v5, v10, v1
	;; [unrolled: 1-line block ×4, first 2 shown]
	s_waitcnt lgkmcnt(2)
	v_add_f64 v[0:1], v[0:1], v[4:5]
	s_waitcnt lgkmcnt(0)
	v_add_f64 v[2:3], v[2:3], v[12:13]
	ds_bpermute_b32 v4, v11, v0
	ds_bpermute_b32 v5, v11, v1
	;; [unrolled: 1-line block ×4, first 2 shown]
	s_waitcnt lgkmcnt(2)
	v_add_f64 v[0:1], v[0:1], v[4:5]
	v_add_u32_e32 v4, 24, v8
	s_waitcnt lgkmcnt(0)
	v_add_f64 v[2:3], v[2:3], v[12:13]
	v_or_b32_e32 v4, s4, v4
	v_mov_b32_e32 v5, s5
	v_cmp_gt_i64_e32 vcc, s[14:15], v[4:5]
	s_and_b64 s[18:19], s[2:3], vcc
	s_and_saveexec_b64 s[16:17], s[18:19]
	s_cbranch_execz .LBB42_137
; %bb.133:
	s_andn2_b64 vcc, exec, s[12:13]
	s_cbranch_vccnz .LBB42_135
; %bb.134:
	v_mov_b32_e32 v5, s5
	v_add_co_u32_e32 v4, vcc, s4, v8
	v_addc_co_u32_e32 v5, vcc, 0, v5, vcc
	v_lshlrev_b64 v[4:5], 3, v[4:5]
	v_mov_b32_e32 v12, s9
	v_add_co_u32_e32 v4, vcc, s8, v4
	v_addc_co_u32_e32 v5, vcc, v12, v5, vcc
	global_store_dwordx2 v[4:5], v[0:1], off offset:192
.LBB42_135:
	s_andn2_b64 vcc, exec, s[6:7]
	s_cbranch_vccnz .LBB42_137
; %bb.136:
	v_mov_b32_e32 v5, s5
	v_add_co_u32_e32 v4, vcc, s4, v8
	v_addc_co_u32_e32 v5, vcc, 0, v5, vcc
	v_lshlrev_b64 v[4:5], 3, v[4:5]
	v_mov_b32_e32 v12, s11
	v_add_co_u32_e32 v4, vcc, s10, v4
	v_addc_co_u32_e32 v5, vcc, v12, v5, vcc
	global_store_dwordx2 v[4:5], v[2:3], off offset:192
.LBB42_137:
	s_or_b64 exec, exec, s[16:17]
	s_movk_i32 s16, 0x100
	v_cmp_gt_u32_e32 vcc, s16, v6
	s_and_b64 exec, exec, vcc
	s_cbranch_execz .LBB42_145
; %bb.138:
	s_and_saveexec_b64 s[16:17], s[0:1]
	s_cbranch_execz .LBB42_140
; %bb.139:
	v_add_u32_e32 v0, v8, v7
	v_lshl_add_u32 v2, v0, 3, 0
	ds_read_b64 v[0:1], v2 offset:224
	ds_read_b64 v[2:3], v2 offset:2336
.LBB42_140:
	s_or_b64 exec, exec, s[16:17]
	s_waitcnt lgkmcnt(1)
	ds_bpermute_b32 v4, v9, v0
	ds_bpermute_b32 v5, v9, v1
	s_waitcnt lgkmcnt(2)
	ds_bpermute_b32 v6, v9, v2
	ds_bpermute_b32 v7, v9, v3
	v_add_u32_e32 v9, 28, v8
	v_or_b32_e32 v9, s4, v9
	s_waitcnt lgkmcnt(2)
	v_add_f64 v[0:1], v[0:1], v[4:5]
	s_waitcnt lgkmcnt(0)
	v_add_f64 v[2:3], v[2:3], v[6:7]
	ds_bpermute_b32 v4, v10, v0
	ds_bpermute_b32 v5, v10, v1
	;; [unrolled: 1-line block ×4, first 2 shown]
	v_mov_b32_e32 v10, s5
	v_cmp_gt_i64_e32 vcc, s[14:15], v[9:10]
	s_waitcnt lgkmcnt(2)
	v_add_f64 v[4:5], v[0:1], v[4:5]
	s_and_b64 s[0:1], s[2:3], vcc
	s_waitcnt lgkmcnt(0)
	v_add_f64 v[0:1], v[2:3], v[6:7]
	ds_bpermute_b32 v6, v11, v4
	ds_bpermute_b32 v7, v11, v5
	;; [unrolled: 1-line block ×4, first 2 shown]
	s_and_b64 exec, exec, s[0:1]
	s_cbranch_execz .LBB42_145
; %bb.141:
	s_andn2_b64 vcc, exec, s[12:13]
	s_cbranch_vccnz .LBB42_143
; %bb.142:
	s_waitcnt lgkmcnt(2)
	v_add_f64 v[4:5], v[4:5], v[6:7]
	v_mov_b32_e32 v7, s5
	v_add_co_u32_e32 v6, vcc, s4, v8
	v_addc_co_u32_e32 v7, vcc, 0, v7, vcc
	v_lshlrev_b64 v[6:7], 3, v[6:7]
	v_mov_b32_e32 v9, s9
	v_add_co_u32_e32 v6, vcc, s8, v6
	v_addc_co_u32_e32 v7, vcc, v9, v7, vcc
	global_store_dwordx2 v[6:7], v[4:5], off offset:224
.LBB42_143:
	s_andn2_b64 vcc, exec, s[6:7]
	s_cbranch_vccnz .LBB42_145
; %bb.144:
	s_waitcnt lgkmcnt(0)
	v_add_f64 v[0:1], v[0:1], v[2:3]
	v_mov_b32_e32 v3, s5
	v_add_co_u32_e32 v2, vcc, s4, v8
	v_addc_co_u32_e32 v3, vcc, 0, v3, vcc
	v_lshlrev_b64 v[2:3], 3, v[2:3]
	v_mov_b32_e32 v4, s11
	v_add_co_u32_e32 v2, vcc, s10, v2
	v_addc_co_u32_e32 v3, vcc, v4, v3, vcc
	global_store_dwordx2 v[2:3], v[0:1], off offset:224
.LBB42_145:
	s_endpgm
	.section	.rodata,"a",@progbits
	.p2align	6, 0x0
	.amdhsa_kernel _ZN2at6native12_GLOBAL__N_135GammaBetaBackwardCUDAKernelTemplateIddLj32ELj8ELj64ELb0ELb0ELb0EEEvllPKT_S5_PKT0_S8_PS3_S9_
		.amdhsa_group_segment_fixed_size 0
		.amdhsa_private_segment_fixed_size 0
		.amdhsa_kernarg_size 320
		.amdhsa_user_sgpr_count 6
		.amdhsa_user_sgpr_private_segment_buffer 1
		.amdhsa_user_sgpr_dispatch_ptr 0
		.amdhsa_user_sgpr_queue_ptr 0
		.amdhsa_user_sgpr_kernarg_segment_ptr 1
		.amdhsa_user_sgpr_dispatch_id 0
		.amdhsa_user_sgpr_flat_scratch_init 0
		.amdhsa_user_sgpr_private_segment_size 0
		.amdhsa_uses_dynamic_stack 0
		.amdhsa_system_sgpr_private_segment_wavefront_offset 0
		.amdhsa_system_sgpr_workgroup_id_x 1
		.amdhsa_system_sgpr_workgroup_id_y 1
		.amdhsa_system_sgpr_workgroup_id_z 0
		.amdhsa_system_sgpr_workgroup_info 0
		.amdhsa_system_vgpr_workitem_id 1
		.amdhsa_next_free_vgpr 115
		.amdhsa_next_free_sgpr 36
		.amdhsa_reserve_vcc 1
		.amdhsa_reserve_flat_scratch 0
		.amdhsa_float_round_mode_32 0
		.amdhsa_float_round_mode_16_64 0
		.amdhsa_float_denorm_mode_32 3
		.amdhsa_float_denorm_mode_16_64 3
		.amdhsa_dx10_clamp 1
		.amdhsa_ieee_mode 1
		.amdhsa_fp16_overflow 0
		.amdhsa_exception_fp_ieee_invalid_op 0
		.amdhsa_exception_fp_denorm_src 0
		.amdhsa_exception_fp_ieee_div_zero 0
		.amdhsa_exception_fp_ieee_overflow 0
		.amdhsa_exception_fp_ieee_underflow 0
		.amdhsa_exception_fp_ieee_inexact 0
		.amdhsa_exception_int_div_zero 0
	.end_amdhsa_kernel
	.section	.text._ZN2at6native12_GLOBAL__N_135GammaBetaBackwardCUDAKernelTemplateIddLj32ELj8ELj64ELb0ELb0ELb0EEEvllPKT_S5_PKT0_S8_PS3_S9_,"axG",@progbits,_ZN2at6native12_GLOBAL__N_135GammaBetaBackwardCUDAKernelTemplateIddLj32ELj8ELj64ELb0ELb0ELb0EEEvllPKT_S5_PKT0_S8_PS3_S9_,comdat
.Lfunc_end42:
	.size	_ZN2at6native12_GLOBAL__N_135GammaBetaBackwardCUDAKernelTemplateIddLj32ELj8ELj64ELb0ELb0ELb0EEEvllPKT_S5_PKT0_S8_PS3_S9_, .Lfunc_end42-_ZN2at6native12_GLOBAL__N_135GammaBetaBackwardCUDAKernelTemplateIddLj32ELj8ELj64ELb0ELb0ELb0EEEvllPKT_S5_PKT0_S8_PS3_S9_
                                        ; -- End function
	.set _ZN2at6native12_GLOBAL__N_135GammaBetaBackwardCUDAKernelTemplateIddLj32ELj8ELj64ELb0ELb0ELb0EEEvllPKT_S5_PKT0_S8_PS3_S9_.num_vgpr, 115
	.set _ZN2at6native12_GLOBAL__N_135GammaBetaBackwardCUDAKernelTemplateIddLj32ELj8ELj64ELb0ELb0ELb0EEEvllPKT_S5_PKT0_S8_PS3_S9_.num_agpr, 0
	.set _ZN2at6native12_GLOBAL__N_135GammaBetaBackwardCUDAKernelTemplateIddLj32ELj8ELj64ELb0ELb0ELb0EEEvllPKT_S5_PKT0_S8_PS3_S9_.numbered_sgpr, 36
	.set _ZN2at6native12_GLOBAL__N_135GammaBetaBackwardCUDAKernelTemplateIddLj32ELj8ELj64ELb0ELb0ELb0EEEvllPKT_S5_PKT0_S8_PS3_S9_.num_named_barrier, 0
	.set _ZN2at6native12_GLOBAL__N_135GammaBetaBackwardCUDAKernelTemplateIddLj32ELj8ELj64ELb0ELb0ELb0EEEvllPKT_S5_PKT0_S8_PS3_S9_.private_seg_size, 0
	.set _ZN2at6native12_GLOBAL__N_135GammaBetaBackwardCUDAKernelTemplateIddLj32ELj8ELj64ELb0ELb0ELb0EEEvllPKT_S5_PKT0_S8_PS3_S9_.uses_vcc, 1
	.set _ZN2at6native12_GLOBAL__N_135GammaBetaBackwardCUDAKernelTemplateIddLj32ELj8ELj64ELb0ELb0ELb0EEEvllPKT_S5_PKT0_S8_PS3_S9_.uses_flat_scratch, 0
	.set _ZN2at6native12_GLOBAL__N_135GammaBetaBackwardCUDAKernelTemplateIddLj32ELj8ELj64ELb0ELb0ELb0EEEvllPKT_S5_PKT0_S8_PS3_S9_.has_dyn_sized_stack, 0
	.set _ZN2at6native12_GLOBAL__N_135GammaBetaBackwardCUDAKernelTemplateIddLj32ELj8ELj64ELb0ELb0ELb0EEEvllPKT_S5_PKT0_S8_PS3_S9_.has_recursion, 0
	.set _ZN2at6native12_GLOBAL__N_135GammaBetaBackwardCUDAKernelTemplateIddLj32ELj8ELj64ELb0ELb0ELb0EEEvllPKT_S5_PKT0_S8_PS3_S9_.has_indirect_call, 0
	.section	.AMDGPU.csdata,"",@progbits
; Kernel info:
; codeLenInByte = 10900
; TotalNumSgprs: 40
; NumVgprs: 115
; ScratchSize: 0
; MemoryBound: 0
; FloatMode: 240
; IeeeMode: 1
; LDSByteSize: 0 bytes/workgroup (compile time only)
; SGPRBlocks: 4
; VGPRBlocks: 28
; NumSGPRsForWavesPerEU: 40
; NumVGPRsForWavesPerEU: 115
; Occupancy: 2
; WaveLimiterHint : 0
; COMPUTE_PGM_RSRC2:SCRATCH_EN: 0
; COMPUTE_PGM_RSRC2:USER_SGPR: 6
; COMPUTE_PGM_RSRC2:TRAP_HANDLER: 0
; COMPUTE_PGM_RSRC2:TGID_X_EN: 1
; COMPUTE_PGM_RSRC2:TGID_Y_EN: 1
; COMPUTE_PGM_RSRC2:TGID_Z_EN: 0
; COMPUTE_PGM_RSRC2:TIDIG_COMP_CNT: 1
	.section	.text._ZN2at6native12_GLOBAL__N_135GammaBetaBackwardCUDAKernelTemplateIddLj32ELj16ELj128ELb0ELb1ELb0EEEvllPKT_S5_PKT0_S8_PS3_S9_,"axG",@progbits,_ZN2at6native12_GLOBAL__N_135GammaBetaBackwardCUDAKernelTemplateIddLj32ELj16ELj128ELb0ELb1ELb0EEEvllPKT_S5_PKT0_S8_PS3_S9_,comdat
	.globl	_ZN2at6native12_GLOBAL__N_135GammaBetaBackwardCUDAKernelTemplateIddLj32ELj16ELj128ELb0ELb1ELb0EEEvllPKT_S5_PKT0_S8_PS3_S9_ ; -- Begin function _ZN2at6native12_GLOBAL__N_135GammaBetaBackwardCUDAKernelTemplateIddLj32ELj16ELj128ELb0ELb1ELb0EEEvllPKT_S5_PKT0_S8_PS3_S9_
	.p2align	8
	.type	_ZN2at6native12_GLOBAL__N_135GammaBetaBackwardCUDAKernelTemplateIddLj32ELj16ELj128ELb0ELb1ELb0EEEvllPKT_S5_PKT0_S8_PS3_S9_,@function
_ZN2at6native12_GLOBAL__N_135GammaBetaBackwardCUDAKernelTemplateIddLj32ELj16ELj128ELb0ELb1ELb0EEEvllPKT_S5_PKT0_S8_PS3_S9_: ; @_ZN2at6native12_GLOBAL__N_135GammaBetaBackwardCUDAKernelTemplateIddLj32ELj16ELj128ELb0ELb1ELb0EEEvllPKT_S5_PKT0_S8_PS3_S9_
; %bb.0:
	s_load_dwordx4 s[20:23], s[4:5], 0x0
	s_lshl_b32 s24, s7, 7
	s_mov_b32 s25, 0
	v_mov_b32_e32 v2, s24
	v_mov_b32_e32 v3, s25
	s_waitcnt lgkmcnt(0)
	v_cmp_gt_i64_e32 vcc, s[20:21], v[2:3]
	s_cbranch_vccnz .LBB43_2
; %bb.1:
	s_mov_b64 s[0:1], 0
	s_branch .LBB43_3
.LBB43_2:
	s_mov_b64 s[0:1], -1
.LBB43_3:
	s_load_dwordx4 s[16:19], s[4:5], 0x30
	v_mov_b32_e32 v8, 0
	v_mov_b32_e32 v12, 0
	;; [unrolled: 1-line block ×3, first 2 shown]
	s_andn2_b64 vcc, exec, s[0:1]
	v_mov_b32_e32 v13, 0
	v_mbcnt_lo_u32_b32 v14, -1, 0
	s_cbranch_vccnz .LBB43_10
; %bb.4:
	s_load_dword s0, s[4:5], 0x4c
	s_load_dword s2, s[4:5], 0x44
	s_load_dwordx8 s[8:15], s[4:5], 0x10
	v_lshlrev_b32_e32 v2, 3, v1
	v_mbcnt_hi_u32_b32 v4, -1, v14
	v_lshlrev_b32_e32 v4, 2, v4
	v_add_co_u32_e32 v2, vcc, s24, v2
	v_and_b32_e32 v15, 0x100, v4
	s_waitcnt lgkmcnt(0)
	s_lshl_b32 s4, s2, 7
	v_addc_co_u32_e64 v4, s[2:3], 0, 0, vcc
	v_mul_lo_u32 v10, s23, v2
	v_mul_lo_u32 v11, s22, v4
	v_mad_u64_u32 v[8:9], s[2:3], s22, v2, 0
	s_and_b32 s0, s0, 0xffff
	v_mad_u32_u24 v3, v1, s0, v0
	v_and_b32_e32 v3, 63, v3
	v_mov_b32_e32 v7, 0
	v_lshl_add_u32 v6, s6, 5, v0
	v_add3_u32 v9, v9, v11, v10
	v_add_co_u32_e32 v2, vcc, v2, v3
	v_lshlrev_b64 v[8:9], 3, v[8:9]
	v_lshlrev_b64 v[6:7], 3, v[6:7]
	v_cmp_gt_u32_e64 s[0:1], 8, v3
	v_addc_co_u32_e32 v3, vcc, 0, v4, vcc
	v_add_co_u32_e32 v22, vcc, v8, v6
	s_mul_i32 s2, s23, s4
	s_mul_hi_u32 s3, s22, s4
	s_mov_b32 s5, 0
	v_lshlrev_b64 v[4:5], 3, v[2:3]
	v_addc_co_u32_e32 v23, vcc, v9, v7, vcc
	s_add_i32 s3, s3, s2
	s_mul_i32 s2, s22, s4
	v_mov_b32_e32 v12, 0
	v_mov_b32_e32 v8, 0
	v_or_b32_e32 v16, 4, v15
	v_or_b32_e32 v17, 8, v15
	;; [unrolled: 1-line block ×6, first 2 shown]
	s_lshl_b64 s[26:27], s[4:5], 3
	s_lshl_b64 s[28:29], s[2:3], 3
	s_lshl_b64 s[22:23], s[22:23], 3
	v_mov_b32_e32 v13, 0
	v_mov_b32_e32 v9, 0
	v_or_b32_e32 v24, 28, v15
	s_branch .LBB43_7
.LBB43_5:                               ;   in Loop: Header=BB43_7 Depth=1
	s_or_b64 exec, exec, s[30:31]
.LBB43_6:                               ;   in Loop: Header=BB43_7 Depth=1
	s_or_b64 exec, exec, s[2:3]
	v_mov_b32_e32 v25, s11
	v_add_co_u32_e32 v26, vcc, s10, v22
	v_addc_co_u32_e32 v27, vcc, v25, v23, vcc
	global_load_dwordx2 v[28:29], v[26:27], off
	v_mov_b32_e32 v31, s9
	v_add_co_u32_e32 v30, vcc, s8, v22
	v_mov_b32_e32 v25, s23
	v_add_co_u32_e64 v26, s[2:3], s22, v26
	v_addc_co_u32_e64 v27, s[2:3], v27, v25, s[2:3]
	v_addc_co_u32_e32 v31, vcc, v31, v23, vcc
	global_load_dwordx2 v[32:33], v[26:27], off
	global_load_dwordx2 v[34:35], v[30:31], off
	v_add_co_u32_e32 v30, vcc, s22, v30
	v_addc_co_u32_e32 v31, vcc, v31, v25, vcc
	global_load_dwordx2 v[36:37], v[30:31], off
	s_waitcnt vmcnt(5)
	ds_bpermute_b32 v38, v15, v10
	ds_bpermute_b32 v39, v15, v11
	v_add_co_u32_e32 v30, vcc, s22, v30
	v_addc_co_u32_e32 v31, vcc, v31, v25, vcc
	v_add_co_u32_e32 v26, vcc, s22, v26
	v_addc_co_u32_e32 v27, vcc, v27, v25, vcc
	s_waitcnt vmcnt(4)
	ds_bpermute_b32 v40, v18, v6
	ds_bpermute_b32 v41, v18, v7
	;; [unrolled: 1-line block ×4, first 2 shown]
	s_add_u32 s24, s24, s4
	s_addc_u32 s25, s25, 0
	v_add_co_u32_e64 v22, s[2:3], s28, v22
	s_waitcnt vmcnt(3) lgkmcnt(4)
	v_add_f64 v[28:29], v[28:29], -v[38:39]
	ds_bpermute_b32 v38, v16, v10
	ds_bpermute_b32 v39, v16, v11
	s_waitcnt vmcnt(2) lgkmcnt(0)
	v_add_f64 v[32:33], v[32:33], -v[38:39]
	s_waitcnt vmcnt(1)
	v_mul_f64 v[28:29], v[34:35], v[28:29]
	ds_bpermute_b32 v38, v15, v6
	ds_bpermute_b32 v39, v15, v7
	v_add_f64 v[8:9], v[8:9], v[34:35]
	s_waitcnt vmcnt(0)
	v_mul_f64 v[32:33], v[36:37], v[32:33]
	s_waitcnt lgkmcnt(0)
	v_fma_f64 v[12:13], v[28:29], v[38:39], v[12:13]
	global_load_dwordx2 v[28:29], v[26:27], off
	ds_bpermute_b32 v38, v16, v6
	ds_bpermute_b32 v39, v16, v7
	v_add_co_u32_e32 v26, vcc, s22, v26
	v_addc_co_u32_e32 v27, vcc, v27, v25, vcc
	s_waitcnt lgkmcnt(0)
	v_fma_f64 v[12:13], v[32:33], v[38:39], v[12:13]
	global_load_dwordx2 v[32:33], v[30:31], off
	ds_bpermute_b32 v38, v17, v10
	ds_bpermute_b32 v39, v17, v11
	v_add_co_u32_e32 v30, vcc, s22, v30
	v_addc_co_u32_e32 v31, vcc, v31, v25, vcc
	v_add_f64 v[8:9], v[8:9], v[36:37]
	s_waitcnt vmcnt(1) lgkmcnt(0)
	v_add_f64 v[28:29], v[28:29], -v[38:39]
	ds_bpermute_b32 v38, v17, v6
	ds_bpermute_b32 v39, v17, v7
	s_waitcnt vmcnt(0)
	v_mul_f64 v[28:29], v[32:33], v[28:29]
	v_add_f64 v[8:9], v[8:9], v[32:33]
	s_waitcnt lgkmcnt(0)
	v_fma_f64 v[12:13], v[28:29], v[38:39], v[12:13]
	global_load_dwordx2 v[28:29], v[26:27], off
	ds_bpermute_b32 v38, v18, v10
	ds_bpermute_b32 v39, v18, v11
	s_waitcnt vmcnt(0) lgkmcnt(0)
	v_add_f64 v[28:29], v[28:29], -v[38:39]
	global_load_dwordx2 v[38:39], v[30:31], off
	s_waitcnt vmcnt(0)
	v_mul_f64 v[28:29], v[38:39], v[28:29]
	v_add_f64 v[8:9], v[8:9], v[38:39]
	v_fma_f64 v[12:13], v[28:29], v[40:41], v[12:13]
	v_add_co_u32_e32 v28, vcc, s22, v30
	v_addc_co_u32_e32 v29, vcc, v31, v25, vcc
	v_add_co_u32_e32 v26, vcc, s22, v26
	v_addc_co_u32_e32 v27, vcc, v27, v25, vcc
	global_load_dwordx2 v[40:41], v[26:27], off
	ds_bpermute_b32 v30, v19, v10
	ds_bpermute_b32 v31, v19, v11
	s_waitcnt vmcnt(0) lgkmcnt(0)
	v_add_f64 v[30:31], v[40:41], -v[30:31]
	global_load_dwordx2 v[40:41], v[28:29], off
	v_add_co_u32_e32 v28, vcc, s22, v28
	v_addc_co_u32_e32 v29, vcc, v29, v25, vcc
	v_add_co_u32_e32 v26, vcc, s22, v26
	v_addc_co_u32_e32 v27, vcc, v27, v25, vcc
	v_add_co_u32_e32 v34, vcc, s22, v26
	v_addc_co_u32_e32 v35, vcc, v27, v25, vcc
	global_load_dwordx2 v[26:27], v[26:27], off
	s_waitcnt vmcnt(1)
	v_mul_f64 v[30:31], v[40:41], v[30:31]
	global_load_dwordx2 v[32:33], v[34:35], off
	v_add_f64 v[8:9], v[8:9], v[40:41]
	v_fma_f64 v[12:13], v[30:31], v[42:43], v[12:13]
	ds_bpermute_b32 v30, v20, v10
	ds_bpermute_b32 v31, v20, v11
	;; [unrolled: 1-line block ×6, first 2 shown]
	s_waitcnt vmcnt(1) lgkmcnt(4)
	v_add_f64 v[26:27], v[26:27], -v[30:31]
	v_add_co_u32_e32 v30, vcc, s22, v34
	v_addc_co_u32_e32 v31, vcc, v35, v25, vcc
	v_add_co_u32_e32 v34, vcc, s22, v28
	v_addc_co_u32_e32 v35, vcc, v29, v25, vcc
	global_load_dwordx2 v[28:29], v[28:29], off
	v_add_co_u32_e32 v36, vcc, s22, v34
	v_addc_co_u32_e32 v37, vcc, v35, v25, vcc
	v_add_co_u32_e32 v4, vcc, s26, v4
	s_waitcnt vmcnt(1) lgkmcnt(2)
	v_add_f64 v[32:33], v[32:33], -v[42:43]
	global_load_dwordx2 v[38:39], v[30:31], off
	global_load_dwordx2 v[42:43], v[34:35], off
	;; [unrolled: 1-line block ×3, first 2 shown]
	ds_bpermute_b32 v30, v20, v6
	ds_bpermute_b32 v31, v20, v7
	s_waitcnt vmcnt(3)
	v_mul_f64 v[25:26], v[28:29], v[26:27]
	v_add_f64 v[8:9], v[8:9], v[28:29]
	v_mov_b32_e32 v27, s27
	v_addc_co_u32_e32 v5, vcc, v5, v27, vcc
	v_add_co_u32_e32 v2, vcc, s4, v2
	v_addc_co_u32_e32 v3, vcc, 0, v3, vcc
	s_waitcnt lgkmcnt(0)
	v_fma_f64 v[12:13], v[25:26], v[30:31], v[12:13]
	ds_bpermute_b32 v25, v21, v6
	ds_bpermute_b32 v26, v21, v7
	;; [unrolled: 1-line block ×4, first 2 shown]
	s_waitcnt vmcnt(2)
	v_add_f64 v[10:11], v[38:39], -v[10:11]
	s_waitcnt vmcnt(1)
	v_mul_f64 v[32:33], v[42:43], v[32:33]
	v_add_f64 v[8:9], v[8:9], v[42:43]
	s_waitcnt vmcnt(0)
	v_mul_f64 v[10:11], v[44:45], v[10:11]
	s_waitcnt lgkmcnt(2)
	v_fma_f64 v[12:13], v[32:33], v[25:26], v[12:13]
	v_add_f64 v[8:9], v[8:9], v[44:45]
	s_waitcnt lgkmcnt(0)
	v_fma_f64 v[12:13], v[10:11], v[6:7], v[12:13]
	v_mov_b32_e32 v6, s20
	v_mov_b32_e32 v7, s21
	v_cmp_lt_i64_e32 vcc, s[24:25], v[6:7]
	v_mov_b32_e32 v10, s29
	v_addc_co_u32_e64 v23, s[2:3], v23, v10, s[2:3]
	s_cbranch_vccz .LBB43_10
.LBB43_7:                               ; =>This Inner Loop Header: Depth=1
	v_mov_b32_e32 v6, 0
	v_mov_b32_e32 v10, 0
	;; [unrolled: 1-line block ×4, first 2 shown]
	s_and_saveexec_b64 s[2:3], s[0:1]
	s_cbranch_execz .LBB43_6
; %bb.8:                                ;   in Loop: Header=BB43_7 Depth=1
	v_cmp_gt_i64_e32 vcc, s[20:21], v[2:3]
	v_mov_b32_e32 v10, 0
	v_mov_b32_e32 v6, 0
	;; [unrolled: 1-line block ×4, first 2 shown]
	s_and_saveexec_b64 s[30:31], vcc
	s_cbranch_execz .LBB43_5
; %bb.9:                                ;   in Loop: Header=BB43_7 Depth=1
	v_mov_b32_e32 v6, s15
	v_add_co_u32_e32 v25, vcc, s14, v4
	v_addc_co_u32_e32 v26, vcc, v6, v5, vcc
	v_mov_b32_e32 v6, s13
	v_add_co_u32_e32 v27, vcc, s12, v4
	v_addc_co_u32_e32 v28, vcc, v6, v5, vcc
	global_load_dwordx2 v[10:11], v[27:28], off
	global_load_dwordx2 v[6:7], v[25:26], off
	s_branch .LBB43_5
.LBB43_10:
	v_mad_u32_u24 v2, v1, 33, v0
	v_lshl_add_u32 v3, v2, 3, 0
	ds_write_b64 v3, v[12:13]
	ds_write_b64 v3, v[8:9] offset:4224
	v_sub_u32_e32 v9, v2, v1
	s_movk_i32 s0, 0x800
	v_cmp_gt_u32_e32 vcc, s0, v9
	s_waitcnt lgkmcnt(0)
	s_barrier
	s_and_saveexec_b64 s[0:1], vcc
	s_cbranch_execz .LBB43_42
; %bb.11:
	v_and_b32_e32 v1, 63, v9
	v_lshrrev_b32_e32 v8, 6, v9
	v_cmp_gt_u32_e64 s[0:1], 16, v1
	v_mul_u32_u24_e32 v7, 33, v1
                                        ; implicit-def: $vgpr1_vgpr2
                                        ; implicit-def: $vgpr3_vgpr4
	s_and_saveexec_b64 s[2:3], s[0:1]
	s_cbranch_execz .LBB43_13
; %bb.12:
	v_add_u32_e32 v1, v8, v7
	v_lshl_add_u32 v1, v1, 3, 0
	ds_read_b64 v[3:4], v1
	ds_read_b64 v[1:2], v1 offset:4224
.LBB43_13:
	s_or_b64 exec, exec, s[2:3]
	v_mbcnt_hi_u32_b32 v15, -1, v14
	v_and_b32_e32 v5, 64, v15
	v_add_u32_e32 v16, 64, v5
	v_xor_b32_e32 v5, 8, v15
	v_cmp_lt_i32_e32 vcc, v5, v16
	v_cndmask_b32_e32 v5, v15, v5, vcc
	v_lshlrev_b32_e32 v10, 2, v5
	s_waitcnt lgkmcnt(1)
	ds_bpermute_b32 v5, v10, v3
	ds_bpermute_b32 v6, v10, v4
	s_waitcnt lgkmcnt(2)
	ds_bpermute_b32 v11, v10, v1
	ds_bpermute_b32 v12, v10, v2
	s_mov_b32 s7, 0
	s_lshl_b64 s[4:5], s[6:7], 5
	s_waitcnt lgkmcnt(2)
	v_add_f64 v[3:4], v[3:4], v[5:6]
	v_xor_b32_e32 v5, 4, v15
	s_waitcnt lgkmcnt(0)
	v_add_f64 v[1:2], v[1:2], v[11:12]
	v_cmp_lt_i32_e32 vcc, v5, v16
	v_cndmask_b32_e32 v5, v15, v5, vcc
	v_lshlrev_b32_e32 v11, 2, v5
	s_cmp_lg_u64 s[16:17], 0
	s_cselect_b64 s[8:9], -1, 0
	ds_bpermute_b32 v5, v11, v3
	ds_bpermute_b32 v6, v11, v4
	;; [unrolled: 1-line block ×4, first 2 shown]
	s_cmp_lg_u64 s[18:19], 0
	v_cmp_eq_u32_e64 s[2:3], 0, v0
	s_waitcnt lgkmcnt(2)
	v_add_f64 v[3:4], v[3:4], v[5:6]
	v_xor_b32_e32 v5, 2, v15
	s_waitcnt lgkmcnt(0)
	v_add_f64 v[1:2], v[1:2], v[12:13]
	v_cmp_lt_i32_e32 vcc, v5, v16
	v_cndmask_b32_e32 v5, v15, v5, vcc
	v_lshlrev_b32_e32 v12, 2, v5
	s_cselect_b64 s[6:7], -1, 0
	ds_bpermute_b32 v5, v12, v3
	ds_bpermute_b32 v6, v12, v4
	ds_bpermute_b32 v13, v12, v1
	ds_bpermute_b32 v14, v12, v2
	s_waitcnt lgkmcnt(2)
	v_add_f64 v[3:4], v[3:4], v[5:6]
	s_waitcnt lgkmcnt(0)
	v_add_f64 v[5:6], v[1:2], v[13:14]
	v_xor_b32_e32 v1, 1, v15
	v_cmp_lt_i32_e32 vcc, v1, v16
	v_cndmask_b32_e32 v1, v15, v1, vcc
	v_lshlrev_b32_e32 v13, 2, v1
	ds_bpermute_b32 v1, v13, v3
	ds_bpermute_b32 v2, v13, v4
	;; [unrolled: 1-line block ×4, first 2 shown]
	s_waitcnt lgkmcnt(2)
	v_add_f64 v[1:2], v[3:4], v[1:2]
	s_waitcnt lgkmcnt(0)
	v_add_f64 v[3:4], v[5:6], v[14:15]
	s_and_saveexec_b64 s[10:11], s[2:3]
	s_cbranch_execz .LBB43_18
; %bb.14:
	v_mov_b32_e32 v6, s5
	v_or_b32_e32 v5, s4, v8
	v_lshlrev_b64 v[5:6], 3, v[5:6]
	s_andn2_b64 vcc, exec, s[8:9]
	s_cbranch_vccnz .LBB43_16
; %bb.15:
	v_mov_b32_e32 v0, s17
	v_add_co_u32_e32 v14, vcc, s16, v5
	v_addc_co_u32_e32 v15, vcc, v0, v6, vcc
	global_store_dwordx2 v[14:15], v[1:2], off
.LBB43_16:
	s_andn2_b64 vcc, exec, s[6:7]
	s_cbranch_vccnz .LBB43_18
; %bb.17:
	v_mov_b32_e32 v0, s19
	v_add_co_u32_e32 v5, vcc, s18, v5
	v_addc_co_u32_e32 v6, vcc, v0, v6, vcc
	global_store_dwordx2 v[5:6], v[3:4], off
.LBB43_18:
	s_or_b64 exec, exec, s[10:11]
	s_movk_i32 s10, 0x600
	v_cmp_gt_u32_e32 vcc, s10, v9
	s_and_b64 exec, exec, vcc
	s_cbranch_execz .LBB43_42
; %bb.19:
	s_and_saveexec_b64 s[10:11], s[0:1]
	s_cbranch_execz .LBB43_21
; %bb.20:
	v_add_u32_e32 v0, v8, v7
	v_lshl_add_u32 v0, v0, 3, 0
	ds_read_b64 v[1:2], v0 offset:64
	ds_read_b64 v[3:4], v0 offset:4288
.LBB43_21:
	s_or_b64 exec, exec, s[10:11]
	s_waitcnt lgkmcnt(1)
	ds_bpermute_b32 v5, v10, v1
	ds_bpermute_b32 v6, v10, v2
	s_waitcnt lgkmcnt(2)
	ds_bpermute_b32 v14, v10, v3
	ds_bpermute_b32 v15, v10, v4
	s_waitcnt lgkmcnt(2)
	v_add_f64 v[0:1], v[1:2], v[5:6]
	s_waitcnt lgkmcnt(0)
	v_add_f64 v[2:3], v[3:4], v[14:15]
	ds_bpermute_b32 v4, v11, v0
	ds_bpermute_b32 v5, v11, v1
	ds_bpermute_b32 v14, v11, v2
	ds_bpermute_b32 v15, v11, v3
	s_waitcnt lgkmcnt(2)
	v_add_f64 v[0:1], v[0:1], v[4:5]
	s_waitcnt lgkmcnt(0)
	v_add_f64 v[2:3], v[2:3], v[14:15]
	ds_bpermute_b32 v4, v12, v0
	ds_bpermute_b32 v5, v12, v1
	;; [unrolled: 8-line block ×3, first 2 shown]
	ds_bpermute_b32 v14, v13, v2
	ds_bpermute_b32 v15, v13, v3
	s_waitcnt lgkmcnt(2)
	v_add_f64 v[0:1], v[0:1], v[4:5]
	s_waitcnt lgkmcnt(0)
	v_add_f64 v[2:3], v[2:3], v[14:15]
	s_and_saveexec_b64 s[10:11], s[2:3]
	s_cbranch_execz .LBB43_26
; %bb.22:
	s_andn2_b64 vcc, exec, s[8:9]
	s_cbranch_vccnz .LBB43_24
; %bb.23:
	v_mov_b32_e32 v5, s5
	v_add_co_u32_e32 v4, vcc, s4, v8
	v_addc_co_u32_e32 v5, vcc, 0, v5, vcc
	v_lshlrev_b64 v[4:5], 3, v[4:5]
	v_mov_b32_e32 v6, s17
	v_add_co_u32_e32 v4, vcc, s16, v4
	v_addc_co_u32_e32 v5, vcc, v6, v5, vcc
	global_store_dwordx2 v[4:5], v[0:1], off offset:64
.LBB43_24:
	s_andn2_b64 vcc, exec, s[6:7]
	s_cbranch_vccnz .LBB43_26
; %bb.25:
	v_mov_b32_e32 v5, s5
	v_add_co_u32_e32 v4, vcc, s4, v8
	v_addc_co_u32_e32 v5, vcc, 0, v5, vcc
	v_lshlrev_b64 v[4:5], 3, v[4:5]
	v_mov_b32_e32 v6, s19
	v_add_co_u32_e32 v4, vcc, s18, v4
	v_addc_co_u32_e32 v5, vcc, v6, v5, vcc
	global_store_dwordx2 v[4:5], v[2:3], off offset:64
.LBB43_26:
	s_or_b64 exec, exec, s[10:11]
	s_movk_i32 s10, 0x400
	v_cmp_gt_u32_e32 vcc, s10, v9
	s_and_b64 exec, exec, vcc
	s_cbranch_execz .LBB43_42
; %bb.27:
	s_and_saveexec_b64 s[10:11], s[0:1]
	s_cbranch_execz .LBB43_29
; %bb.28:
	v_add_u32_e32 v0, v8, v7
	v_lshl_add_u32 v2, v0, 3, 0
	ds_read_b64 v[0:1], v2 offset:128
	ds_read_b64 v[2:3], v2 offset:4352
.LBB43_29:
	s_or_b64 exec, exec, s[10:11]
	s_waitcnt lgkmcnt(1)
	ds_bpermute_b32 v4, v10, v0
	ds_bpermute_b32 v5, v10, v1
	s_waitcnt lgkmcnt(2)
	ds_bpermute_b32 v14, v10, v2
	ds_bpermute_b32 v15, v10, v3
	s_waitcnt lgkmcnt(2)
	v_add_f64 v[0:1], v[0:1], v[4:5]
	s_waitcnt lgkmcnt(0)
	v_add_f64 v[2:3], v[2:3], v[14:15]
	ds_bpermute_b32 v4, v11, v0
	ds_bpermute_b32 v5, v11, v1
	ds_bpermute_b32 v14, v11, v2
	ds_bpermute_b32 v15, v11, v3
	s_waitcnt lgkmcnt(2)
	v_add_f64 v[0:1], v[0:1], v[4:5]
	s_waitcnt lgkmcnt(0)
	v_add_f64 v[2:3], v[2:3], v[14:15]
	ds_bpermute_b32 v4, v12, v0
	ds_bpermute_b32 v5, v12, v1
	;; [unrolled: 8-line block ×3, first 2 shown]
	ds_bpermute_b32 v14, v13, v2
	ds_bpermute_b32 v15, v13, v3
	s_waitcnt lgkmcnt(2)
	v_add_f64 v[0:1], v[0:1], v[4:5]
	s_waitcnt lgkmcnt(0)
	v_add_f64 v[2:3], v[2:3], v[14:15]
	s_and_saveexec_b64 s[10:11], s[2:3]
	s_cbranch_execz .LBB43_34
; %bb.30:
	s_andn2_b64 vcc, exec, s[8:9]
	s_cbranch_vccnz .LBB43_32
; %bb.31:
	v_mov_b32_e32 v5, s5
	v_add_co_u32_e32 v4, vcc, s4, v8
	v_addc_co_u32_e32 v5, vcc, 0, v5, vcc
	v_lshlrev_b64 v[4:5], 3, v[4:5]
	v_mov_b32_e32 v6, s17
	v_add_co_u32_e32 v4, vcc, s16, v4
	v_addc_co_u32_e32 v5, vcc, v6, v5, vcc
	global_store_dwordx2 v[4:5], v[0:1], off offset:128
.LBB43_32:
	s_andn2_b64 vcc, exec, s[6:7]
	s_cbranch_vccnz .LBB43_34
; %bb.33:
	v_mov_b32_e32 v5, s5
	v_add_co_u32_e32 v4, vcc, s4, v8
	v_addc_co_u32_e32 v5, vcc, 0, v5, vcc
	v_lshlrev_b64 v[4:5], 3, v[4:5]
	v_mov_b32_e32 v6, s19
	v_add_co_u32_e32 v4, vcc, s18, v4
	v_addc_co_u32_e32 v5, vcc, v6, v5, vcc
	global_store_dwordx2 v[4:5], v[2:3], off offset:128
.LBB43_34:
	s_or_b64 exec, exec, s[10:11]
	s_movk_i32 s10, 0x200
	v_cmp_gt_u32_e32 vcc, s10, v9
	s_and_b64 exec, exec, vcc
	s_cbranch_execz .LBB43_42
; %bb.35:
	s_and_saveexec_b64 s[10:11], s[0:1]
	s_cbranch_execz .LBB43_37
; %bb.36:
	v_add_u32_e32 v0, v8, v7
	v_lshl_add_u32 v2, v0, 3, 0
	ds_read_b64 v[0:1], v2 offset:192
	ds_read_b64 v[2:3], v2 offset:4416
.LBB43_37:
	s_or_b64 exec, exec, s[10:11]
	s_waitcnt lgkmcnt(1)
	ds_bpermute_b32 v4, v10, v0
	ds_bpermute_b32 v5, v10, v1
	s_waitcnt lgkmcnt(2)
	ds_bpermute_b32 v6, v10, v2
	ds_bpermute_b32 v7, v10, v3
	s_waitcnt lgkmcnt(2)
	v_add_f64 v[0:1], v[0:1], v[4:5]
	s_waitcnt lgkmcnt(0)
	v_add_f64 v[2:3], v[2:3], v[6:7]
	ds_bpermute_b32 v4, v11, v0
	ds_bpermute_b32 v5, v11, v1
	ds_bpermute_b32 v6, v11, v2
	ds_bpermute_b32 v7, v11, v3
	s_waitcnt lgkmcnt(2)
	v_add_f64 v[0:1], v[0:1], v[4:5]
	s_waitcnt lgkmcnt(0)
	v_add_f64 v[2:3], v[2:3], v[6:7]
	ds_bpermute_b32 v4, v12, v0
	ds_bpermute_b32 v5, v12, v1
	;; [unrolled: 8-line block ×3, first 2 shown]
	ds_bpermute_b32 v2, v13, v0
	ds_bpermute_b32 v3, v13, v1
	s_and_b64 exec, exec, s[2:3]
	s_cbranch_execz .LBB43_42
; %bb.38:
	s_andn2_b64 vcc, exec, s[8:9]
	s_cbranch_vccnz .LBB43_40
; %bb.39:
	s_waitcnt lgkmcnt(2)
	v_add_f64 v[4:5], v[4:5], v[6:7]
	v_mov_b32_e32 v7, s5
	v_add_co_u32_e32 v6, vcc, s4, v8
	v_addc_co_u32_e32 v7, vcc, 0, v7, vcc
	v_lshlrev_b64 v[6:7], 3, v[6:7]
	v_mov_b32_e32 v9, s17
	v_add_co_u32_e32 v6, vcc, s16, v6
	v_addc_co_u32_e32 v7, vcc, v9, v7, vcc
	global_store_dwordx2 v[6:7], v[4:5], off offset:192
.LBB43_40:
	s_andn2_b64 vcc, exec, s[6:7]
	s_cbranch_vccnz .LBB43_42
; %bb.41:
	s_waitcnt lgkmcnt(0)
	v_add_f64 v[0:1], v[0:1], v[2:3]
	v_mov_b32_e32 v3, s5
	v_add_co_u32_e32 v2, vcc, s4, v8
	v_addc_co_u32_e32 v3, vcc, 0, v3, vcc
	v_lshlrev_b64 v[2:3], 3, v[2:3]
	v_mov_b32_e32 v4, s19
	v_add_co_u32_e32 v2, vcc, s18, v2
	v_addc_co_u32_e32 v3, vcc, v4, v3, vcc
	global_store_dwordx2 v[2:3], v[0:1], off offset:192
.LBB43_42:
	s_endpgm
	.section	.rodata,"a",@progbits
	.p2align	6, 0x0
	.amdhsa_kernel _ZN2at6native12_GLOBAL__N_135GammaBetaBackwardCUDAKernelTemplateIddLj32ELj16ELj128ELb0ELb1ELb0EEEvllPKT_S5_PKT0_S8_PS3_S9_
		.amdhsa_group_segment_fixed_size 0
		.amdhsa_private_segment_fixed_size 0
		.amdhsa_kernarg_size 320
		.amdhsa_user_sgpr_count 6
		.amdhsa_user_sgpr_private_segment_buffer 1
		.amdhsa_user_sgpr_dispatch_ptr 0
		.amdhsa_user_sgpr_queue_ptr 0
		.amdhsa_user_sgpr_kernarg_segment_ptr 1
		.amdhsa_user_sgpr_dispatch_id 0
		.amdhsa_user_sgpr_flat_scratch_init 0
		.amdhsa_user_sgpr_private_segment_size 0
		.amdhsa_uses_dynamic_stack 0
		.amdhsa_system_sgpr_private_segment_wavefront_offset 0
		.amdhsa_system_sgpr_workgroup_id_x 1
		.amdhsa_system_sgpr_workgroup_id_y 1
		.amdhsa_system_sgpr_workgroup_id_z 0
		.amdhsa_system_sgpr_workgroup_info 0
		.amdhsa_system_vgpr_workitem_id 1
		.amdhsa_next_free_vgpr 46
		.amdhsa_next_free_sgpr 32
		.amdhsa_reserve_vcc 1
		.amdhsa_reserve_flat_scratch 0
		.amdhsa_float_round_mode_32 0
		.amdhsa_float_round_mode_16_64 0
		.amdhsa_float_denorm_mode_32 3
		.amdhsa_float_denorm_mode_16_64 3
		.amdhsa_dx10_clamp 1
		.amdhsa_ieee_mode 1
		.amdhsa_fp16_overflow 0
		.amdhsa_exception_fp_ieee_invalid_op 0
		.amdhsa_exception_fp_denorm_src 0
		.amdhsa_exception_fp_ieee_div_zero 0
		.amdhsa_exception_fp_ieee_overflow 0
		.amdhsa_exception_fp_ieee_underflow 0
		.amdhsa_exception_fp_ieee_inexact 0
		.amdhsa_exception_int_div_zero 0
	.end_amdhsa_kernel
	.section	.text._ZN2at6native12_GLOBAL__N_135GammaBetaBackwardCUDAKernelTemplateIddLj32ELj16ELj128ELb0ELb1ELb0EEEvllPKT_S5_PKT0_S8_PS3_S9_,"axG",@progbits,_ZN2at6native12_GLOBAL__N_135GammaBetaBackwardCUDAKernelTemplateIddLj32ELj16ELj128ELb0ELb1ELb0EEEvllPKT_S5_PKT0_S8_PS3_S9_,comdat
.Lfunc_end43:
	.size	_ZN2at6native12_GLOBAL__N_135GammaBetaBackwardCUDAKernelTemplateIddLj32ELj16ELj128ELb0ELb1ELb0EEEvllPKT_S5_PKT0_S8_PS3_S9_, .Lfunc_end43-_ZN2at6native12_GLOBAL__N_135GammaBetaBackwardCUDAKernelTemplateIddLj32ELj16ELj128ELb0ELb1ELb0EEEvllPKT_S5_PKT0_S8_PS3_S9_
                                        ; -- End function
	.set _ZN2at6native12_GLOBAL__N_135GammaBetaBackwardCUDAKernelTemplateIddLj32ELj16ELj128ELb0ELb1ELb0EEEvllPKT_S5_PKT0_S8_PS3_S9_.num_vgpr, 46
	.set _ZN2at6native12_GLOBAL__N_135GammaBetaBackwardCUDAKernelTemplateIddLj32ELj16ELj128ELb0ELb1ELb0EEEvllPKT_S5_PKT0_S8_PS3_S9_.num_agpr, 0
	.set _ZN2at6native12_GLOBAL__N_135GammaBetaBackwardCUDAKernelTemplateIddLj32ELj16ELj128ELb0ELb1ELb0EEEvllPKT_S5_PKT0_S8_PS3_S9_.numbered_sgpr, 32
	.set _ZN2at6native12_GLOBAL__N_135GammaBetaBackwardCUDAKernelTemplateIddLj32ELj16ELj128ELb0ELb1ELb0EEEvllPKT_S5_PKT0_S8_PS3_S9_.num_named_barrier, 0
	.set _ZN2at6native12_GLOBAL__N_135GammaBetaBackwardCUDAKernelTemplateIddLj32ELj16ELj128ELb0ELb1ELb0EEEvllPKT_S5_PKT0_S8_PS3_S9_.private_seg_size, 0
	.set _ZN2at6native12_GLOBAL__N_135GammaBetaBackwardCUDAKernelTemplateIddLj32ELj16ELj128ELb0ELb1ELb0EEEvllPKT_S5_PKT0_S8_PS3_S9_.uses_vcc, 1
	.set _ZN2at6native12_GLOBAL__N_135GammaBetaBackwardCUDAKernelTemplateIddLj32ELj16ELj128ELb0ELb1ELb0EEEvllPKT_S5_PKT0_S8_PS3_S9_.uses_flat_scratch, 0
	.set _ZN2at6native12_GLOBAL__N_135GammaBetaBackwardCUDAKernelTemplateIddLj32ELj16ELj128ELb0ELb1ELb0EEEvllPKT_S5_PKT0_S8_PS3_S9_.has_dyn_sized_stack, 0
	.set _ZN2at6native12_GLOBAL__N_135GammaBetaBackwardCUDAKernelTemplateIddLj32ELj16ELj128ELb0ELb1ELb0EEEvllPKT_S5_PKT0_S8_PS3_S9_.has_recursion, 0
	.set _ZN2at6native12_GLOBAL__N_135GammaBetaBackwardCUDAKernelTemplateIddLj32ELj16ELj128ELb0ELb1ELb0EEEvllPKT_S5_PKT0_S8_PS3_S9_.has_indirect_call, 0
	.section	.AMDGPU.csdata,"",@progbits
; Kernel info:
; codeLenInByte = 3136
; TotalNumSgprs: 36
; NumVgprs: 46
; ScratchSize: 0
; MemoryBound: 0
; FloatMode: 240
; IeeeMode: 1
; LDSByteSize: 0 bytes/workgroup (compile time only)
; SGPRBlocks: 4
; VGPRBlocks: 11
; NumSGPRsForWavesPerEU: 36
; NumVGPRsForWavesPerEU: 46
; Occupancy: 5
; WaveLimiterHint : 0
; COMPUTE_PGM_RSRC2:SCRATCH_EN: 0
; COMPUTE_PGM_RSRC2:USER_SGPR: 6
; COMPUTE_PGM_RSRC2:TRAP_HANDLER: 0
; COMPUTE_PGM_RSRC2:TGID_X_EN: 1
; COMPUTE_PGM_RSRC2:TGID_Y_EN: 1
; COMPUTE_PGM_RSRC2:TGID_Z_EN: 0
; COMPUTE_PGM_RSRC2:TIDIG_COMP_CNT: 1
	.section	.text._ZN2at6native12_GLOBAL__N_135GammaBetaBackwardCUDAKernelTemplateIddLj32ELj16ELj128ELb0ELb0ELb0EEEvllPKT_S5_PKT0_S8_PS3_S9_,"axG",@progbits,_ZN2at6native12_GLOBAL__N_135GammaBetaBackwardCUDAKernelTemplateIddLj32ELj16ELj128ELb0ELb0ELb0EEEvllPKT_S5_PKT0_S8_PS3_S9_,comdat
	.globl	_ZN2at6native12_GLOBAL__N_135GammaBetaBackwardCUDAKernelTemplateIddLj32ELj16ELj128ELb0ELb0ELb0EEEvllPKT_S5_PKT0_S8_PS3_S9_ ; -- Begin function _ZN2at6native12_GLOBAL__N_135GammaBetaBackwardCUDAKernelTemplateIddLj32ELj16ELj128ELb0ELb0ELb0EEEvllPKT_S5_PKT0_S8_PS3_S9_
	.p2align	8
	.type	_ZN2at6native12_GLOBAL__N_135GammaBetaBackwardCUDAKernelTemplateIddLj32ELj16ELj128ELb0ELb0ELb0EEEvllPKT_S5_PKT0_S8_PS3_S9_,@function
_ZN2at6native12_GLOBAL__N_135GammaBetaBackwardCUDAKernelTemplateIddLj32ELj16ELj128ELb0ELb0ELb0EEEvllPKT_S5_PKT0_S8_PS3_S9_: ; @_ZN2at6native12_GLOBAL__N_135GammaBetaBackwardCUDAKernelTemplateIddLj32ELj16ELj128ELb0ELb0ELb0EEEvllPKT_S5_PKT0_S8_PS3_S9_
; %bb.0:
	s_load_dwordx8 s[12:19], s[4:5], 0x0
	s_load_dwordx4 s[20:23], s[4:5], 0x20
	s_lshl_b32 s33, s6, 5
	s_or_b32 s0, s33, 31
	v_mov_b32_e32 v2, s0
	v_mov_b32_e32 v3, 0
	s_lshl_b32 s10, s7, 7
	s_mov_b32 s11, 0
	s_waitcnt lgkmcnt(0)
	v_cmp_le_i64_e32 vcc, s[14:15], v[2:3]
	v_mov_b32_e32 v2, s10
	v_mov_b32_e32 v3, s11
	v_cmp_gt_i64_e64 s[0:1], s[12:13], v[2:3]
	v_cndmask_b32_e64 v2, 0, 1, s[0:1]
	v_cmp_ne_u32_e64 s[0:1], 1, v2
	s_cbranch_vccz .LBB44_48
; %bb.1:
	v_mov_b32_e32 v21, 0
	v_mov_b32_e32 v19, 0
	;; [unrolled: 1-line block ×3, first 2 shown]
	s_and_b64 vcc, exec, s[0:1]
	v_mov_b32_e32 v20, 0
	s_cbranch_vccnz .LBB44_49
; %bb.2:
	v_lshlrev_b32_e32 v45, 3, v1
	v_add_co_u32_e32 v9, vcc, s10, v45
	v_addc_co_u32_e64 v10, s[2:3], 0, 0, vcc
	v_mul_lo_u32 v7, s15, v9
	v_mul_lo_u32 v8, s14, v10
	v_mad_u64_u32 v[5:6], s[2:3], s14, v9, 0
	v_mov_b32_e32 v2, 0
	s_load_dword s7, s[4:5], 0x44
	v_add_u32_e32 v3, s33, v0
	v_mov_b32_e32 v4, v2
	v_add3_u32 v6, v6, v8, v7
	v_cmp_gt_i64_e64 s[2:3], s[14:15], v[3:4]
	v_lshlrev_b64 v[23:24], 3, v[3:4]
	v_lshlrev_b64 v[3:4], 3, v[5:6]
	s_add_u32 s24, s4, 64
	v_mov_b32_e32 v7, s17
	v_add_co_u32_e32 v46, vcc, s16, v3
	s_addc_u32 s25, s5, 0
	s_waitcnt lgkmcnt(0)
	s_lshl_b32 s7, s7, 7
	v_addc_co_u32_e32 v47, vcc, v7, v4, vcc
	s_mul_i32 s8, s15, s7
	s_mul_hi_u32 s9, s14, s7
	v_add_co_u32_e32 v7, vcc, 7, v9
	s_add_i32 s9, s9, s8
	s_mul_i32 s8, s14, s7
	v_addc_co_u32_e32 v8, vcc, 0, v10, vcc
	s_lshl_b64 s[26:27], s[8:9], 3
	v_mul_lo_u32 v12, s15, v7
	v_mul_lo_u32 v13, s14, v8
	v_mad_u64_u32 v[7:8], s[8:9], s14, v7, 0
	v_mov_b32_e32 v11, s19
	v_add_co_u32_e32 v48, vcc, s18, v3
	v_add3_u32 v8, v8, v13, v12
	v_addc_co_u32_e32 v49, vcc, v11, v4, vcc
	v_lshlrev_b64 v[3:4], 3, v[7:8]
	v_mov_b32_e32 v7, s17
	v_add_co_u32_e32 v50, vcc, s16, v3
	v_addc_co_u32_e32 v51, vcc, v7, v4, vcc
	v_add_co_u32_e32 v7, vcc, 6, v9
	v_addc_co_u32_e32 v8, vcc, 0, v10, vcc
	v_mul_lo_u32 v12, s15, v7
	v_mul_lo_u32 v13, s14, v8
	v_mad_u64_u32 v[7:8], s[8:9], s14, v7, 0
	v_add_co_u32_e32 v52, vcc, s18, v3
	v_add3_u32 v8, v8, v13, v12
	v_addc_co_u32_e32 v53, vcc, v11, v4, vcc
	v_lshlrev_b64 v[3:4], 3, v[7:8]
	v_mov_b32_e32 v7, s17
	v_add_co_u32_e32 v54, vcc, s16, v3
	v_addc_co_u32_e32 v55, vcc, v7, v4, vcc
	v_add_co_u32_e32 v7, vcc, 5, v9
	v_addc_co_u32_e32 v8, vcc, 0, v10, vcc
	v_mul_lo_u32 v12, s15, v7
	v_mul_lo_u32 v13, s14, v8
	v_mad_u64_u32 v[7:8], s[8:9], s14, v7, 0
	v_add_co_u32_e32 v56, vcc, s18, v3
	v_add3_u32 v8, v8, v13, v12
	v_addc_co_u32_e32 v57, vcc, v11, v4, vcc
	v_lshlrev_b64 v[3:4], 3, v[7:8]
	v_mov_b32_e32 v7, s17
	v_add_co_u32_e32 v58, vcc, s16, v3
	v_addc_co_u32_e32 v59, vcc, v7, v4, vcc
	v_add_co_u32_e32 v7, vcc, 4, v9
	v_addc_co_u32_e32 v8, vcc, 0, v10, vcc
	v_mul_lo_u32 v12, s15, v7
	v_mul_lo_u32 v13, s14, v8
	v_mad_u64_u32 v[7:8], s[8:9], s14, v7, 0
	v_add_co_u32_e32 v60, vcc, s18, v3
	v_add3_u32 v8, v8, v13, v12
	v_addc_co_u32_e32 v61, vcc, v11, v4, vcc
	v_lshlrev_b64 v[3:4], 3, v[7:8]
	v_mov_b32_e32 v7, s17
	v_add_co_u32_e32 v62, vcc, s16, v3
	v_addc_co_u32_e32 v63, vcc, v7, v4, vcc
	v_add_co_u32_e32 v7, vcc, 3, v9
	v_addc_co_u32_e32 v8, vcc, 0, v10, vcc
	v_mul_lo_u32 v12, s15, v7
	v_mul_lo_u32 v13, s14, v8
	v_mad_u64_u32 v[7:8], s[8:9], s14, v7, 0
	v_add_co_u32_e32 v64, vcc, s18, v3
	v_add3_u32 v8, v8, v13, v12
	v_addc_co_u32_e32 v65, vcc, v11, v4, vcc
	v_lshlrev_b64 v[3:4], 3, v[7:8]
	v_mov_b32_e32 v7, s17
	v_add_co_u32_e32 v66, vcc, s16, v3
	v_addc_co_u32_e32 v67, vcc, v7, v4, vcc
	v_add_co_u32_e32 v7, vcc, 2, v9
	v_addc_co_u32_e32 v8, vcc, 0, v10, vcc
	v_mul_lo_u32 v9, s15, v7
	v_mul_lo_u32 v10, s14, v8
	v_mad_u64_u32 v[7:8], s[8:9], s14, v7, 0
	v_add_co_u32_e32 v68, vcc, s18, v3
	v_add3_u32 v8, v8, v10, v9
	v_addc_co_u32_e32 v69, vcc, v11, v4, vcc
	v_lshlrev_b64 v[3:4], 3, v[7:8]
	v_mov_b32_e32 v7, s17
	v_add_co_u32_e32 v70, vcc, s16, v3
	v_addc_co_u32_e32 v71, vcc, v7, v4, vcc
	v_mov_b32_e32 v7, s19
	v_add_co_u32_e32 v72, vcc, s18, v3
	v_addc_co_u32_e32 v73, vcc, v7, v4, vcc
	;; [unrolled: 3-line block ×3, first 2 shown]
	v_lshlrev_b64 v[3:4], 3, v[3:4]
	v_mov_b32_e32 v5, s17
	v_add_co_u32_e32 v74, vcc, s16, v3
	v_addc_co_u32_e32 v75, vcc, v5, v4, vcc
	v_add_co_u32_e32 v76, vcc, s18, v3
	v_mbcnt_lo_u32_b32 v3, -1, 0
	v_mbcnt_hi_u32_b32 v3, -1, v3
	v_mov_b32_e32 v5, s19
	s_add_u32 s28, s10, 0x7f
	v_mov_b32_e32 v19, 0
	v_lshlrev_b32_e32 v3, 2, v3
	v_mov_b32_e32 v21, 0
	v_addc_co_u32_e32 v77, vcc, v5, v4, vcc
	s_addc_u32 s29, 0, 0
	v_mov_b32_e32 v20, 0
	v_and_b32_e32 v78, 0x100, v3
	v_mov_b32_e32 v22, 0
	s_mov_b64 s[30:31], s[10:11]
	s_branch .LBB44_5
.LBB44_3:                               ;   in Loop: Header=BB44_5 Depth=1
	s_or_b64 exec, exec, s[8:9]
	s_waitcnt vmcnt(1)
	ds_bpermute_b32 v79, v78, v25
	ds_bpermute_b32 v80, v78, v26
	s_waitcnt vmcnt(0)
	ds_bpermute_b32 v81, v78, v27
	ds_bpermute_b32 v83, v78, v25 offset:8
	ds_bpermute_b32 v84, v78, v26 offset:8
	ds_bpermute_b32 v82, v78, v28
	s_waitcnt lgkmcnt(4)
	v_add_f64 v[29:30], v[29:30], -v[79:80]
	ds_bpermute_b32 v79, v78, v25 offset:4
	ds_bpermute_b32 v80, v78, v26 offset:4
	s_waitcnt lgkmcnt(3)
	v_add_f64 v[33:34], v[33:34], -v[83:84]
	s_waitcnt lgkmcnt(0)
	v_add_f64 v[37:38], v[37:38], -v[79:80]
	v_mul_f64 v[29:30], v[3:4], v[29:30]
	v_add_f64 v[3:4], v[21:22], v[3:4]
	ds_bpermute_b32 v21, v78, v25 offset:12
	ds_bpermute_b32 v22, v78, v26 offset:12
	;; [unrolled: 1-line block ×4, first 2 shown]
	v_mul_f64 v[37:38], v[5:6], v[37:38]
	v_fma_f64 v[19:20], v[29:30], v[81:82], v[19:20]
	ds_bpermute_b32 v29, v78, v27 offset:4
	ds_bpermute_b32 v30, v78, v28 offset:4
	s_waitcnt lgkmcnt(4)
	v_add_f64 v[21:22], v[39:40], -v[21:22]
	v_add_f64 v[3:4], v[5:6], v[3:4]
	v_mul_f64 v[5:6], v[7:8], v[33:34]
	s_waitcnt lgkmcnt(2)
	v_add_f64 v[35:36], v[35:36], -v[79:80]
	ds_bpermute_b32 v33, v78, v25 offset:20
	s_waitcnt lgkmcnt(1)
	v_fma_f64 v[19:20], v[37:38], v[29:30], v[19:20]
	ds_bpermute_b32 v29, v78, v27 offset:8
	ds_bpermute_b32 v30, v78, v28 offset:8
	v_mul_f64 v[21:22], v[9:10], v[21:22]
	v_add_f64 v[3:4], v[7:8], v[3:4]
	ds_bpermute_b32 v34, v78, v26 offset:20
	ds_bpermute_b32 v7, v78, v27 offset:12
	;; [unrolled: 1-line block ×3, first 2 shown]
	s_waitcnt lgkmcnt(3)
	v_fma_f64 v[5:6], v[5:6], v[29:30], v[19:20]
	ds_bpermute_b32 v19, v78, v25 offset:24
	s_waitcnt lgkmcnt(3)
	v_add_f64 v[29:30], v[43:44], -v[33:34]
	v_mul_f64 v[33:34], v[11:12], v[35:36]
	v_add_f64 v[3:4], v[9:10], v[3:4]
	ds_bpermute_b32 v20, v78, v26 offset:24
	s_waitcnt lgkmcnt(2)
	v_fma_f64 v[5:6], v[21:22], v[7:8], v[5:6]
	ds_bpermute_b32 v7, v78, v27 offset:16
	ds_bpermute_b32 v8, v78, v28 offset:16
	s_waitcnt lgkmcnt(2)
	v_add_f64 v[9:10], v[41:42], -v[19:20]
	v_mul_f64 v[19:20], v[13:14], v[29:30]
	v_add_f64 v[3:4], v[11:12], v[3:4]
	ds_bpermute_b32 v11, v78, v27 offset:24
	ds_bpermute_b32 v12, v78, v28 offset:24
	s_waitcnt lgkmcnt(2)
	v_fma_f64 v[5:6], v[33:34], v[7:8], v[5:6]
	ds_bpermute_b32 v7, v78, v27 offset:20
	ds_bpermute_b32 v8, v78, v28 offset:20
	v_mul_f64 v[9:10], v[15:16], v[9:10]
	ds_bpermute_b32 v27, v78, v27 offset:28
	v_add_f64 v[3:4], v[13:14], v[3:4]
	ds_bpermute_b32 v28, v78, v28 offset:28
	s_waitcnt lgkmcnt(2)
	v_fma_f64 v[7:8], v[19:20], v[7:8], v[5:6]
	v_add_f64 v[5:6], v[15:16], v[3:4]
	v_fma_f64 v[3:4], v[9:10], v[11:12], v[7:8]
	ds_bpermute_b32 v7, v78, v25 offset:28
	ds_bpermute_b32 v8, v78, v26 offset:28
.LBB44_4:                               ;   in Loop: Header=BB44_5 Depth=1
	v_mov_b32_e32 v9, s27
	v_add_co_u32_e32 v46, vcc, s26, v46
	v_addc_co_u32_e32 v47, vcc, v47, v9, vcc
	v_add_co_u32_e32 v48, vcc, s26, v48
	v_addc_co_u32_e32 v49, vcc, v49, v9, vcc
	;; [unrolled: 2-line block ×5, first 2 shown]
	v_add_co_u32_e32 v56, vcc, s26, v56
	s_waitcnt lgkmcnt(0)
	v_add_f64 v[7:8], v[31:32], -v[7:8]
	v_addc_co_u32_e32 v57, vcc, v57, v9, vcc
	v_add_co_u32_e32 v58, vcc, s26, v58
	v_addc_co_u32_e32 v59, vcc, v59, v9, vcc
	v_add_co_u32_e32 v60, vcc, s26, v60
	;; [unrolled: 2-line block ×4, first 2 shown]
	v_add_f64 v[21:22], v[5:6], v[17:18]
	v_mul_f64 v[5:6], v[17:18], v[7:8]
	v_addc_co_u32_e32 v65, vcc, v65, v9, vcc
	v_add_co_u32_e32 v66, vcc, s26, v66
	v_addc_co_u32_e32 v67, vcc, v67, v9, vcc
	v_add_co_u32_e32 v68, vcc, s26, v68
	;; [unrolled: 2-line block ×4, first 2 shown]
	v_fma_f64 v[19:20], v[5:6], v[27:28], v[3:4]
	v_addc_co_u32_e32 v73, vcc, v73, v9, vcc
	v_add_co_u32_e32 v74, vcc, s26, v74
	v_addc_co_u32_e32 v75, vcc, v75, v9, vcc
	s_add_u32 s30, s30, s7
	v_add_co_u32_e32 v76, vcc, s26, v76
	v_mov_b32_e32 v3, s12
	s_addc_u32 s31, s31, 0
	v_addc_co_u32_e32 v77, vcc, v77, v9, vcc
	v_mov_b32_e32 v4, s13
	v_cmp_lt_i64_e32 vcc, s[30:31], v[3:4]
	s_add_u32 s28, s28, s7
	s_addc_u32 s29, s29, 0
	s_cbranch_vccz .LBB44_49
.LBB44_5:                               ; =>This Inner Loop Header: Depth=1
	v_mov_b32_e32 v3, s12
	v_mov_b32_e32 v4, s13
	v_cmp_ge_i64_e32 vcc, s[28:29], v[3:4]
	v_mov_b32_e32 v3, s29
	v_add_co_u32_e64 v79, s[8:9], s28, v45
	v_addc_co_u32_e64 v80, s[8:9], 0, v3, s[8:9]
	s_mov_b64 s[8:9], -1
	s_and_b64 vcc, exec, vcc
                                        ; implicit-def: $vgpr3_vgpr4_vgpr5_vgpr6_vgpr7_vgpr8_vgpr9_vgpr10_vgpr11_vgpr12_vgpr13_vgpr14_vgpr15_vgpr16_vgpr17_vgpr18
                                        ; implicit-def: $vgpr27_vgpr28
                                        ; implicit-def: $vgpr31_vgpr32
                                        ; implicit-def: $vgpr7
                                        ; implicit-def: $vgpr5_vgpr6
                                        ; implicit-def: $vgpr3_vgpr4
	s_cbranch_vccz .LBB44_27
; %bb.6:                                ;   in Loop: Header=BB44_5 Depth=1
	s_load_dword s8, s[24:25], 0xc
	v_mov_b32_e32 v29, 0
	v_mov_b32_e32 v27, 0
	;; [unrolled: 1-line block ×4, first 2 shown]
	s_waitcnt lgkmcnt(0)
	s_and_b32 s8, s8, 0xffff
	v_mad_u32_u24 v3, v1, s8, v0
	v_and_b32_e32 v3, 63, v3
	v_mov_b32_e32 v28, 0
	v_mov_b32_e32 v26, 0
	v_cmp_gt_u32_e32 vcc, 8, v3
	s_and_saveexec_b64 s[8:9], vcc
	s_cbranch_execz .LBB44_10
; %bb.7:                                ;   in Loop: Header=BB44_5 Depth=1
	v_add_co_u32_e32 v3, vcc, v79, v3
	v_addc_co_u32_e32 v4, vcc, 0, v80, vcc
	v_add_co_u32_e32 v3, vcc, 0xffffff81, v3
	v_addc_co_u32_e32 v4, vcc, -1, v4, vcc
	v_cmp_gt_i64_e32 vcc, s[12:13], v[3:4]
	v_mov_b32_e32 v25, 0
	v_mov_b32_e32 v27, 0
	;; [unrolled: 1-line block ×4, first 2 shown]
	s_and_saveexec_b64 s[34:35], vcc
	s_cbranch_execz .LBB44_9
; %bb.8:                                ;   in Loop: Header=BB44_5 Depth=1
	v_lshlrev_b64 v[3:4], 3, v[3:4]
	v_mov_b32_e32 v6, s23
	v_add_co_u32_e32 v5, vcc, s22, v3
	v_addc_co_u32_e32 v6, vcc, v6, v4, vcc
	v_mov_b32_e32 v7, s21
	v_add_co_u32_e32 v3, vcc, s20, v3
	v_addc_co_u32_e32 v4, vcc, v7, v4, vcc
	global_load_dwordx2 v[25:26], v[3:4], off
	global_load_dwordx2 v[27:28], v[5:6], off
.LBB44_9:                               ;   in Loop: Header=BB44_5 Depth=1
	s_or_b64 exec, exec, s[34:35]
.LBB44_10:                              ;   in Loop: Header=BB44_5 Depth=1
	s_or_b64 exec, exec, s[8:9]
	v_add_co_u32_e32 v3, vcc, 0xffffff81, v79
	v_addc_co_u32_e32 v4, vcc, -1, v80, vcc
	v_cmp_gt_i64_e32 vcc, s[12:13], v[3:4]
	v_mov_b32_e32 v3, v2
	v_mov_b32_e32 v4, v2
	;; [unrolled: 1-line block ×31, first 2 shown]
	s_and_b64 s[34:35], s[2:3], vcc
	s_and_saveexec_b64 s[8:9], s[34:35]
	s_cbranch_execz .LBB44_12
; %bb.11:                               ;   in Loop: Header=BB44_5 Depth=1
	v_add_co_u32_e32 v3, vcc, v46, v23
	v_addc_co_u32_e32 v4, vcc, v47, v24, vcc
	v_add_co_u32_e32 v5, vcc, v48, v23
	v_addc_co_u32_e32 v6, vcc, v49, v24, vcc
	global_load_dwordx2 v[3:4], v[3:4], off
	v_mov_b32_e32 v7, v2
	global_load_dwordx2 v[29:30], v[5:6], off
	v_mov_b32_e32 v5, v2
	v_mov_b32_e32 v6, v2
	;; [unrolled: 1-line block ×13, first 2 shown]
.LBB44_12:                              ;   in Loop: Header=BB44_5 Depth=1
	s_or_b64 exec, exec, s[8:9]
	v_add_co_u32_e32 v31, vcc, 0xffffff82, v79
	v_addc_co_u32_e32 v32, vcc, -1, v80, vcc
	v_cmp_gt_i64_e32 vcc, s[12:13], v[31:32]
	v_mov_b32_e32 v33, 0
	v_mov_b32_e32 v35, 0
	v_mov_b32_e32 v34, 0
	v_mov_b32_e32 v36, 0
	s_and_b64 s[34:35], s[2:3], vcc
	s_and_saveexec_b64 s[8:9], s[34:35]
	s_cbranch_execz .LBB44_14
; %bb.13:                               ;   in Loop: Header=BB44_5 Depth=1
	v_add_co_u32_e32 v5, vcc, v74, v23
	v_addc_co_u32_e32 v6, vcc, v75, v24, vcc
	v_add_co_u32_e32 v31, vcc, v76, v23
	v_addc_co_u32_e32 v32, vcc, v77, v24, vcc
	global_load_dwordx2 v[5:6], v[5:6], off
	s_nop 0
	global_load_dwordx2 v[35:36], v[31:32], off
.LBB44_14:                              ;   in Loop: Header=BB44_5 Depth=1
	s_or_b64 exec, exec, s[8:9]
	v_add_co_u32_e32 v31, vcc, 0xffffff83, v79
	v_addc_co_u32_e32 v32, vcc, -1, v80, vcc
	v_cmp_gt_i64_e32 vcc, s[12:13], v[31:32]
	s_and_b64 s[34:35], s[2:3], vcc
	s_and_saveexec_b64 s[8:9], s[34:35]
	s_cbranch_execz .LBB44_16
; %bb.15:                               ;   in Loop: Header=BB44_5 Depth=1
	v_add_co_u32_e32 v7, vcc, v70, v23
	v_addc_co_u32_e32 v8, vcc, v71, v24, vcc
	v_add_co_u32_e32 v31, vcc, v72, v23
	v_addc_co_u32_e32 v32, vcc, v73, v24, vcc
	global_load_dwordx2 v[7:8], v[7:8], off
	s_nop 0
	global_load_dwordx2 v[33:34], v[31:32], off
.LBB44_16:                              ;   in Loop: Header=BB44_5 Depth=1
	s_or_b64 exec, exec, s[8:9]
	v_add_co_u32_e32 v31, vcc, 0xffffff84, v79
	v_addc_co_u32_e32 v32, vcc, -1, v80, vcc
	v_cmp_gt_i64_e32 vcc, s[12:13], v[31:32]
	v_mov_b32_e32 v37, 0
	v_mov_b32_e32 v39, 0
	v_mov_b32_e32 v38, 0
	v_mov_b32_e32 v40, 0
	s_and_b64 s[34:35], s[2:3], vcc
	s_and_saveexec_b64 s[8:9], s[34:35]
	s_cbranch_execz .LBB44_18
; %bb.17:                               ;   in Loop: Header=BB44_5 Depth=1
	v_add_co_u32_e32 v9, vcc, v66, v23
	v_addc_co_u32_e32 v10, vcc, v67, v24, vcc
	v_add_co_u32_e32 v31, vcc, v68, v23
	v_addc_co_u32_e32 v32, vcc, v69, v24, vcc
	global_load_dwordx2 v[9:10], v[9:10], off
	s_nop 0
	global_load_dwordx2 v[39:40], v[31:32], off
.LBB44_18:                              ;   in Loop: Header=BB44_5 Depth=1
	s_or_b64 exec, exec, s[8:9]
	v_add_co_u32_e32 v31, vcc, 0xffffff85, v79
	v_addc_co_u32_e32 v32, vcc, -1, v80, vcc
	v_cmp_gt_i64_e32 vcc, s[12:13], v[31:32]
	s_and_b64 s[34:35], s[2:3], vcc
	s_and_saveexec_b64 s[8:9], s[34:35]
	s_cbranch_execz .LBB44_20
; %bb.19:                               ;   in Loop: Header=BB44_5 Depth=1
	v_add_co_u32_e32 v11, vcc, v62, v23
	v_addc_co_u32_e32 v12, vcc, v63, v24, vcc
	v_add_co_u32_e32 v31, vcc, v64, v23
	v_addc_co_u32_e32 v32, vcc, v65, v24, vcc
	global_load_dwordx2 v[11:12], v[11:12], off
	s_nop 0
	global_load_dwordx2 v[37:38], v[31:32], off
.LBB44_20:                              ;   in Loop: Header=BB44_5 Depth=1
	;; [unrolled: 36-line block ×3, first 2 shown]
	s_or_b64 exec, exec, s[8:9]
	v_add_co_u32_e32 v31, vcc, 0xffffff88, v79
	v_addc_co_u32_e32 v32, vcc, -1, v80, vcc
	v_cmp_gt_i64_e32 vcc, s[12:13], v[31:32]
	v_mov_b32_e32 v31, 0
	v_mov_b32_e32 v32, 0
	s_and_b64 s[34:35], s[2:3], vcc
	s_and_saveexec_b64 s[8:9], s[34:35]
	s_cbranch_execz .LBB44_26
; %bb.25:                               ;   in Loop: Header=BB44_5 Depth=1
	v_add_co_u32_e32 v17, vcc, v50, v23
	v_addc_co_u32_e32 v18, vcc, v51, v24, vcc
	v_add_co_u32_e32 v31, vcc, v52, v23
	v_addc_co_u32_e32 v32, vcc, v53, v24, vcc
	global_load_dwordx2 v[17:18], v[17:18], off
	s_nop 0
	global_load_dwordx2 v[31:32], v[31:32], off
.LBB44_26:                              ;   in Loop: Header=BB44_5 Depth=1
	s_or_b64 exec, exec, s[8:9]
	s_waitcnt vmcnt(1)
	ds_bpermute_b32 v81, v78, v25
	ds_bpermute_b32 v82, v78, v26
	s_waitcnt vmcnt(0)
	ds_bpermute_b32 v83, v78, v27
	ds_bpermute_b32 v85, v78, v25 offset:8
	ds_bpermute_b32 v86, v78, v26 offset:8
	ds_bpermute_b32 v84, v78, v28
	s_waitcnt lgkmcnt(4)
	v_add_f64 v[29:30], v[29:30], -v[81:82]
	ds_bpermute_b32 v81, v78, v25 offset:4
	ds_bpermute_b32 v82, v78, v26 offset:4
	s_waitcnt lgkmcnt(3)
	v_add_f64 v[33:34], v[33:34], -v[85:86]
	ds_bpermute_b32 v85, v78, v25 offset:16
	ds_bpermute_b32 v86, v78, v26 offset:16
	s_mov_b64 s[8:9], 0
	s_waitcnt lgkmcnt(2)
	v_add_f64 v[35:36], v[35:36], -v[81:82]
	v_mul_f64 v[29:30], v[3:4], v[29:30]
	v_add_f64 v[3:4], v[21:22], v[3:4]
	ds_bpermute_b32 v81, v78, v25 offset:12
	ds_bpermute_b32 v82, v78, v26 offset:12
	s_waitcnt lgkmcnt(2)
	v_add_f64 v[37:38], v[37:38], -v[85:86]
	v_mul_f64 v[35:36], v[5:6], v[35:36]
	v_fma_f64 v[29:30], v[29:30], v[83:84], v[19:20]
	ds_bpermute_b32 v83, v78, v27 offset:4
	ds_bpermute_b32 v84, v78, v28 offset:4
	s_waitcnt lgkmcnt(2)
	v_add_f64 v[39:40], v[39:40], -v[81:82]
	v_add_f64 v[3:4], v[5:6], v[3:4]
	v_mul_f64 v[5:6], v[7:8], v[33:34]
	ds_bpermute_b32 v33, v78, v27 offset:8
	ds_bpermute_b32 v34, v78, v28 offset:8
	s_waitcnt lgkmcnt(2)
	v_fma_f64 v[29:30], v[35:36], v[83:84], v[29:30]
	ds_bpermute_b32 v35, v78, v25 offset:20
	ds_bpermute_b32 v36, v78, v26 offset:20
	v_mul_f64 v[39:40], v[9:10], v[39:40]
	v_add_f64 v[3:4], v[7:8], v[3:4]
	ds_bpermute_b32 v7, v78, v27 offset:12
	ds_bpermute_b32 v8, v78, v28 offset:12
	s_waitcnt lgkmcnt(4)
	v_fma_f64 v[5:6], v[5:6], v[33:34], v[29:30]
	s_waitcnt lgkmcnt(2)
	v_add_f64 v[33:34], v[43:44], -v[35:36]
	v_mul_f64 v[35:36], v[11:12], v[37:38]
	ds_bpermute_b32 v29, v78, v25 offset:24
	v_add_f64 v[3:4], v[9:10], v[3:4]
	ds_bpermute_b32 v30, v78, v26 offset:24
	s_waitcnt lgkmcnt(2)
	v_fma_f64 v[5:6], v[39:40], v[7:8], v[5:6]
	ds_bpermute_b32 v7, v78, v27 offset:16
	ds_bpermute_b32 v8, v78, v28 offset:16
	s_waitcnt lgkmcnt(2)
	v_add_f64 v[9:10], v[41:42], -v[29:30]
	v_mul_f64 v[29:30], v[13:14], v[33:34]
	v_add_f64 v[3:4], v[11:12], v[3:4]
	ds_bpermute_b32 v11, v78, v27 offset:24
	ds_bpermute_b32 v12, v78, v28 offset:24
	s_waitcnt lgkmcnt(2)
	v_fma_f64 v[5:6], v[35:36], v[7:8], v[5:6]
	ds_bpermute_b32 v7, v78, v27 offset:20
	ds_bpermute_b32 v8, v78, v28 offset:20
	v_mul_f64 v[9:10], v[15:16], v[9:10]
	ds_bpermute_b32 v27, v78, v27 offset:28
	v_add_f64 v[3:4], v[13:14], v[3:4]
	ds_bpermute_b32 v28, v78, v28 offset:28
	s_waitcnt lgkmcnt(2)
	v_fma_f64 v[7:8], v[29:30], v[7:8], v[5:6]
	v_add_f64 v[5:6], v[15:16], v[3:4]
	v_fma_f64 v[3:4], v[9:10], v[11:12], v[7:8]
	ds_bpermute_b32 v7, v78, v25 offset:28
	ds_bpermute_b32 v8, v78, v26 offset:28
.LBB44_27:                              ;   in Loop: Header=BB44_5 Depth=1
	s_and_b64 vcc, exec, s[8:9]
	s_cbranch_vccz .LBB44_4
; %bb.28:                               ;   in Loop: Header=BB44_5 Depth=1
	s_load_dword s8, s[24:25], 0x0
	v_mov_b32_e32 v29, 0
	s_waitcnt lgkmcnt(0)
	v_mov_b32_e32 v27, 0
	v_mov_b32_e32 v25, 0
	;; [unrolled: 1-line block ×3, first 2 shown]
	s_cmp_lt_u32 s6, s8
	s_cselect_b32 s8, 12, 18
	s_add_u32 s8, s24, s8
	s_addc_u32 s9, s25, 0
	global_load_ushort v3, v2, s[8:9]
	v_mov_b32_e32 v28, 0
	v_mov_b32_e32 v26, 0
	s_waitcnt vmcnt(0)
	v_mad_u32_u24 v3, v1, v3, v0
	v_and_b32_e32 v3, 63, v3
	v_cmp_gt_u32_e32 vcc, 8, v3
	s_and_saveexec_b64 s[8:9], vcc
	s_cbranch_execz .LBB44_32
; %bb.29:                               ;   in Loop: Header=BB44_5 Depth=1
	v_add_co_u32_e32 v3, vcc, v79, v3
	v_addc_co_u32_e32 v4, vcc, 0, v80, vcc
	v_add_co_u32_e32 v3, vcc, 0xffffff81, v3
	v_addc_co_u32_e32 v4, vcc, -1, v4, vcc
	v_cmp_gt_i64_e32 vcc, s[12:13], v[3:4]
	v_mov_b32_e32 v25, 0
	v_mov_b32_e32 v27, 0
	;; [unrolled: 1-line block ×4, first 2 shown]
	s_and_saveexec_b64 s[34:35], vcc
	s_cbranch_execz .LBB44_31
; %bb.30:                               ;   in Loop: Header=BB44_5 Depth=1
	v_lshlrev_b64 v[3:4], 3, v[3:4]
	v_mov_b32_e32 v6, s23
	v_add_co_u32_e32 v5, vcc, s22, v3
	v_addc_co_u32_e32 v6, vcc, v6, v4, vcc
	v_mov_b32_e32 v7, s21
	v_add_co_u32_e32 v3, vcc, s20, v3
	v_addc_co_u32_e32 v4, vcc, v7, v4, vcc
	global_load_dwordx2 v[25:26], v[3:4], off
	global_load_dwordx2 v[27:28], v[5:6], off
.LBB44_31:                              ;   in Loop: Header=BB44_5 Depth=1
	s_or_b64 exec, exec, s[34:35]
.LBB44_32:                              ;   in Loop: Header=BB44_5 Depth=1
	s_or_b64 exec, exec, s[8:9]
	v_mov_b32_e32 v3, v2
	v_mov_b32_e32 v4, v2
	;; [unrolled: 1-line block ×31, first 2 shown]
	s_and_saveexec_b64 s[8:9], s[2:3]
	s_cbranch_execz .LBB44_34
; %bb.33:                               ;   in Loop: Header=BB44_5 Depth=1
	v_add_co_u32_e32 v3, vcc, v46, v23
	v_addc_co_u32_e32 v4, vcc, v47, v24, vcc
	v_add_co_u32_e32 v5, vcc, v48, v23
	v_addc_co_u32_e32 v6, vcc, v49, v24, vcc
	global_load_dwordx2 v[3:4], v[3:4], off
	v_mov_b32_e32 v7, v2
	global_load_dwordx2 v[29:30], v[5:6], off
	v_mov_b32_e32 v5, v2
	v_mov_b32_e32 v6, v2
	;; [unrolled: 1-line block ×13, first 2 shown]
.LBB44_34:                              ;   in Loop: Header=BB44_5 Depth=1
	s_or_b64 exec, exec, s[8:9]
	v_mov_b32_e32 v33, 0
	v_mov_b32_e32 v37, 0
	v_mov_b32_e32 v34, 0
	v_mov_b32_e32 v38, 0
	s_and_saveexec_b64 s[8:9], s[2:3]
	s_cbranch_execz .LBB44_36
; %bb.35:                               ;   in Loop: Header=BB44_5 Depth=1
	v_add_co_u32_e32 v5, vcc, v74, v23
	v_addc_co_u32_e32 v6, vcc, v75, v24, vcc
	v_add_co_u32_e32 v31, vcc, v76, v23
	v_addc_co_u32_e32 v32, vcc, v77, v24, vcc
	global_load_dwordx2 v[5:6], v[5:6], off
	s_nop 0
	global_load_dwordx2 v[37:38], v[31:32], off
.LBB44_36:                              ;   in Loop: Header=BB44_5 Depth=1
	s_or_b64 exec, exec, s[8:9]
	s_and_saveexec_b64 s[8:9], s[2:3]
	s_cbranch_execz .LBB44_38
; %bb.37:                               ;   in Loop: Header=BB44_5 Depth=1
	v_add_co_u32_e32 v7, vcc, v70, v23
	v_addc_co_u32_e32 v8, vcc, v71, v24, vcc
	v_add_co_u32_e32 v31, vcc, v72, v23
	v_addc_co_u32_e32 v32, vcc, v73, v24, vcc
	global_load_dwordx2 v[7:8], v[7:8], off
	s_nop 0
	global_load_dwordx2 v[33:34], v[31:32], off
.LBB44_38:                              ;   in Loop: Header=BB44_5 Depth=1
	s_or_b64 exec, exec, s[8:9]
	v_mov_b32_e32 v35, 0
	v_mov_b32_e32 v39, 0
	v_mov_b32_e32 v36, 0
	v_mov_b32_e32 v40, 0
	s_and_saveexec_b64 s[8:9], s[2:3]
	s_cbranch_execz .LBB44_40
; %bb.39:                               ;   in Loop: Header=BB44_5 Depth=1
	v_add_co_u32_e32 v9, vcc, v66, v23
	v_addc_co_u32_e32 v10, vcc, v67, v24, vcc
	v_add_co_u32_e32 v31, vcc, v68, v23
	v_addc_co_u32_e32 v32, vcc, v69, v24, vcc
	global_load_dwordx2 v[9:10], v[9:10], off
	s_nop 0
	global_load_dwordx2 v[39:40], v[31:32], off
.LBB44_40:                              ;   in Loop: Header=BB44_5 Depth=1
	s_or_b64 exec, exec, s[8:9]
	s_and_saveexec_b64 s[8:9], s[2:3]
	s_cbranch_execz .LBB44_42
; %bb.41:                               ;   in Loop: Header=BB44_5 Depth=1
	v_add_co_u32_e32 v11, vcc, v62, v23
	v_addc_co_u32_e32 v12, vcc, v63, v24, vcc
	v_add_co_u32_e32 v31, vcc, v64, v23
	v_addc_co_u32_e32 v32, vcc, v65, v24, vcc
	global_load_dwordx2 v[11:12], v[11:12], off
	s_nop 0
	global_load_dwordx2 v[35:36], v[31:32], off
.LBB44_42:                              ;   in Loop: Header=BB44_5 Depth=1
	;; [unrolled: 28-line block ×3, first 2 shown]
	s_or_b64 exec, exec, s[8:9]
	v_mov_b32_e32 v31, 0
	v_mov_b32_e32 v32, 0
	s_and_saveexec_b64 s[8:9], s[2:3]
	s_cbranch_execz .LBB44_3
; %bb.47:                               ;   in Loop: Header=BB44_5 Depth=1
	v_add_co_u32_e32 v17, vcc, v50, v23
	v_addc_co_u32_e32 v18, vcc, v51, v24, vcc
	v_add_co_u32_e32 v31, vcc, v52, v23
	v_addc_co_u32_e32 v32, vcc, v53, v24, vcc
	global_load_dwordx2 v[17:18], v[17:18], off
	s_nop 0
	global_load_dwordx2 v[31:32], v[31:32], off
	s_branch .LBB44_3
.LBB44_48:
                                        ; implicit-def: $vgpr21_vgpr22
                                        ; implicit-def: $vgpr19_vgpr20
	s_branch .LBB44_50
.LBB44_49:
	s_cbranch_execnz .LBB44_81
.LBB44_50:
	v_mov_b32_e32 v21, 0
	v_mov_b32_e32 v19, 0
	;; [unrolled: 1-line block ×3, first 2 shown]
	s_and_b64 vcc, exec, s[0:1]
	v_mov_b32_e32 v20, 0
	s_cbranch_vccnz .LBB44_81
; %bb.51:
	v_lshlrev_b32_e32 v73, 3, v1
	v_add_co_u32_e32 v6, vcc, s10, v73
	v_addc_co_u32_e64 v7, s[0:1], 0, 0, vcc
	s_load_dword s7, s[4:5], 0x44
	v_mul_lo_u32 v2, s15, v6
	v_mul_lo_u32 v3, s14, v7
	v_mad_u64_u32 v[4:5], s[0:1], s14, v6, 0
	s_add_u32 s2, s4, 64
	s_addc_u32 s3, s5, 0
	v_add3_u32 v5, v5, v3, v2
	s_waitcnt lgkmcnt(0)
	s_lshl_b32 s7, s7, 7
	v_lshlrev_b64 v[2:3], 3, v[4:5]
	s_mul_i32 s0, s15, s7
	s_mul_hi_u32 s1, s14, s7
	v_mov_b32_e32 v8, s17
	v_add_co_u32_e32 v74, vcc, s16, v2
	s_add_i32 s1, s1, s0
	s_mul_i32 s0, s14, s7
	v_addc_co_u32_e32 v75, vcc, v8, v3, vcc
	s_lshl_b64 s[8:9], s[0:1], 3
	v_mov_b32_e32 v8, s19
	v_add_co_u32_e32 v76, vcc, s18, v2
	s_add_u32 s24, s10, 0x7f
	v_addc_co_u32_e32 v77, vcc, v8, v3, vcc
	s_addc_u32 s25, 0, 0
	v_lshlrev_b32_e32 v2, 6, v1
	s_lshl_b64 s[0:1], s[10:11], 3
	v_mov_b32_e32 v3, s1
	v_add_co_u32_e32 v8, vcc, s0, v2
	v_addc_co_u32_e32 v9, vcc, 0, v3, vcc
	v_add_co_u32_e32 v12, vcc, 8, v8
	v_addc_co_u32_e32 v10, vcc, 0, v9, vcc
	v_mov_b32_e32 v2, s16
	v_mul_lo_u32 v14, s14, v10
	v_mov_b32_e32 v10, s18
	v_mov_b32_e32 v3, s17
	;; [unrolled: 1-line block ×3, first 2 shown]
	v_mad_u64_u32 v[23:24], s[0:1], s14, v12, v[2:3]
	v_mul_lo_u32 v15, s15, v12
	v_mad_u64_u32 v[25:26], s[0:1], s14, v12, v[10:11]
	v_add_co_u32_e32 v12, vcc, 16, v8
	v_addc_co_u32_e32 v16, vcc, 0, v9, vcc
	v_mov_b32_e32 v13, s15
	v_add_co_u32_e32 v4, vcc, s14, v4
	v_addc_co_u32_e32 v5, vcc, v5, v13, vcc
	v_mul_lo_u32 v17, s15, v12
	v_mad_u64_u32 v[27:28], s[0:1], s14, v12, v[2:3]
	v_mad_u64_u32 v[29:30], s[0:1], s14, v12, v[10:11]
	v_add_co_u32_e32 v12, vcc, 24, v8
	v_addc_co_u32_e32 v13, vcc, 0, v9, vcc
	v_add3_u32 v24, v15, v24, v14
	v_add3_u32 v26, v15, v26, v14
	v_mul_lo_u32 v13, s14, v13
	v_mul_lo_u32 v14, s15, v12
	v_mad_u64_u32 v[31:32], s[0:1], s14, v12, v[2:3]
	v_mad_u64_u32 v[33:34], s[0:1], s14, v12, v[10:11]
	v_add_co_u32_e32 v12, vcc, 32, v8
	v_mul_lo_u32 v16, s14, v16
	v_addc_co_u32_e32 v15, vcc, 0, v9, vcc
	v_mul_lo_u32 v18, s15, v12
	v_mad_u64_u32 v[35:36], s[0:1], s14, v12, v[2:3]
	v_mad_u64_u32 v[37:38], s[0:1], s14, v12, v[10:11]
	v_add_co_u32_e32 v12, vcc, 40, v8
	v_add3_u32 v32, v14, v32, v13
	v_add3_u32 v34, v14, v34, v13
	v_addc_co_u32_e32 v13, vcc, 0, v9, vcc
	v_mul_lo_u32 v14, s15, v12
	v_mad_u64_u32 v[39:40], s[0:1], s14, v12, v[2:3]
	v_mad_u64_u32 v[41:42], s[0:1], s14, v12, v[10:11]
	v_add_co_u32_e32 v12, vcc, 48, v8
	v_add3_u32 v28, v17, v28, v16
	v_add3_u32 v30, v17, v30, v16
	v_addc_co_u32_e32 v16, vcc, 0, v9, vcc
	v_add_co_u32_e32 v8, vcc, 56, v8
	v_addc_co_u32_e32 v9, vcc, 0, v9, vcc
	v_mad_u64_u32 v[43:44], s[0:1], s14, v12, v[2:3]
	v_mad_u64_u32 v[47:48], s[0:1], s14, v8, v[2:3]
	v_add_co_u32_e32 v2, vcc, 7, v6
	v_addc_co_u32_e32 v3, vcc, 0, v7, vcc
	v_mad_u64_u32 v[45:46], s[0:1], s14, v12, v[10:11]
	v_mad_u64_u32 v[49:50], s[0:1], s14, v8, v[10:11]
	v_mul_lo_u32 v10, s14, v3
	v_mul_lo_u32 v11, s15, v2
	v_mad_u64_u32 v[2:3], s[0:1], s14, v2, 0
	v_mul_lo_u32 v9, s14, v9
	v_mul_lo_u32 v8, s15, v8
	v_add3_u32 v3, v3, v10, v11
	v_lshlrev_b64 v[2:3], 3, v[2:3]
	v_mul_lo_u32 v17, s15, v12
	v_add3_u32 v48, v8, v48, v9
	v_add3_u32 v50, v8, v50, v9
	v_mov_b32_e32 v8, s17
	v_add_co_u32_e32 v78, vcc, s16, v2
	v_addc_co_u32_e32 v79, vcc, v8, v3, vcc
	v_add_co_u32_e32 v8, vcc, 6, v6
	v_addc_co_u32_e32 v9, vcc, 0, v7, vcc
	v_mul_lo_u32 v11, s14, v9
	v_mul_lo_u32 v12, s15, v8
	v_mad_u64_u32 v[8:9], s[0:1], s14, v8, 0
	v_mov_b32_e32 v10, s19
	v_add_co_u32_e32 v80, vcc, s18, v2
	v_add3_u32 v9, v9, v11, v12
	v_addc_co_u32_e32 v81, vcc, v10, v3, vcc
	v_lshlrev_b64 v[2:3], 3, v[8:9]
	v_mov_b32_e32 v8, s17
	v_add_co_u32_e32 v82, vcc, s16, v2
	v_addc_co_u32_e32 v83, vcc, v8, v3, vcc
	v_add_co_u32_e32 v8, vcc, 5, v6
	v_addc_co_u32_e32 v9, vcc, 0, v7, vcc
	v_mul_lo_u32 v11, s14, v9
	v_mul_lo_u32 v12, s15, v8
	v_mad_u64_u32 v[8:9], s[0:1], s14, v8, 0
	v_add_co_u32_e32 v84, vcc, s18, v2
	v_add3_u32 v9, v9, v11, v12
	v_addc_co_u32_e32 v85, vcc, v10, v3, vcc
	v_lshlrev_b64 v[2:3], 3, v[8:9]
	v_mov_b32_e32 v8, s17
	v_add_co_u32_e32 v86, vcc, s16, v2
	v_addc_co_u32_e32 v87, vcc, v8, v3, vcc
	v_add_co_u32_e32 v8, vcc, 4, v6
	v_addc_co_u32_e32 v9, vcc, 0, v7, vcc
	v_mul_lo_u32 v11, s14, v9
	v_mul_lo_u32 v12, s15, v8
	v_mad_u64_u32 v[8:9], s[0:1], s14, v8, 0
	;; [unrolled: 12-line block ×4, first 2 shown]
	v_mov_b32_e32 v8, s19
	v_add_co_u32_e32 v96, vcc, s18, v2
	v_add3_u32 v7, v7, v9, v10
	v_addc_co_u32_e32 v97, vcc, v8, v3, vcc
	v_lshlrev_b64 v[2:3], 3, v[6:7]
	v_mov_b32_e32 v6, s17
	v_add_co_u32_e32 v98, vcc, s16, v2
	v_addc_co_u32_e32 v99, vcc, v6, v3, vcc
	v_mov_b32_e32 v6, s19
	v_add_co_u32_e32 v100, vcc, s18, v2
	v_addc_co_u32_e32 v101, vcc, v6, v3, vcc
	v_lshlrev_b64 v[2:3], 3, v[4:5]
	v_mov_b32_e32 v4, s17
	v_add_co_u32_e32 v102, vcc, s16, v2
	v_addc_co_u32_e32 v103, vcc, v4, v3, vcc
	v_mov_b32_e32 v4, s19
	v_add_co_u32_e32 v104, vcc, s18, v2
	v_mov_b32_e32 v2, 0
	v_mul_lo_u32 v15, s14, v15
	v_mul_lo_u32 v13, s14, v13
	;; [unrolled: 1-line block ×3, first 2 shown]
	v_addc_co_u32_e32 v105, vcc, v4, v3, vcc
	v_add_u32_e32 v3, s33, v0
	v_mov_b32_e32 v4, v2
	v_lshlrev_b64 v[51:52], 3, v[3:4]
	v_mbcnt_lo_u32_b32 v3, -1, 0
	v_mbcnt_hi_u32_b32 v3, -1, v3
	v_lshlrev_b32_e32 v3, 2, v3
	v_mov_b32_e32 v19, 0
	v_mov_b32_e32 v21, 0
	v_add3_u32 v36, v18, v36, v15
	v_add3_u32 v38, v18, v38, v15
	;; [unrolled: 1-line block ×6, first 2 shown]
	v_mov_b32_e32 v20, 0
	v_mov_b32_e32 v22, 0
	v_and_b32_e32 v106, 0x100, v3
	s_branch .LBB44_55
.LBB44_52:                              ;   in Loop: Header=BB44_55 Depth=1
	s_or_b64 exec, exec, s[16:17]
.LBB44_53:                              ;   in Loop: Header=BB44_55 Depth=1
	s_or_b64 exec, exec, s[0:1]
	v_add_co_u32_e32 v7, vcc, v76, v51
	v_addc_co_u32_e32 v8, vcc, v77, v52, vcc
	global_load_dwordx2 v[9:10], v[7:8], off
	v_add_co_u32_e32 v7, vcc, v74, v51
	v_addc_co_u32_e32 v8, vcc, v75, v52, vcc
	v_add_co_u32_e32 v11, vcc, v25, v51
	v_addc_co_u32_e32 v12, vcc, v26, v52, vcc
	global_load_dwordx2 v[7:8], v[7:8], off
	s_waitcnt vmcnt(3)
	ds_bpermute_b32 v107, v106, v5
	global_load_dwordx2 v[15:16], v[11:12], off
	v_add_co_u32_e32 v11, vcc, v23, v51
	v_addc_co_u32_e32 v12, vcc, v24, v52, vcc
	v_add_co_u32_e32 v13, vcc, v29, v51
	v_addc_co_u32_e32 v14, vcc, v30, v52, vcc
	global_load_dwordx2 v[53:54], v[13:14], off
	s_nop 0
	global_load_dwordx2 v[13:14], v[11:12], off
	v_add_co_u32_e32 v11, vcc, v27, v51
	v_addc_co_u32_e32 v12, vcc, v28, v52, vcc
	v_add_co_u32_e32 v17, vcc, v33, v51
	v_addc_co_u32_e32 v18, vcc, v34, v52, vcc
	global_load_dwordx2 v[11:12], v[11:12], off
	ds_bpermute_b32 v108, v106, v6
	global_load_dwordx2 v[55:56], v[17:18], off
	v_add_co_u32_e32 v17, vcc, v37, v51
	v_addc_co_u32_e32 v18, vcc, v38, v52, vcc
	v_add_co_u32_e32 v57, vcc, v31, v51
	v_addc_co_u32_e32 v58, vcc, v32, v52, vcc
	global_load_dwordx2 v[57:58], v[57:58], off
	v_add_co_u32_e32 v59, vcc, v41, v51
	global_load_dwordx2 v[61:62], v[17:18], off
	v_addc_co_u32_e32 v60, vcc, v42, v52, vcc
	v_add_co_u32_e32 v17, vcc, v45, v51
	v_addc_co_u32_e32 v18, vcc, v46, v52, vcc
	global_load_dwordx2 v[59:60], v[59:60], off
	s_nop 0
	global_load_dwordx2 v[63:64], v[17:18], off
	v_add_co_u32_e32 v17, vcc, v35, v51
	v_addc_co_u32_e32 v18, vcc, v36, v52, vcc
	global_load_dwordx2 v[65:66], v[17:18], off
	v_add_co_u32_e32 v17, vcc, v39, v51
	v_addc_co_u32_e32 v18, vcc, v40, v52, vcc
	v_add_co_u32_e32 v67, vcc, v49, v51
	v_addc_co_u32_e32 v68, vcc, v50, v52, vcc
	global_load_dwordx2 v[69:70], v[17:18], off
	s_nop 0
	global_load_dwordx2 v[67:68], v[67:68], off
	v_add_co_u32_e32 v17, vcc, v43, v51
	v_addc_co_u32_e32 v18, vcc, v44, v52, vcc
	global_load_dwordx2 v[71:72], v[17:18], off
	v_add_co_u32_e32 v17, vcc, v47, v51
	v_addc_co_u32_e32 v18, vcc, v48, v52, vcc
	global_load_dwordx2 v[17:18], v[17:18], off
	ds_bpermute_b32 v109, v106, v5 offset:8
	ds_bpermute_b32 v110, v106, v6 offset:8
	;; [unrolled: 1-line block ×4, first 2 shown]
	s_waitcnt vmcnt(15) lgkmcnt(4)
	v_add_f64 v[9:10], v[9:10], -v[107:108]
	ds_bpermute_b32 v107, v106, v5 offset:4
	ds_bpermute_b32 v108, v106, v6 offset:4
	s_waitcnt vmcnt(14)
	v_mul_f64 v[9:10], v[7:8], v[9:10]
	v_add_f64 v[7:8], v[21:22], v[7:8]
	s_waitcnt vmcnt(13) lgkmcnt(0)
	v_add_f64 v[15:16], v[15:16], -v[107:108]
	ds_bpermute_b32 v107, v106, v3
	ds_bpermute_b32 v108, v106, v4
	ds_bpermute_b32 v21, v106, v5 offset:16
	ds_bpermute_b32 v22, v106, v6 offset:16
	s_waitcnt lgkmcnt(2)
	v_fma_f64 v[9:10], v[9:10], v[107:108], v[19:20]
	s_waitcnt vmcnt(12)
	v_add_f64 v[53:54], v[53:54], -v[109:110]
	s_waitcnt vmcnt(11)
	v_mul_f64 v[15:16], v[13:14], v[15:16]
	ds_bpermute_b32 v19, v106, v3 offset:4
	ds_bpermute_b32 v20, v106, v4 offset:4
	v_add_f64 v[7:8], v[7:8], v[13:14]
	ds_bpermute_b32 v13, v106, v3 offset:8
	ds_bpermute_b32 v14, v106, v4 offset:8
	s_waitcnt lgkmcnt(2)
	v_fma_f64 v[9:10], v[15:16], v[19:20], v[9:10]
	s_waitcnt vmcnt(10)
	v_mul_f64 v[53:54], v[11:12], v[53:54]
	ds_bpermute_b32 v15, v106, v5 offset:20
	s_waitcnt vmcnt(9)
	v_add_f64 v[55:56], v[55:56], -v[111:112]
	v_add_f64 v[7:8], v[7:8], v[11:12]
	ds_bpermute_b32 v16, v106, v6 offset:20
	ds_bpermute_b32 v11, v106, v5 offset:24
	;; [unrolled: 1-line block ×4, first 2 shown]
	s_waitcnt lgkmcnt(5)
	v_fma_f64 v[9:10], v[53:54], v[13:14], v[9:10]
	ds_bpermute_b32 v13, v106, v3 offset:12
	ds_bpermute_b32 v14, v106, v4 offset:12
	s_waitcnt vmcnt(8)
	v_add_f64 v[7:8], v[7:8], v[57:58]
	ds_bpermute_b32 v6, v106, v6 offset:28
	s_waitcnt vmcnt(7)
	v_add_f64 v[19:20], v[61:62], -v[21:22]
	v_mul_f64 v[21:22], v[57:58], v[55:56]
	s_waitcnt vmcnt(6) lgkmcnt(6)
	v_add_f64 v[15:16], v[59:60], -v[15:16]
	s_waitcnt vmcnt(5) lgkmcnt(4)
	v_add_f64 v[11:12], v[63:64], -v[11:12]
	s_waitcnt lgkmcnt(1)
	v_fma_f64 v[9:10], v[21:22], v[13:14], v[9:10]
	ds_bpermute_b32 v13, v106, v3 offset:16
	ds_bpermute_b32 v14, v106, v4 offset:16
	s_waitcnt vmcnt(4)
	v_mul_f64 v[19:20], v[65:66], v[19:20]
	v_add_f64 v[7:8], v[7:8], v[65:66]
	s_waitcnt vmcnt(3)
	v_mul_f64 v[15:16], v[69:70], v[15:16]
	s_waitcnt lgkmcnt(0)
	v_fma_f64 v[9:10], v[19:20], v[13:14], v[9:10]
	s_waitcnt vmcnt(2)
	v_add_f64 v[5:6], v[67:68], -v[5:6]
	ds_bpermute_b32 v13, v106, v3 offset:20
	ds_bpermute_b32 v14, v106, v4 offset:20
	v_add_f64 v[7:8], v[7:8], v[69:70]
	s_waitcnt vmcnt(1)
	v_mul_f64 v[11:12], v[71:72], v[11:12]
	ds_bpermute_b32 v19, v106, v3 offset:24
	ds_bpermute_b32 v20, v106, v4 offset:24
	s_waitcnt lgkmcnt(2)
	v_fma_f64 v[9:10], v[15:16], v[13:14], v[9:10]
	ds_bpermute_b32 v13, v106, v3 offset:28
	s_waitcnt vmcnt(0)
	v_mul_f64 v[5:6], v[17:18], v[5:6]
	ds_bpermute_b32 v14, v106, v4 offset:28
	v_add_f64 v[3:4], v[7:8], v[71:72]
	s_waitcnt lgkmcnt(2)
	v_fma_f64 v[7:8], v[11:12], v[19:20], v[9:10]
	s_waitcnt lgkmcnt(0)
	v_mul_f64 v[5:6], v[5:6], v[13:14]
.LBB44_54:                              ;   in Loop: Header=BB44_55 Depth=1
	v_add_f64 v[19:20], v[7:8], v[5:6]
	v_mov_b32_e32 v5, s9
	v_add_co_u32_e32 v74, vcc, s8, v74
	v_addc_co_u32_e32 v75, vcc, v75, v5, vcc
	v_add_co_u32_e32 v76, vcc, s8, v76
	v_addc_co_u32_e32 v77, vcc, v77, v5, vcc
	;; [unrolled: 2-line block ×26, first 2 shown]
	v_add_co_u32_e32 v98, vcc, s8, v98
	v_add_f64 v[21:22], v[3:4], v[17:18]
	v_addc_co_u32_e32 v99, vcc, v99, v5, vcc
	v_add_co_u32_e32 v100, vcc, s8, v100
	v_addc_co_u32_e32 v101, vcc, v101, v5, vcc
	s_add_u32 s10, s10, s7
	v_add_co_u32_e32 v102, vcc, s8, v102
	v_mov_b32_e32 v3, s12
	s_addc_u32 s11, s11, 0
	v_addc_co_u32_e32 v103, vcc, v103, v5, vcc
	v_mov_b32_e32 v4, s13
	v_cmp_ge_i64_e32 vcc, s[10:11], v[3:4]
	s_add_u32 s24, s24, s7
	v_add_co_u32_e64 v104, s[0:1], s8, v104
	s_addc_u32 s25, s25, 0
	v_addc_co_u32_e64 v105, s[0:1], v105, v5, s[0:1]
	s_cbranch_vccnz .LBB44_81
.LBB44_55:                              ; =>This Inner Loop Header: Depth=1
	v_mov_b32_e32 v3, s12
	v_mov_b32_e32 v4, s13
	v_cmp_ge_i64_e32 vcc, s[24:25], v[3:4]
	v_mov_b32_e32 v3, s25
	v_add_co_u32_e64 v107, s[0:1], s24, v73
	v_addc_co_u32_e64 v108, s[0:1], 0, v3, s[0:1]
	s_mov_b64 s[0:1], -1
	s_and_b64 vcc, exec, vcc
                                        ; implicit-def: $vgpr17_vgpr18
                                        ; implicit-def: $vgpr5_vgpr6
                                        ; implicit-def: $vgpr3_vgpr4
                                        ; implicit-def: $vgpr7_vgpr8
	s_cbranch_vccz .LBB44_77
; %bb.56:                               ;   in Loop: Header=BB44_55 Depth=1
	s_load_dword s0, s[2:3], 0xc
	v_mov_b32_e32 v57, 0
	v_mov_b32_e32 v53, 0
	;; [unrolled: 1-line block ×4, first 2 shown]
	s_waitcnt lgkmcnt(0)
	s_and_b32 s0, s0, 0xffff
	v_mad_u32_u24 v3, v1, s0, v0
	v_and_b32_e32 v3, 63, v3
	v_mov_b32_e32 v54, 0
	v_mov_b32_e32 v56, 0
	v_cmp_gt_u32_e32 vcc, 8, v3
	s_and_saveexec_b64 s[0:1], vcc
	s_cbranch_execz .LBB44_60
; %bb.57:                               ;   in Loop: Header=BB44_55 Depth=1
	v_add_co_u32_e32 v3, vcc, v107, v3
	v_addc_co_u32_e32 v4, vcc, 0, v108, vcc
	v_add_co_u32_e32 v3, vcc, 0xffffff81, v3
	v_addc_co_u32_e32 v4, vcc, -1, v4, vcc
	v_cmp_gt_i64_e32 vcc, s[12:13], v[3:4]
	v_mov_b32_e32 v55, 0
	v_mov_b32_e32 v53, 0
	;; [unrolled: 1-line block ×4, first 2 shown]
	s_and_saveexec_b64 s[16:17], vcc
	s_cbranch_execz .LBB44_59
; %bb.58:                               ;   in Loop: Header=BB44_55 Depth=1
	v_lshlrev_b64 v[3:4], 3, v[3:4]
	v_mov_b32_e32 v6, s23
	v_add_co_u32_e32 v5, vcc, s22, v3
	v_addc_co_u32_e32 v6, vcc, v6, v4, vcc
	v_mov_b32_e32 v7, s21
	v_add_co_u32_e32 v3, vcc, s20, v3
	v_addc_co_u32_e32 v4, vcc, v7, v4, vcc
	global_load_dwordx2 v[55:56], v[3:4], off
	global_load_dwordx2 v[53:54], v[5:6], off
.LBB44_59:                              ;   in Loop: Header=BB44_55 Depth=1
	s_or_b64 exec, exec, s[16:17]
.LBB44_60:                              ;   in Loop: Header=BB44_55 Depth=1
	s_or_b64 exec, exec, s[0:1]
	v_add_co_u32_e32 v3, vcc, 0xffffff81, v107
	v_addc_co_u32_e32 v4, vcc, -1, v108, vcc
	v_cmp_gt_i64_e32 vcc, s[12:13], v[3:4]
	v_mov_b32_e32 v3, v2
	v_mov_b32_e32 v4, v2
	;; [unrolled: 1-line block ×31, first 2 shown]
	s_and_saveexec_b64 s[0:1], vcc
	s_cbranch_execz .LBB44_62
; %bb.61:                               ;   in Loop: Header=BB44_55 Depth=1
	v_add_co_u32_e32 v3, vcc, v74, v51
	v_addc_co_u32_e32 v4, vcc, v75, v52, vcc
	v_add_co_u32_e32 v5, vcc, v76, v51
	v_addc_co_u32_e32 v6, vcc, v77, v52, vcc
	global_load_dwordx2 v[3:4], v[3:4], off
	v_mov_b32_e32 v7, v2
	global_load_dwordx2 v[57:58], v[5:6], off
	v_mov_b32_e32 v5, v2
	v_mov_b32_e32 v6, v2
	;; [unrolled: 1-line block ×13, first 2 shown]
.LBB44_62:                              ;   in Loop: Header=BB44_55 Depth=1
	s_or_b64 exec, exec, s[0:1]
	v_add_co_u32_e32 v59, vcc, 0xffffff82, v107
	v_addc_co_u32_e32 v60, vcc, -1, v108, vcc
	v_cmp_gt_i64_e32 vcc, s[12:13], v[59:60]
	v_mov_b32_e32 v59, 0
	v_mov_b32_e32 v61, 0
	v_mov_b32_e32 v60, 0
	v_mov_b32_e32 v62, 0
	s_and_saveexec_b64 s[0:1], vcc
	s_cbranch_execz .LBB44_64
; %bb.63:                               ;   in Loop: Header=BB44_55 Depth=1
	v_add_co_u32_e32 v5, vcc, v102, v51
	v_addc_co_u32_e32 v6, vcc, v103, v52, vcc
	v_add_co_u32_e32 v61, vcc, v104, v51
	v_addc_co_u32_e32 v62, vcc, v105, v52, vcc
	global_load_dwordx2 v[5:6], v[5:6], off
	s_nop 0
	global_load_dwordx2 v[61:62], v[61:62], off
.LBB44_64:                              ;   in Loop: Header=BB44_55 Depth=1
	s_or_b64 exec, exec, s[0:1]
	v_add_co_u32_e32 v63, vcc, 0xffffff83, v107
	v_addc_co_u32_e32 v64, vcc, -1, v108, vcc
	v_cmp_gt_i64_e32 vcc, s[12:13], v[63:64]
	s_and_saveexec_b64 s[0:1], vcc
	s_cbranch_execz .LBB44_66
; %bb.65:                               ;   in Loop: Header=BB44_55 Depth=1
	v_add_co_u32_e32 v7, vcc, v98, v51
	v_addc_co_u32_e32 v8, vcc, v99, v52, vcc
	v_add_co_u32_e32 v59, vcc, v100, v51
	v_addc_co_u32_e32 v60, vcc, v101, v52, vcc
	global_load_dwordx2 v[7:8], v[7:8], off
	s_nop 0
	global_load_dwordx2 v[59:60], v[59:60], off
.LBB44_66:                              ;   in Loop: Header=BB44_55 Depth=1
	s_or_b64 exec, exec, s[0:1]
	v_add_co_u32_e32 v63, vcc, 0xffffff84, v107
	v_addc_co_u32_e32 v64, vcc, -1, v108, vcc
	v_cmp_gt_i64_e32 vcc, s[12:13], v[63:64]
	v_mov_b32_e32 v63, 0
	v_mov_b32_e32 v65, 0
	v_mov_b32_e32 v64, 0
	v_mov_b32_e32 v66, 0
	s_and_saveexec_b64 s[0:1], vcc
	s_cbranch_execz .LBB44_68
; %bb.67:                               ;   in Loop: Header=BB44_55 Depth=1
	v_add_co_u32_e32 v9, vcc, v94, v51
	v_addc_co_u32_e32 v10, vcc, v95, v52, vcc
	v_add_co_u32_e32 v65, vcc, v96, v51
	v_addc_co_u32_e32 v66, vcc, v97, v52, vcc
	global_load_dwordx2 v[9:10], v[9:10], off
	s_nop 0
	global_load_dwordx2 v[65:66], v[65:66], off
.LBB44_68:                              ;   in Loop: Header=BB44_55 Depth=1
	s_or_b64 exec, exec, s[0:1]
	v_add_co_u32_e32 v67, vcc, 0xffffff85, v107
	v_addc_co_u32_e32 v68, vcc, -1, v108, vcc
	v_cmp_gt_i64_e32 vcc, s[12:13], v[67:68]
	s_and_saveexec_b64 s[0:1], vcc
	s_cbranch_execz .LBB44_70
; %bb.69:                               ;   in Loop: Header=BB44_55 Depth=1
	v_add_co_u32_e32 v11, vcc, v90, v51
	v_addc_co_u32_e32 v12, vcc, v91, v52, vcc
	v_add_co_u32_e32 v63, vcc, v92, v51
	v_addc_co_u32_e32 v64, vcc, v93, v52, vcc
	global_load_dwordx2 v[11:12], v[11:12], off
	s_nop 0
	global_load_dwordx2 v[63:64], v[63:64], off
.LBB44_70:                              ;   in Loop: Header=BB44_55 Depth=1
	;; [unrolled: 34-line block ×3, first 2 shown]
	s_or_b64 exec, exec, s[0:1]
	v_add_co_u32_e32 v71, vcc, 0xffffff88, v107
	v_addc_co_u32_e32 v72, vcc, -1, v108, vcc
	v_cmp_gt_i64_e32 vcc, s[12:13], v[71:72]
	v_mov_b32_e32 v71, 0
	v_mov_b32_e32 v72, 0
	s_and_saveexec_b64 s[0:1], vcc
	s_cbranch_execz .LBB44_76
; %bb.75:                               ;   in Loop: Header=BB44_55 Depth=1
	v_add_co_u32_e32 v17, vcc, v78, v51
	v_addc_co_u32_e32 v18, vcc, v79, v52, vcc
	v_add_co_u32_e32 v71, vcc, v80, v51
	v_addc_co_u32_e32 v72, vcc, v81, v52, vcc
	global_load_dwordx2 v[17:18], v[17:18], off
	s_nop 0
	global_load_dwordx2 v[71:72], v[71:72], off
.LBB44_76:                              ;   in Loop: Header=BB44_55 Depth=1
	s_or_b64 exec, exec, s[0:1]
	s_waitcnt vmcnt(1)
	ds_bpermute_b32 v109, v106, v55
	ds_bpermute_b32 v110, v106, v56
	s_waitcnt vmcnt(0)
	ds_bpermute_b32 v111, v106, v53
	ds_bpermute_b32 v113, v106, v55 offset:8
	ds_bpermute_b32 v114, v106, v56 offset:8
	ds_bpermute_b32 v112, v106, v54
	s_waitcnt lgkmcnt(4)
	v_add_f64 v[57:58], v[57:58], -v[109:110]
	ds_bpermute_b32 v109, v106, v55 offset:4
	ds_bpermute_b32 v110, v106, v56 offset:4
	s_waitcnt lgkmcnt(3)
	v_add_f64 v[59:60], v[59:60], -v[113:114]
	ds_bpermute_b32 v113, v106, v55 offset:16
	ds_bpermute_b32 v114, v106, v56 offset:16
	s_mov_b64 s[0:1], 0
	s_waitcnt lgkmcnt(2)
	v_add_f64 v[61:62], v[61:62], -v[109:110]
	v_mul_f64 v[57:58], v[3:4], v[57:58]
	v_add_f64 v[3:4], v[21:22], v[3:4]
	ds_bpermute_b32 v109, v106, v55 offset:12
	ds_bpermute_b32 v110, v106, v56 offset:12
	s_waitcnt lgkmcnt(2)
	v_add_f64 v[63:64], v[63:64], -v[113:114]
	v_mul_f64 v[61:62], v[5:6], v[61:62]
	v_fma_f64 v[57:58], v[57:58], v[111:112], v[19:20]
	ds_bpermute_b32 v111, v106, v53 offset:4
	ds_bpermute_b32 v112, v106, v54 offset:4
	s_waitcnt lgkmcnt(2)
	v_add_f64 v[65:66], v[65:66], -v[109:110]
	v_add_f64 v[3:4], v[5:6], v[3:4]
	v_mul_f64 v[5:6], v[7:8], v[59:60]
	ds_bpermute_b32 v59, v106, v53 offset:8
	ds_bpermute_b32 v60, v106, v54 offset:8
	s_waitcnt lgkmcnt(2)
	v_fma_f64 v[57:58], v[61:62], v[111:112], v[57:58]
	ds_bpermute_b32 v61, v106, v55 offset:20
	ds_bpermute_b32 v62, v106, v56 offset:20
	v_mul_f64 v[65:66], v[9:10], v[65:66]
	v_add_f64 v[3:4], v[7:8], v[3:4]
	ds_bpermute_b32 v7, v106, v53 offset:12
	ds_bpermute_b32 v8, v106, v54 offset:12
	s_waitcnt lgkmcnt(4)
	v_fma_f64 v[5:6], v[5:6], v[59:60], v[57:58]
	s_waitcnt lgkmcnt(2)
	v_add_f64 v[59:60], v[69:70], -v[61:62]
	v_mul_f64 v[61:62], v[11:12], v[63:64]
	ds_bpermute_b32 v57, v106, v55 offset:24
	v_add_f64 v[3:4], v[9:10], v[3:4]
	ds_bpermute_b32 v58, v106, v56 offset:24
	ds_bpermute_b32 v9, v106, v55 offset:28
	ds_bpermute_b32 v10, v106, v56 offset:28
	s_waitcnt lgkmcnt(4)
	v_fma_f64 v[5:6], v[65:66], v[7:8], v[5:6]
	ds_bpermute_b32 v7, v106, v53 offset:16
	ds_bpermute_b32 v8, v106, v54 offset:16
	s_waitcnt lgkmcnt(4)
	v_add_f64 v[55:56], v[67:68], -v[57:58]
	v_mul_f64 v[57:58], v[13:14], v[59:60]
	v_add_f64 v[3:4], v[11:12], v[3:4]
	ds_bpermute_b32 v11, v106, v53 offset:24
	ds_bpermute_b32 v12, v106, v54 offset:24
	s_waitcnt lgkmcnt(2)
	v_fma_f64 v[5:6], v[61:62], v[7:8], v[5:6]
	v_add_f64 v[7:8], v[71:72], -v[9:10]
	ds_bpermute_b32 v9, v106, v53 offset:20
	ds_bpermute_b32 v10, v106, v54 offset:20
	v_mul_f64 v[55:56], v[15:16], v[55:56]
	v_add_f64 v[3:4], v[13:14], v[3:4]
	ds_bpermute_b32 v13, v106, v53 offset:28
	ds_bpermute_b32 v14, v106, v54 offset:28
	s_waitcnt lgkmcnt(2)
	v_fma_f64 v[5:6], v[57:58], v[9:10], v[5:6]
	v_mul_f64 v[9:10], v[17:18], v[7:8]
	v_add_f64 v[3:4], v[15:16], v[3:4]
	v_fma_f64 v[7:8], v[55:56], v[11:12], v[5:6]
	s_waitcnt lgkmcnt(0)
	v_mul_f64 v[5:6], v[9:10], v[13:14]
.LBB44_77:                              ;   in Loop: Header=BB44_55 Depth=1
	s_and_b64 vcc, exec, s[0:1]
	s_cbranch_vccz .LBB44_54
; %bb.78:                               ;   in Loop: Header=BB44_55 Depth=1
	s_load_dword s0, s[2:3], 0x0
	v_mov_b32_e32 v3, 0
	v_mov_b32_e32 v4, 0
	s_waitcnt lgkmcnt(0)
	s_cmp_lt_u32 s6, s0
	s_cselect_b32 s0, 12, 18
	s_add_u32 s0, s2, s0
	s_addc_u32 s1, s3, 0
	global_load_ushort v5, v2, s[0:1]
	s_waitcnt vmcnt(0)
	v_mad_u32_u24 v5, v1, v5, v0
	v_and_b32_e32 v7, 63, v5
	v_mov_b32_e32 v5, 0
	v_mov_b32_e32 v6, 0
	v_cmp_gt_u32_e32 vcc, 8, v7
	s_and_saveexec_b64 s[0:1], vcc
	s_cbranch_execz .LBB44_53
; %bb.79:                               ;   in Loop: Header=BB44_55 Depth=1
	v_add_co_u32_e32 v3, vcc, v107, v7
	v_addc_co_u32_e32 v4, vcc, 0, v108, vcc
	v_add_co_u32_e32 v7, vcc, 0xffffff81, v3
	v_addc_co_u32_e32 v8, vcc, -1, v4, vcc
	v_cmp_gt_i64_e32 vcc, s[12:13], v[7:8]
	v_mov_b32_e32 v5, 0
	v_mov_b32_e32 v3, 0
	v_mov_b32_e32 v6, 0
	v_mov_b32_e32 v4, 0
	s_and_saveexec_b64 s[16:17], vcc
	s_cbranch_execz .LBB44_52
; %bb.80:                               ;   in Loop: Header=BB44_55 Depth=1
	v_lshlrev_b64 v[3:4], 3, v[7:8]
	v_mov_b32_e32 v5, s23
	v_add_co_u32_e32 v7, vcc, s22, v3
	v_addc_co_u32_e32 v8, vcc, v5, v4, vcc
	v_mov_b32_e32 v5, s21
	v_add_co_u32_e32 v3, vcc, s20, v3
	v_addc_co_u32_e32 v4, vcc, v5, v4, vcc
	global_load_dwordx2 v[5:6], v[3:4], off
	s_nop 0
	global_load_dwordx2 v[3:4], v[7:8], off
	s_branch .LBB44_52
.LBB44_81:
	v_mad_u32_u24 v2, v1, 33, v0
	v_sub_u32_e32 v6, v2, v1
	s_movk_i32 s0, 0x800
	v_lshl_add_u32 v3, v2, 3, 0
	v_cmp_gt_u32_e32 vcc, s0, v6
	ds_write_b64 v3, v[19:20]
	ds_write_b64 v3, v[21:22] offset:4224
	s_waitcnt lgkmcnt(0)
	s_barrier
	s_and_saveexec_b64 s[0:1], vcc
	s_cbranch_execz .LBB44_113
; %bb.82:
	s_load_dwordx4 s[8:11], s[4:5], 0x30
	v_and_b32_e32 v1, 63, v6
	v_lshrrev_b32_e32 v8, 6, v6
	v_cmp_gt_u32_e64 s[0:1], 16, v1
	v_mul_u32_u24_e32 v7, 33, v1
                                        ; implicit-def: $vgpr1_vgpr2
                                        ; implicit-def: $vgpr3_vgpr4
	s_and_saveexec_b64 s[2:3], s[0:1]
	s_cbranch_execz .LBB44_84
; %bb.83:
	v_add_u32_e32 v1, v8, v7
	v_lshl_add_u32 v1, v1, 3, 0
	ds_read_b64 v[3:4], v1
	ds_read_b64 v[1:2], v1 offset:4224
.LBB44_84:
	s_or_b64 exec, exec, s[2:3]
	v_mbcnt_lo_u32_b32 v5, -1, 0
	v_mbcnt_hi_u32_b32 v5, -1, v5
	v_and_b32_e32 v9, 64, v5
	v_add_u32_e32 v16, 64, v9
	v_xor_b32_e32 v9, 8, v5
	v_cmp_lt_i32_e32 vcc, v9, v16
	v_cndmask_b32_e32 v9, v5, v9, vcc
	v_lshlrev_b32_e32 v9, 2, v9
	s_waitcnt lgkmcnt(0)
	ds_bpermute_b32 v10, v9, v3
	ds_bpermute_b32 v11, v9, v4
	;; [unrolled: 1-line block ×4, first 2 shown]
	v_cmp_eq_u32_e64 s[2:3], 0, v0
	s_mov_b32 s7, 0
	s_waitcnt lgkmcnt(2)
	v_add_f64 v[3:4], v[3:4], v[10:11]
	v_xor_b32_e32 v10, 4, v5
	s_waitcnt lgkmcnt(0)
	v_add_f64 v[1:2], v[1:2], v[12:13]
	v_cmp_lt_i32_e32 vcc, v10, v16
	v_cndmask_b32_e32 v10, v5, v10, vcc
	v_lshlrev_b32_e32 v10, 2, v10
	s_lshl_b64 s[4:5], s[6:7], 5
	s_cmp_lg_u64 s[8:9], 0
	ds_bpermute_b32 v11, v10, v3
	ds_bpermute_b32 v12, v10, v4
	;; [unrolled: 1-line block ×4, first 2 shown]
	s_cselect_b64 s[12:13], -1, 0
	s_cmp_lg_u64 s[10:11], 0
	s_waitcnt lgkmcnt(2)
	v_add_f64 v[3:4], v[3:4], v[11:12]
	v_xor_b32_e32 v11, 2, v5
	s_waitcnt lgkmcnt(0)
	v_add_f64 v[1:2], v[1:2], v[13:14]
	v_cmp_lt_i32_e32 vcc, v11, v16
	v_cndmask_b32_e32 v11, v5, v11, vcc
	v_lshlrev_b32_e32 v11, 2, v11
	s_cselect_b64 s[6:7], -1, 0
	ds_bpermute_b32 v12, v11, v3
	ds_bpermute_b32 v13, v11, v4
	;; [unrolled: 1-line block ×4, first 2 shown]
	s_waitcnt lgkmcnt(2)
	v_add_f64 v[3:4], v[3:4], v[12:13]
	s_waitcnt lgkmcnt(0)
	v_add_f64 v[13:14], v[1:2], v[14:15]
	v_xor_b32_e32 v1, 1, v5
	v_cmp_lt_i32_e32 vcc, v1, v16
	v_cndmask_b32_e32 v1, v5, v1, vcc
	v_lshlrev_b32_e32 v12, 2, v1
	v_mov_b32_e32 v5, s5
	ds_bpermute_b32 v1, v12, v3
	ds_bpermute_b32 v2, v12, v4
	;; [unrolled: 1-line block ×4, first 2 shown]
	s_waitcnt lgkmcnt(2)
	v_add_f64 v[0:1], v[3:4], v[1:2]
	v_or_b32_e32 v4, s4, v8
	s_waitcnt lgkmcnt(0)
	v_add_f64 v[2:3], v[13:14], v[15:16]
	v_cmp_gt_i64_e32 vcc, s[14:15], v[4:5]
	s_and_b64 s[18:19], s[2:3], vcc
	s_and_saveexec_b64 s[16:17], s[18:19]
	s_cbranch_execz .LBB44_89
; %bb.85:
	v_lshlrev_b64 v[4:5], 3, v[4:5]
	s_andn2_b64 vcc, exec, s[12:13]
	s_cbranch_vccnz .LBB44_87
; %bb.86:
	v_mov_b32_e32 v14, s9
	v_add_co_u32_e32 v13, vcc, s8, v4
	v_addc_co_u32_e32 v14, vcc, v14, v5, vcc
	global_store_dwordx2 v[13:14], v[0:1], off
.LBB44_87:
	s_andn2_b64 vcc, exec, s[6:7]
	s_cbranch_vccnz .LBB44_89
; %bb.88:
	v_mov_b32_e32 v13, s11
	v_add_co_u32_e32 v4, vcc, s10, v4
	v_addc_co_u32_e32 v5, vcc, v13, v5, vcc
	global_store_dwordx2 v[4:5], v[2:3], off
.LBB44_89:
	s_or_b64 exec, exec, s[16:17]
	s_movk_i32 s16, 0x600
	v_cmp_gt_u32_e32 vcc, s16, v6
	s_and_b64 exec, exec, vcc
	s_cbranch_execz .LBB44_113
; %bb.90:
	s_and_saveexec_b64 s[16:17], s[0:1]
	s_cbranch_execz .LBB44_92
; %bb.91:
	v_add_u32_e32 v0, v8, v7
	v_lshl_add_u32 v2, v0, 3, 0
	ds_read_b64 v[0:1], v2 offset:64
	ds_read_b64 v[2:3], v2 offset:4288
.LBB44_92:
	s_or_b64 exec, exec, s[16:17]
	s_waitcnt lgkmcnt(1)
	ds_bpermute_b32 v4, v9, v0
	ds_bpermute_b32 v5, v9, v1
	s_waitcnt lgkmcnt(2)
	ds_bpermute_b32 v13, v9, v2
	ds_bpermute_b32 v14, v9, v3
	v_add_u32_e32 v15, 8, v8
	s_waitcnt lgkmcnt(2)
	v_add_f64 v[0:1], v[0:1], v[4:5]
	s_waitcnt lgkmcnt(0)
	v_add_f64 v[2:3], v[2:3], v[13:14]
	ds_bpermute_b32 v4, v10, v0
	ds_bpermute_b32 v5, v10, v1
	ds_bpermute_b32 v13, v10, v2
	ds_bpermute_b32 v14, v10, v3
	s_waitcnt lgkmcnt(2)
	v_add_f64 v[0:1], v[0:1], v[4:5]
	s_waitcnt lgkmcnt(0)
	v_add_f64 v[2:3], v[2:3], v[13:14]
	ds_bpermute_b32 v4, v11, v0
	ds_bpermute_b32 v5, v11, v1
	ds_bpermute_b32 v13, v11, v2
	ds_bpermute_b32 v14, v11, v3
	;; [unrolled: 8-line block ×3, first 2 shown]
	s_waitcnt lgkmcnt(2)
	v_add_f64 v[0:1], v[0:1], v[4:5]
	v_mov_b32_e32 v5, s5
	s_waitcnt lgkmcnt(0)
	v_add_f64 v[2:3], v[2:3], v[13:14]
	v_add_co_u32_e32 v4, vcc, s4, v15
	v_addc_co_u32_e32 v5, vcc, 0, v5, vcc
	v_cmp_gt_i64_e32 vcc, s[14:15], v[4:5]
	s_and_b64 s[18:19], s[2:3], vcc
	s_and_saveexec_b64 s[16:17], s[18:19]
	s_cbranch_execz .LBB44_97
; %bb.93:
	s_andn2_b64 vcc, exec, s[12:13]
	s_cbranch_vccnz .LBB44_95
; %bb.94:
	v_mov_b32_e32 v5, s5
	v_add_co_u32_e32 v4, vcc, s4, v8
	v_addc_co_u32_e32 v5, vcc, 0, v5, vcc
	v_lshlrev_b64 v[4:5], 3, v[4:5]
	v_mov_b32_e32 v13, s9
	v_add_co_u32_e32 v4, vcc, s8, v4
	v_addc_co_u32_e32 v5, vcc, v13, v5, vcc
	global_store_dwordx2 v[4:5], v[0:1], off offset:64
.LBB44_95:
	s_andn2_b64 vcc, exec, s[6:7]
	s_cbranch_vccnz .LBB44_97
; %bb.96:
	v_mov_b32_e32 v5, s5
	v_add_co_u32_e32 v4, vcc, s4, v8
	v_addc_co_u32_e32 v5, vcc, 0, v5, vcc
	v_lshlrev_b64 v[4:5], 3, v[4:5]
	v_mov_b32_e32 v13, s11
	v_add_co_u32_e32 v4, vcc, s10, v4
	v_addc_co_u32_e32 v5, vcc, v13, v5, vcc
	global_store_dwordx2 v[4:5], v[2:3], off offset:64
.LBB44_97:
	s_or_b64 exec, exec, s[16:17]
	s_movk_i32 s16, 0x400
	v_cmp_gt_u32_e32 vcc, s16, v6
	s_and_b64 exec, exec, vcc
	s_cbranch_execz .LBB44_113
; %bb.98:
	s_and_saveexec_b64 s[16:17], s[0:1]
	s_cbranch_execz .LBB44_100
; %bb.99:
	v_add_u32_e32 v0, v8, v7
	v_lshl_add_u32 v2, v0, 3, 0
	ds_read_b64 v[0:1], v2 offset:128
	ds_read_b64 v[2:3], v2 offset:4352
.LBB44_100:
	s_or_b64 exec, exec, s[16:17]
	s_waitcnt lgkmcnt(1)
	ds_bpermute_b32 v4, v9, v0
	ds_bpermute_b32 v5, v9, v1
	s_waitcnt lgkmcnt(2)
	ds_bpermute_b32 v13, v9, v2
	ds_bpermute_b32 v14, v9, v3
	s_waitcnt lgkmcnt(2)
	v_add_f64 v[0:1], v[0:1], v[4:5]
	s_waitcnt lgkmcnt(0)
	v_add_f64 v[2:3], v[2:3], v[13:14]
	ds_bpermute_b32 v4, v10, v0
	ds_bpermute_b32 v5, v10, v1
	ds_bpermute_b32 v13, v10, v2
	ds_bpermute_b32 v14, v10, v3
	s_waitcnt lgkmcnt(2)
	v_add_f64 v[0:1], v[0:1], v[4:5]
	s_waitcnt lgkmcnt(0)
	v_add_f64 v[2:3], v[2:3], v[13:14]
	ds_bpermute_b32 v4, v11, v0
	ds_bpermute_b32 v5, v11, v1
	;; [unrolled: 8-line block ×3, first 2 shown]
	ds_bpermute_b32 v13, v12, v2
	ds_bpermute_b32 v14, v12, v3
	s_waitcnt lgkmcnt(2)
	v_add_f64 v[0:1], v[0:1], v[4:5]
	v_add_u32_e32 v4, 16, v8
	s_waitcnt lgkmcnt(0)
	v_add_f64 v[2:3], v[2:3], v[13:14]
	v_or_b32_e32 v4, s4, v4
	v_mov_b32_e32 v5, s5
	v_cmp_gt_i64_e32 vcc, s[14:15], v[4:5]
	s_and_b64 s[18:19], s[2:3], vcc
	s_and_saveexec_b64 s[16:17], s[18:19]
	s_cbranch_execz .LBB44_105
; %bb.101:
	s_andn2_b64 vcc, exec, s[12:13]
	s_cbranch_vccnz .LBB44_103
; %bb.102:
	v_mov_b32_e32 v5, s5
	v_add_co_u32_e32 v4, vcc, s4, v8
	v_addc_co_u32_e32 v5, vcc, 0, v5, vcc
	v_lshlrev_b64 v[4:5], 3, v[4:5]
	v_mov_b32_e32 v13, s9
	v_add_co_u32_e32 v4, vcc, s8, v4
	v_addc_co_u32_e32 v5, vcc, v13, v5, vcc
	global_store_dwordx2 v[4:5], v[0:1], off offset:128
.LBB44_103:
	s_andn2_b64 vcc, exec, s[6:7]
	s_cbranch_vccnz .LBB44_105
; %bb.104:
	v_mov_b32_e32 v5, s5
	v_add_co_u32_e32 v4, vcc, s4, v8
	v_addc_co_u32_e32 v5, vcc, 0, v5, vcc
	v_lshlrev_b64 v[4:5], 3, v[4:5]
	v_mov_b32_e32 v13, s11
	v_add_co_u32_e32 v4, vcc, s10, v4
	v_addc_co_u32_e32 v5, vcc, v13, v5, vcc
	global_store_dwordx2 v[4:5], v[2:3], off offset:128
.LBB44_105:
	s_or_b64 exec, exec, s[16:17]
	s_movk_i32 s16, 0x200
	v_cmp_gt_u32_e32 vcc, s16, v6
	s_and_b64 exec, exec, vcc
	s_cbranch_execz .LBB44_113
; %bb.106:
	s_and_saveexec_b64 s[16:17], s[0:1]
	s_cbranch_execz .LBB44_108
; %bb.107:
	v_add_u32_e32 v0, v8, v7
	v_lshl_add_u32 v2, v0, 3, 0
	ds_read_b64 v[0:1], v2 offset:192
	ds_read_b64 v[2:3], v2 offset:4416
.LBB44_108:
	s_or_b64 exec, exec, s[16:17]
	s_waitcnt lgkmcnt(1)
	ds_bpermute_b32 v4, v9, v0
	ds_bpermute_b32 v5, v9, v1
	s_waitcnt lgkmcnt(2)
	ds_bpermute_b32 v6, v9, v2
	ds_bpermute_b32 v7, v9, v3
	v_add_u32_e32 v9, 24, v8
	v_or_b32_e32 v9, s4, v9
	s_waitcnt lgkmcnt(2)
	v_add_f64 v[0:1], v[0:1], v[4:5]
	s_waitcnt lgkmcnt(0)
	v_add_f64 v[2:3], v[2:3], v[6:7]
	ds_bpermute_b32 v4, v10, v0
	ds_bpermute_b32 v5, v10, v1
	;; [unrolled: 1-line block ×4, first 2 shown]
	v_mov_b32_e32 v10, s5
	v_cmp_gt_i64_e32 vcc, s[14:15], v[9:10]
	s_waitcnt lgkmcnt(2)
	v_add_f64 v[0:1], v[0:1], v[4:5]
	s_and_b64 s[0:1], s[2:3], vcc
	s_waitcnt lgkmcnt(0)
	v_add_f64 v[2:3], v[2:3], v[6:7]
	ds_bpermute_b32 v4, v11, v0
	ds_bpermute_b32 v5, v11, v1
	;; [unrolled: 1-line block ×4, first 2 shown]
	s_waitcnt lgkmcnt(2)
	v_add_f64 v[4:5], v[0:1], v[4:5]
	s_waitcnt lgkmcnt(0)
	v_add_f64 v[0:1], v[2:3], v[6:7]
	ds_bpermute_b32 v6, v12, v4
	ds_bpermute_b32 v7, v12, v5
	;; [unrolled: 1-line block ×4, first 2 shown]
	s_and_b64 exec, exec, s[0:1]
	s_cbranch_execz .LBB44_113
; %bb.109:
	s_andn2_b64 vcc, exec, s[12:13]
	s_cbranch_vccnz .LBB44_111
; %bb.110:
	s_waitcnt lgkmcnt(2)
	v_add_f64 v[4:5], v[4:5], v[6:7]
	v_mov_b32_e32 v7, s5
	v_add_co_u32_e32 v6, vcc, s4, v8
	v_addc_co_u32_e32 v7, vcc, 0, v7, vcc
	v_lshlrev_b64 v[6:7], 3, v[6:7]
	v_mov_b32_e32 v9, s9
	v_add_co_u32_e32 v6, vcc, s8, v6
	v_addc_co_u32_e32 v7, vcc, v9, v7, vcc
	global_store_dwordx2 v[6:7], v[4:5], off offset:192
.LBB44_111:
	s_andn2_b64 vcc, exec, s[6:7]
	s_cbranch_vccnz .LBB44_113
; %bb.112:
	s_waitcnt lgkmcnt(0)
	v_add_f64 v[0:1], v[0:1], v[2:3]
	v_mov_b32_e32 v3, s5
	v_add_co_u32_e32 v2, vcc, s4, v8
	v_addc_co_u32_e32 v3, vcc, 0, v3, vcc
	v_lshlrev_b64 v[2:3], 3, v[2:3]
	v_mov_b32_e32 v4, s11
	v_add_co_u32_e32 v2, vcc, s10, v2
	v_addc_co_u32_e32 v3, vcc, v4, v3, vcc
	global_store_dwordx2 v[2:3], v[0:1], off offset:192
.LBB44_113:
	s_endpgm
	.section	.rodata,"a",@progbits
	.p2align	6, 0x0
	.amdhsa_kernel _ZN2at6native12_GLOBAL__N_135GammaBetaBackwardCUDAKernelTemplateIddLj32ELj16ELj128ELb0ELb0ELb0EEEvllPKT_S5_PKT0_S8_PS3_S9_
		.amdhsa_group_segment_fixed_size 0
		.amdhsa_private_segment_fixed_size 0
		.amdhsa_kernarg_size 320
		.amdhsa_user_sgpr_count 6
		.amdhsa_user_sgpr_private_segment_buffer 1
		.amdhsa_user_sgpr_dispatch_ptr 0
		.amdhsa_user_sgpr_queue_ptr 0
		.amdhsa_user_sgpr_kernarg_segment_ptr 1
		.amdhsa_user_sgpr_dispatch_id 0
		.amdhsa_user_sgpr_flat_scratch_init 0
		.amdhsa_user_sgpr_private_segment_size 0
		.amdhsa_uses_dynamic_stack 0
		.amdhsa_system_sgpr_private_segment_wavefront_offset 0
		.amdhsa_system_sgpr_workgroup_id_x 1
		.amdhsa_system_sgpr_workgroup_id_y 1
		.amdhsa_system_sgpr_workgroup_id_z 0
		.amdhsa_system_sgpr_workgroup_info 0
		.amdhsa_system_vgpr_workitem_id 1
		.amdhsa_next_free_vgpr 115
		.amdhsa_next_free_sgpr 36
		.amdhsa_reserve_vcc 1
		.amdhsa_reserve_flat_scratch 0
		.amdhsa_float_round_mode_32 0
		.amdhsa_float_round_mode_16_64 0
		.amdhsa_float_denorm_mode_32 3
		.amdhsa_float_denorm_mode_16_64 3
		.amdhsa_dx10_clamp 1
		.amdhsa_ieee_mode 1
		.amdhsa_fp16_overflow 0
		.amdhsa_exception_fp_ieee_invalid_op 0
		.amdhsa_exception_fp_denorm_src 0
		.amdhsa_exception_fp_ieee_div_zero 0
		.amdhsa_exception_fp_ieee_overflow 0
		.amdhsa_exception_fp_ieee_underflow 0
		.amdhsa_exception_fp_ieee_inexact 0
		.amdhsa_exception_int_div_zero 0
	.end_amdhsa_kernel
	.section	.text._ZN2at6native12_GLOBAL__N_135GammaBetaBackwardCUDAKernelTemplateIddLj32ELj16ELj128ELb0ELb0ELb0EEEvllPKT_S5_PKT0_S8_PS3_S9_,"axG",@progbits,_ZN2at6native12_GLOBAL__N_135GammaBetaBackwardCUDAKernelTemplateIddLj32ELj16ELj128ELb0ELb0ELb0EEEvllPKT_S5_PKT0_S8_PS3_S9_,comdat
.Lfunc_end44:
	.size	_ZN2at6native12_GLOBAL__N_135GammaBetaBackwardCUDAKernelTemplateIddLj32ELj16ELj128ELb0ELb0ELb0EEEvllPKT_S5_PKT0_S8_PS3_S9_, .Lfunc_end44-_ZN2at6native12_GLOBAL__N_135GammaBetaBackwardCUDAKernelTemplateIddLj32ELj16ELj128ELb0ELb0ELb0EEEvllPKT_S5_PKT0_S8_PS3_S9_
                                        ; -- End function
	.set _ZN2at6native12_GLOBAL__N_135GammaBetaBackwardCUDAKernelTemplateIddLj32ELj16ELj128ELb0ELb0ELb0EEEvllPKT_S5_PKT0_S8_PS3_S9_.num_vgpr, 115
	.set _ZN2at6native12_GLOBAL__N_135GammaBetaBackwardCUDAKernelTemplateIddLj32ELj16ELj128ELb0ELb0ELb0EEEvllPKT_S5_PKT0_S8_PS3_S9_.num_agpr, 0
	.set _ZN2at6native12_GLOBAL__N_135GammaBetaBackwardCUDAKernelTemplateIddLj32ELj16ELj128ELb0ELb0ELb0EEEvllPKT_S5_PKT0_S8_PS3_S9_.numbered_sgpr, 36
	.set _ZN2at6native12_GLOBAL__N_135GammaBetaBackwardCUDAKernelTemplateIddLj32ELj16ELj128ELb0ELb0ELb0EEEvllPKT_S5_PKT0_S8_PS3_S9_.num_named_barrier, 0
	.set _ZN2at6native12_GLOBAL__N_135GammaBetaBackwardCUDAKernelTemplateIddLj32ELj16ELj128ELb0ELb0ELb0EEEvllPKT_S5_PKT0_S8_PS3_S9_.private_seg_size, 0
	.set _ZN2at6native12_GLOBAL__N_135GammaBetaBackwardCUDAKernelTemplateIddLj32ELj16ELj128ELb0ELb0ELb0EEEvllPKT_S5_PKT0_S8_PS3_S9_.uses_vcc, 1
	.set _ZN2at6native12_GLOBAL__N_135GammaBetaBackwardCUDAKernelTemplateIddLj32ELj16ELj128ELb0ELb0ELb0EEEvllPKT_S5_PKT0_S8_PS3_S9_.uses_flat_scratch, 0
	.set _ZN2at6native12_GLOBAL__N_135GammaBetaBackwardCUDAKernelTemplateIddLj32ELj16ELj128ELb0ELb0ELb0EEEvllPKT_S5_PKT0_S8_PS3_S9_.has_dyn_sized_stack, 0
	.set _ZN2at6native12_GLOBAL__N_135GammaBetaBackwardCUDAKernelTemplateIddLj32ELj16ELj128ELb0ELb0ELb0EEEvllPKT_S5_PKT0_S8_PS3_S9_.has_recursion, 0
	.set _ZN2at6native12_GLOBAL__N_135GammaBetaBackwardCUDAKernelTemplateIddLj32ELj16ELj128ELb0ELb0ELb0EEEvllPKT_S5_PKT0_S8_PS3_S9_.has_indirect_call, 0
	.section	.AMDGPU.csdata,"",@progbits
; Kernel info:
; codeLenInByte = 9716
; TotalNumSgprs: 40
; NumVgprs: 115
; ScratchSize: 0
; MemoryBound: 0
; FloatMode: 240
; IeeeMode: 1
; LDSByteSize: 0 bytes/workgroup (compile time only)
; SGPRBlocks: 4
; VGPRBlocks: 28
; NumSGPRsForWavesPerEU: 40
; NumVGPRsForWavesPerEU: 115
; Occupancy: 2
; WaveLimiterHint : 0
; COMPUTE_PGM_RSRC2:SCRATCH_EN: 0
; COMPUTE_PGM_RSRC2:USER_SGPR: 6
; COMPUTE_PGM_RSRC2:TRAP_HANDLER: 0
; COMPUTE_PGM_RSRC2:TGID_X_EN: 1
; COMPUTE_PGM_RSRC2:TGID_Y_EN: 1
; COMPUTE_PGM_RSRC2:TGID_Z_EN: 0
; COMPUTE_PGM_RSRC2:TIDIG_COMP_CNT: 1
	.section	.text._ZN2at6native12_GLOBAL__N_135GammaBetaBackwardCUDAKernelTemplateIddLj32ELj32ELj256ELb0ELb1ELb0EEEvllPKT_S5_PKT0_S8_PS3_S9_,"axG",@progbits,_ZN2at6native12_GLOBAL__N_135GammaBetaBackwardCUDAKernelTemplateIddLj32ELj32ELj256ELb0ELb1ELb0EEEvllPKT_S5_PKT0_S8_PS3_S9_,comdat
	.globl	_ZN2at6native12_GLOBAL__N_135GammaBetaBackwardCUDAKernelTemplateIddLj32ELj32ELj256ELb0ELb1ELb0EEEvllPKT_S5_PKT0_S8_PS3_S9_ ; -- Begin function _ZN2at6native12_GLOBAL__N_135GammaBetaBackwardCUDAKernelTemplateIddLj32ELj32ELj256ELb0ELb1ELb0EEEvllPKT_S5_PKT0_S8_PS3_S9_
	.p2align	8
	.type	_ZN2at6native12_GLOBAL__N_135GammaBetaBackwardCUDAKernelTemplateIddLj32ELj32ELj256ELb0ELb1ELb0EEEvllPKT_S5_PKT0_S8_PS3_S9_,@function
_ZN2at6native12_GLOBAL__N_135GammaBetaBackwardCUDAKernelTemplateIddLj32ELj32ELj256ELb0ELb1ELb0EEEvllPKT_S5_PKT0_S8_PS3_S9_: ; @_ZN2at6native12_GLOBAL__N_135GammaBetaBackwardCUDAKernelTemplateIddLj32ELj32ELj256ELb0ELb1ELb0EEEvllPKT_S5_PKT0_S8_PS3_S9_
; %bb.0:
	s_load_dwordx4 s[20:23], s[4:5], 0x0
	s_lshl_b32 s24, s7, 8
	s_mov_b32 s25, 0
	v_mov_b32_e32 v2, s24
	v_mov_b32_e32 v3, s25
	s_waitcnt lgkmcnt(0)
	v_cmp_gt_i64_e32 vcc, s[20:21], v[2:3]
	s_cbranch_vccnz .LBB45_2
; %bb.1:
	s_mov_b64 s[0:1], 0
	s_branch .LBB45_3
.LBB45_2:
	s_mov_b64 s[0:1], -1
.LBB45_3:
	s_load_dwordx4 s[16:19], s[4:5], 0x30
	v_mov_b32_e32 v8, 0
	v_mov_b32_e32 v12, 0
	v_mov_b32_e32 v9, 0
	s_andn2_b64 vcc, exec, s[0:1]
	v_mov_b32_e32 v13, 0
	v_mbcnt_lo_u32_b32 v24, -1, 0
	s_cbranch_vccnz .LBB45_10
; %bb.4:
	s_load_dword s0, s[4:5], 0x4c
	s_load_dword s2, s[4:5], 0x44
	s_load_dwordx8 s[8:15], s[4:5], 0x10
	v_lshlrev_b32_e32 v2, 3, v1
	v_mbcnt_hi_u32_b32 v4, -1, v24
	v_lshlrev_b32_e32 v4, 2, v4
	v_add_co_u32_e32 v2, vcc, s24, v2
	v_and_b32_e32 v25, 0x100, v4
	s_waitcnt lgkmcnt(0)
	s_lshl_b32 s4, s2, 8
	v_addc_co_u32_e64 v4, s[2:3], 0, 0, vcc
	v_mul_lo_u32 v10, s23, v2
	v_mul_lo_u32 v11, s22, v4
	v_mad_u64_u32 v[8:9], s[2:3], s22, v2, 0
	s_and_b32 s0, s0, 0xffff
	v_mad_u32_u24 v3, v1, s0, v0
	v_and_b32_e32 v3, 63, v3
	v_mov_b32_e32 v7, 0
	v_lshl_add_u32 v6, s6, 5, v0
	v_add3_u32 v9, v9, v11, v10
	v_add_co_u32_e32 v2, vcc, v2, v3
	v_lshlrev_b64 v[8:9], 3, v[8:9]
	v_lshlrev_b64 v[6:7], 3, v[6:7]
	v_cmp_gt_u32_e64 s[0:1], 8, v3
	v_addc_co_u32_e32 v3, vcc, 0, v4, vcc
	v_add_co_u32_e32 v32, vcc, v8, v6
	s_mul_i32 s2, s23, s4
	s_mul_hi_u32 s3, s22, s4
	s_mov_b32 s5, 0
	v_lshlrev_b64 v[4:5], 3, v[2:3]
	v_addc_co_u32_e32 v33, vcc, v9, v7, vcc
	s_add_i32 s3, s3, s2
	s_mul_i32 s2, s22, s4
	v_mov_b32_e32 v12, 0
	v_mov_b32_e32 v8, 0
	v_or_b32_e32 v26, 4, v25
	v_or_b32_e32 v27, 8, v25
	v_or_b32_e32 v28, 12, v25
	v_or_b32_e32 v29, 16, v25
	v_or_b32_e32 v30, 20, v25
	v_or_b32_e32 v31, 24, v25
	s_lshl_b64 s[26:27], s[4:5], 3
	s_lshl_b64 s[28:29], s[2:3], 3
	s_lshl_b64 s[22:23], s[22:23], 3
	v_mov_b32_e32 v13, 0
	v_mov_b32_e32 v9, 0
	v_or_b32_e32 v34, 28, v25
	s_branch .LBB45_7
.LBB45_5:                               ;   in Loop: Header=BB45_7 Depth=1
	s_or_b64 exec, exec, s[30:31]
.LBB45_6:                               ;   in Loop: Header=BB45_7 Depth=1
	s_or_b64 exec, exec, s[2:3]
	v_mov_b32_e32 v15, s11
	v_add_co_u32_e32 v14, vcc, s10, v32
	v_addc_co_u32_e32 v15, vcc, v15, v33, vcc
	global_load_dwordx2 v[16:17], v[14:15], off
	v_mov_b32_e32 v19, s9
	v_add_co_u32_e32 v18, vcc, s8, v32
	v_mov_b32_e32 v35, s23
	v_add_co_u32_e64 v20, s[2:3], s22, v14
	v_addc_co_u32_e64 v21, s[2:3], v15, v35, s[2:3]
	v_addc_co_u32_e32 v19, vcc, v19, v33, vcc
	global_load_dwordx2 v[36:37], v[20:21], off
	global_load_dwordx2 v[22:23], v[18:19], off
	v_add_co_u32_e32 v18, vcc, s22, v18
	v_addc_co_u32_e32 v19, vcc, v19, v35, vcc
	global_load_dwordx2 v[14:15], v[18:19], off
	s_waitcnt vmcnt(5)
	ds_bpermute_b32 v38, v25, v10
	ds_bpermute_b32 v39, v25, v11
	v_add_co_u32_e32 v18, vcc, s22, v18
	v_addc_co_u32_e32 v19, vcc, v19, v35, vcc
	v_add_co_u32_e32 v20, vcc, s22, v20
	v_addc_co_u32_e32 v21, vcc, v21, v35, vcc
	s_waitcnt vmcnt(4)
	ds_bpermute_b32 v40, v28, v6
	ds_bpermute_b32 v41, v28, v7
	;; [unrolled: 1-line block ×4, first 2 shown]
	s_add_u32 s24, s24, s4
	s_addc_u32 s25, s25, 0
	v_add_co_u32_e64 v32, s[2:3], s28, v32
	s_waitcnt vmcnt(3) lgkmcnt(4)
	v_add_f64 v[16:17], v[16:17], -v[38:39]
	ds_bpermute_b32 v38, v26, v10
	ds_bpermute_b32 v39, v26, v11
	s_waitcnt vmcnt(2) lgkmcnt(0)
	v_add_f64 v[36:37], v[36:37], -v[38:39]
	s_waitcnt vmcnt(1)
	v_mul_f64 v[16:17], v[22:23], v[16:17]
	ds_bpermute_b32 v38, v25, v6
	ds_bpermute_b32 v39, v25, v7
	v_add_f64 v[8:9], v[8:9], v[22:23]
	s_waitcnt vmcnt(0)
	v_mul_f64 v[36:37], v[14:15], v[36:37]
	s_waitcnt lgkmcnt(0)
	v_fma_f64 v[12:13], v[16:17], v[38:39], v[12:13]
	global_load_dwordx2 v[16:17], v[20:21], off
	ds_bpermute_b32 v38, v26, v6
	ds_bpermute_b32 v39, v26, v7
	v_add_f64 v[8:9], v[8:9], v[14:15]
	s_waitcnt lgkmcnt(0)
	v_fma_f64 v[36:37], v[36:37], v[38:39], v[12:13]
	global_load_dwordx2 v[12:13], v[18:19], off
	ds_bpermute_b32 v38, v27, v10
	ds_bpermute_b32 v39, v27, v11
	s_waitcnt vmcnt(1) lgkmcnt(0)
	v_add_f64 v[16:17], v[16:17], -v[38:39]
	v_add_co_u32_e32 v38, vcc, s22, v20
	v_addc_co_u32_e32 v39, vcc, v21, v35, vcc
	ds_bpermute_b32 v20, v27, v6
	ds_bpermute_b32 v21, v27, v7
	v_add_co_u32_e32 v18, vcc, s22, v18
	s_waitcnt vmcnt(0)
	v_mul_f64 v[16:17], v[12:13], v[16:17]
	v_addc_co_u32_e32 v19, vcc, v19, v35, vcc
	v_add_f64 v[8:9], v[8:9], v[12:13]
	s_waitcnt lgkmcnt(0)
	v_fma_f64 v[16:17], v[16:17], v[20:21], v[36:37]
	global_load_dwordx2 v[20:21], v[38:39], off
	ds_bpermute_b32 v36, v28, v10
	ds_bpermute_b32 v37, v28, v11
	s_waitcnt vmcnt(0) lgkmcnt(0)
	v_add_f64 v[36:37], v[20:21], -v[36:37]
	global_load_dwordx2 v[20:21], v[18:19], off
	s_waitcnt vmcnt(0)
	v_mul_f64 v[36:37], v[20:21], v[36:37]
	v_add_f64 v[8:9], v[8:9], v[20:21]
	v_fma_f64 v[16:17], v[36:37], v[40:41], v[16:17]
	v_add_co_u32_e32 v36, vcc, s22, v18
	v_addc_co_u32_e32 v37, vcc, v19, v35, vcc
	v_add_co_u32_e32 v38, vcc, s22, v38
	v_addc_co_u32_e32 v39, vcc, v39, v35, vcc
	global_load_dwordx2 v[40:41], v[38:39], off
	ds_bpermute_b32 v18, v29, v10
	ds_bpermute_b32 v19, v29, v11
	v_add_co_u32_e32 v22, vcc, s22, v36
	v_addc_co_u32_e32 v23, vcc, v37, v35, vcc
	s_waitcnt vmcnt(0) lgkmcnt(0)
	v_add_f64 v[40:41], v[40:41], -v[18:19]
	global_load_dwordx2 v[18:19], v[36:37], off
	v_add_co_u32_e32 v36, vcc, s22, v38
	v_addc_co_u32_e32 v37, vcc, v39, v35, vcc
	v_add_co_u32_e32 v14, vcc, s22, v36
	v_addc_co_u32_e32 v15, vcc, v37, v35, vcc
	global_load_dwordx2 v[36:37], v[36:37], off
	v_add_co_u32_e32 v12, vcc, s22, v14
	v_addc_co_u32_e32 v13, vcc, v15, v35, vcc
	v_add_co_u32_e32 v38, vcc, s22, v22
	global_load_dwordx2 v[14:15], v[14:15], off
	v_addc_co_u32_e32 v39, vcc, v23, v35, vcc
	global_load_dwordx2 v[22:23], v[22:23], off
	v_add_co_u32_e32 v20, vcc, s22, v38
	v_addc_co_u32_e32 v21, vcc, v39, v35, vcc
	global_load_dwordx2 v[12:13], v[12:13], off
	s_nop 0
	global_load_dwordx2 v[38:39], v[38:39], off
	s_nop 0
	global_load_dwordx2 v[20:21], v[20:21], off
	ds_bpermute_b32 v35, v30, v6
	v_add_co_u32_e32 v4, vcc, s26, v4
	s_waitcnt vmcnt(6)
	v_mul_f64 v[40:41], v[18:19], v[40:41]
	v_add_f64 v[8:9], v[8:9], v[18:19]
	v_fma_f64 v[16:17], v[40:41], v[42:43], v[16:17]
	ds_bpermute_b32 v40, v30, v10
	ds_bpermute_b32 v41, v30, v11
	;; [unrolled: 1-line block ×6, first 2 shown]
	s_waitcnt vmcnt(5) lgkmcnt(4)
	v_add_f64 v[36:37], v[36:37], -v[40:41]
	s_waitcnt vmcnt(4) lgkmcnt(2)
	v_add_f64 v[14:15], v[14:15], -v[42:43]
	s_waitcnt vmcnt(3)
	v_add_f64 v[8:9], v[8:9], v[22:23]
	s_waitcnt vmcnt(2) lgkmcnt(0)
	v_add_f64 v[10:11], v[12:13], -v[10:11]
	v_mul_f64 v[18:19], v[22:23], v[36:37]
	ds_bpermute_b32 v36, v30, v7
	s_waitcnt vmcnt(1)
	v_mul_f64 v[12:13], v[38:39], v[14:15]
	v_add_f64 v[8:9], v[8:9], v[38:39]
	s_waitcnt vmcnt(0)
	v_mul_f64 v[10:11], v[20:21], v[10:11]
	s_waitcnt lgkmcnt(0)
	v_fma_f64 v[14:15], v[18:19], v[35:36], v[16:17]
	ds_bpermute_b32 v16, v31, v6
	ds_bpermute_b32 v17, v31, v7
	;; [unrolled: 1-line block ×4, first 2 shown]
	v_add_f64 v[8:9], v[8:9], v[20:21]
	v_mov_b32_e32 v18, s27
	v_addc_co_u32_e32 v5, vcc, v5, v18, vcc
	s_waitcnt lgkmcnt(2)
	v_fma_f64 v[12:13], v[12:13], v[16:17], v[14:15]
	v_add_co_u32_e32 v2, vcc, s4, v2
	v_addc_co_u32_e32 v3, vcc, 0, v3, vcc
	s_waitcnt lgkmcnt(0)
	v_fma_f64 v[12:13], v[10:11], v[6:7], v[12:13]
	v_mov_b32_e32 v6, s20
	v_mov_b32_e32 v7, s21
	v_cmp_lt_i64_e32 vcc, s[24:25], v[6:7]
	v_mov_b32_e32 v10, s29
	v_addc_co_u32_e64 v33, s[2:3], v33, v10, s[2:3]
	s_cbranch_vccz .LBB45_10
.LBB45_7:                               ; =>This Inner Loop Header: Depth=1
	v_mov_b32_e32 v6, 0
	v_mov_b32_e32 v10, 0
	v_mov_b32_e32 v7, 0
	v_mov_b32_e32 v11, 0
	s_and_saveexec_b64 s[2:3], s[0:1]
	s_cbranch_execz .LBB45_6
; %bb.8:                                ;   in Loop: Header=BB45_7 Depth=1
	v_cmp_gt_i64_e32 vcc, s[20:21], v[2:3]
	v_mov_b32_e32 v10, 0
	v_mov_b32_e32 v6, 0
	;; [unrolled: 1-line block ×4, first 2 shown]
	s_and_saveexec_b64 s[30:31], vcc
	s_cbranch_execz .LBB45_5
; %bb.9:                                ;   in Loop: Header=BB45_7 Depth=1
	v_mov_b32_e32 v6, s15
	v_add_co_u32_e32 v14, vcc, s14, v4
	v_addc_co_u32_e32 v15, vcc, v6, v5, vcc
	v_mov_b32_e32 v6, s13
	v_add_co_u32_e32 v16, vcc, s12, v4
	v_addc_co_u32_e32 v17, vcc, v6, v5, vcc
	global_load_dwordx2 v[10:11], v[16:17], off
	global_load_dwordx2 v[6:7], v[14:15], off
	s_branch .LBB45_5
.LBB45_10:
	v_mad_u32_u24 v2, v1, 33, v0
	v_lshl_add_u32 v3, v2, 3, 0
	ds_write_b64 v3, v[12:13]
	ds_write_b64 v3, v[8:9] offset:8448
	v_sub_u32_e32 v9, v2, v1
	s_movk_i32 s0, 0x800
	v_cmp_gt_u32_e32 vcc, s0, v9
	s_waitcnt lgkmcnt(0)
	s_barrier
	s_and_saveexec_b64 s[0:1], vcc
	s_cbranch_execz .LBB45_26
; %bb.11:
	v_and_b32_e32 v1, 63, v9
	v_lshrrev_b32_e32 v8, 6, v9
	v_cmp_gt_u32_e64 s[0:1], 32, v1
	v_mul_u32_u24_e32 v7, 33, v1
                                        ; implicit-def: $vgpr1_vgpr2
                                        ; implicit-def: $vgpr3_vgpr4
	s_and_saveexec_b64 s[2:3], s[0:1]
	s_cbranch_execz .LBB45_13
; %bb.12:
	v_add_u32_e32 v1, v8, v7
	v_lshl_add_u32 v1, v1, 3, 0
	ds_read_b64 v[3:4], v1
	ds_read_b64 v[1:2], v1 offset:8448
.LBB45_13:
	s_or_b64 exec, exec, s[2:3]
	v_mbcnt_hi_u32_b32 v16, -1, v24
	v_and_b32_e32 v5, 64, v16
	v_add_u32_e32 v17, 64, v5
	v_xor_b32_e32 v5, 16, v16
	v_cmp_lt_i32_e32 vcc, v5, v17
	v_cndmask_b32_e32 v5, v16, v5, vcc
	v_lshlrev_b32_e32 v10, 2, v5
	s_waitcnt lgkmcnt(1)
	ds_bpermute_b32 v5, v10, v3
	ds_bpermute_b32 v6, v10, v4
	s_waitcnt lgkmcnt(2)
	ds_bpermute_b32 v11, v10, v1
	ds_bpermute_b32 v12, v10, v2
	s_mov_b32 s7, 0
	s_lshl_b64 s[4:5], s[6:7], 5
	s_waitcnt lgkmcnt(2)
	v_add_f64 v[3:4], v[3:4], v[5:6]
	v_xor_b32_e32 v5, 8, v16
	s_waitcnt lgkmcnt(0)
	v_add_f64 v[1:2], v[1:2], v[11:12]
	v_cmp_lt_i32_e32 vcc, v5, v17
	v_cndmask_b32_e32 v5, v16, v5, vcc
	v_lshlrev_b32_e32 v11, 2, v5
	s_cmp_lg_u64 s[16:17], 0
	s_cselect_b64 s[8:9], -1, 0
	ds_bpermute_b32 v5, v11, v3
	ds_bpermute_b32 v6, v11, v4
	;; [unrolled: 1-line block ×4, first 2 shown]
	s_cmp_lg_u64 s[18:19], 0
	v_cmp_eq_u32_e64 s[2:3], 0, v0
	s_waitcnt lgkmcnt(2)
	v_add_f64 v[3:4], v[3:4], v[5:6]
	v_xor_b32_e32 v5, 4, v16
	s_waitcnt lgkmcnt(0)
	v_add_f64 v[1:2], v[1:2], v[12:13]
	v_cmp_lt_i32_e32 vcc, v5, v17
	v_cndmask_b32_e32 v5, v16, v5, vcc
	v_lshlrev_b32_e32 v12, 2, v5
	s_cselect_b64 s[6:7], -1, 0
	ds_bpermute_b32 v5, v12, v3
	ds_bpermute_b32 v6, v12, v4
	;; [unrolled: 1-line block ×4, first 2 shown]
	s_waitcnt lgkmcnt(2)
	v_add_f64 v[3:4], v[3:4], v[5:6]
	v_xor_b32_e32 v5, 2, v16
	s_waitcnt lgkmcnt(0)
	v_add_f64 v[1:2], v[1:2], v[13:14]
	v_cmp_lt_i32_e32 vcc, v5, v17
	v_cndmask_b32_e32 v5, v16, v5, vcc
	v_lshlrev_b32_e32 v13, 2, v5
	ds_bpermute_b32 v5, v13, v3
	ds_bpermute_b32 v6, v13, v4
	;; [unrolled: 1-line block ×4, first 2 shown]
	s_waitcnt lgkmcnt(2)
	v_add_f64 v[3:4], v[3:4], v[5:6]
	s_waitcnt lgkmcnt(0)
	v_add_f64 v[5:6], v[1:2], v[14:15]
	v_xor_b32_e32 v1, 1, v16
	v_cmp_lt_i32_e32 vcc, v1, v17
	v_cndmask_b32_e32 v1, v16, v1, vcc
	v_lshlrev_b32_e32 v14, 2, v1
	ds_bpermute_b32 v1, v14, v3
	ds_bpermute_b32 v2, v14, v4
	;; [unrolled: 1-line block ×4, first 2 shown]
	s_waitcnt lgkmcnt(2)
	v_add_f64 v[1:2], v[3:4], v[1:2]
	s_waitcnt lgkmcnt(0)
	v_add_f64 v[3:4], v[5:6], v[15:16]
	s_and_saveexec_b64 s[10:11], s[2:3]
	s_cbranch_execz .LBB45_18
; %bb.14:
	v_mov_b32_e32 v6, s5
	v_or_b32_e32 v5, s4, v8
	v_lshlrev_b64 v[5:6], 3, v[5:6]
	s_andn2_b64 vcc, exec, s[8:9]
	s_cbranch_vccnz .LBB45_16
; %bb.15:
	v_mov_b32_e32 v0, s17
	v_add_co_u32_e32 v15, vcc, s16, v5
	v_addc_co_u32_e32 v16, vcc, v0, v6, vcc
	global_store_dwordx2 v[15:16], v[1:2], off
.LBB45_16:
	s_andn2_b64 vcc, exec, s[6:7]
	s_cbranch_vccnz .LBB45_18
; %bb.17:
	v_mov_b32_e32 v0, s19
	v_add_co_u32_e32 v5, vcc, s18, v5
	v_addc_co_u32_e32 v6, vcc, v0, v6, vcc
	global_store_dwordx2 v[5:6], v[3:4], off
.LBB45_18:
	s_or_b64 exec, exec, s[10:11]
	s_movk_i32 s10, 0x400
	v_cmp_gt_u32_e32 vcc, s10, v9
	s_and_b64 exec, exec, vcc
	s_cbranch_execz .LBB45_26
; %bb.19:
	s_and_saveexec_b64 s[10:11], s[0:1]
	s_cbranch_execz .LBB45_21
; %bb.20:
	v_add_u32_e32 v0, v8, v7
	v_lshl_add_u32 v0, v0, 3, 0
	ds_read_b64 v[1:2], v0 offset:128
	ds_read_b64 v[3:4], v0 offset:8576
.LBB45_21:
	s_or_b64 exec, exec, s[10:11]
	s_waitcnt lgkmcnt(1)
	ds_bpermute_b32 v5, v10, v1
	ds_bpermute_b32 v6, v10, v2
	s_waitcnt lgkmcnt(2)
	ds_bpermute_b32 v9, v10, v3
	ds_bpermute_b32 v10, v10, v4
	s_waitcnt lgkmcnt(2)
	v_add_f64 v[0:1], v[1:2], v[5:6]
	s_waitcnt lgkmcnt(0)
	v_add_f64 v[2:3], v[3:4], v[9:10]
	ds_bpermute_b32 v4, v11, v0
	ds_bpermute_b32 v5, v11, v1
	ds_bpermute_b32 v6, v11, v2
	ds_bpermute_b32 v7, v11, v3
	s_waitcnt lgkmcnt(2)
	v_add_f64 v[0:1], v[0:1], v[4:5]
	s_waitcnt lgkmcnt(0)
	v_add_f64 v[2:3], v[2:3], v[6:7]
	ds_bpermute_b32 v4, v12, v0
	ds_bpermute_b32 v5, v12, v1
	;; [unrolled: 8-line block ×4, first 2 shown]
	ds_bpermute_b32 v2, v14, v0
	ds_bpermute_b32 v3, v14, v1
	s_and_b64 exec, exec, s[2:3]
	s_cbranch_execz .LBB45_26
; %bb.22:
	s_andn2_b64 vcc, exec, s[8:9]
	s_cbranch_vccnz .LBB45_24
; %bb.23:
	s_waitcnt lgkmcnt(2)
	v_add_f64 v[4:5], v[4:5], v[6:7]
	v_mov_b32_e32 v7, s5
	v_add_co_u32_e32 v6, vcc, s4, v8
	v_addc_co_u32_e32 v7, vcc, 0, v7, vcc
	v_lshlrev_b64 v[6:7], 3, v[6:7]
	v_mov_b32_e32 v9, s17
	v_add_co_u32_e32 v6, vcc, s16, v6
	v_addc_co_u32_e32 v7, vcc, v9, v7, vcc
	global_store_dwordx2 v[6:7], v[4:5], off offset:128
.LBB45_24:
	s_andn2_b64 vcc, exec, s[6:7]
	s_cbranch_vccnz .LBB45_26
; %bb.25:
	s_waitcnt lgkmcnt(0)
	v_add_f64 v[0:1], v[0:1], v[2:3]
	v_mov_b32_e32 v3, s5
	v_add_co_u32_e32 v2, vcc, s4, v8
	v_addc_co_u32_e32 v3, vcc, 0, v3, vcc
	v_lshlrev_b64 v[2:3], 3, v[2:3]
	v_mov_b32_e32 v4, s19
	v_add_co_u32_e32 v2, vcc, s18, v2
	v_addc_co_u32_e32 v3, vcc, v4, v3, vcc
	global_store_dwordx2 v[2:3], v[0:1], off offset:128
.LBB45_26:
	s_endpgm
	.section	.rodata,"a",@progbits
	.p2align	6, 0x0
	.amdhsa_kernel _ZN2at6native12_GLOBAL__N_135GammaBetaBackwardCUDAKernelTemplateIddLj32ELj32ELj256ELb0ELb1ELb0EEEvllPKT_S5_PKT0_S8_PS3_S9_
		.amdhsa_group_segment_fixed_size 0
		.amdhsa_private_segment_fixed_size 0
		.amdhsa_kernarg_size 320
		.amdhsa_user_sgpr_count 6
		.amdhsa_user_sgpr_private_segment_buffer 1
		.amdhsa_user_sgpr_dispatch_ptr 0
		.amdhsa_user_sgpr_queue_ptr 0
		.amdhsa_user_sgpr_kernarg_segment_ptr 1
		.amdhsa_user_sgpr_dispatch_id 0
		.amdhsa_user_sgpr_flat_scratch_init 0
		.amdhsa_user_sgpr_private_segment_size 0
		.amdhsa_uses_dynamic_stack 0
		.amdhsa_system_sgpr_private_segment_wavefront_offset 0
		.amdhsa_system_sgpr_workgroup_id_x 1
		.amdhsa_system_sgpr_workgroup_id_y 1
		.amdhsa_system_sgpr_workgroup_id_z 0
		.amdhsa_system_sgpr_workgroup_info 0
		.amdhsa_system_vgpr_workitem_id 1
		.amdhsa_next_free_vgpr 44
		.amdhsa_next_free_sgpr 32
		.amdhsa_reserve_vcc 1
		.amdhsa_reserve_flat_scratch 0
		.amdhsa_float_round_mode_32 0
		.amdhsa_float_round_mode_16_64 0
		.amdhsa_float_denorm_mode_32 3
		.amdhsa_float_denorm_mode_16_64 3
		.amdhsa_dx10_clamp 1
		.amdhsa_ieee_mode 1
		.amdhsa_fp16_overflow 0
		.amdhsa_exception_fp_ieee_invalid_op 0
		.amdhsa_exception_fp_denorm_src 0
		.amdhsa_exception_fp_ieee_div_zero 0
		.amdhsa_exception_fp_ieee_overflow 0
		.amdhsa_exception_fp_ieee_underflow 0
		.amdhsa_exception_fp_ieee_inexact 0
		.amdhsa_exception_int_div_zero 0
	.end_amdhsa_kernel
	.section	.text._ZN2at6native12_GLOBAL__N_135GammaBetaBackwardCUDAKernelTemplateIddLj32ELj32ELj256ELb0ELb1ELb0EEEvllPKT_S5_PKT0_S8_PS3_S9_,"axG",@progbits,_ZN2at6native12_GLOBAL__N_135GammaBetaBackwardCUDAKernelTemplateIddLj32ELj32ELj256ELb0ELb1ELb0EEEvllPKT_S5_PKT0_S8_PS3_S9_,comdat
.Lfunc_end45:
	.size	_ZN2at6native12_GLOBAL__N_135GammaBetaBackwardCUDAKernelTemplateIddLj32ELj32ELj256ELb0ELb1ELb0EEEvllPKT_S5_PKT0_S8_PS3_S9_, .Lfunc_end45-_ZN2at6native12_GLOBAL__N_135GammaBetaBackwardCUDAKernelTemplateIddLj32ELj32ELj256ELb0ELb1ELb0EEEvllPKT_S5_PKT0_S8_PS3_S9_
                                        ; -- End function
	.set _ZN2at6native12_GLOBAL__N_135GammaBetaBackwardCUDAKernelTemplateIddLj32ELj32ELj256ELb0ELb1ELb0EEEvllPKT_S5_PKT0_S8_PS3_S9_.num_vgpr, 44
	.set _ZN2at6native12_GLOBAL__N_135GammaBetaBackwardCUDAKernelTemplateIddLj32ELj32ELj256ELb0ELb1ELb0EEEvllPKT_S5_PKT0_S8_PS3_S9_.num_agpr, 0
	.set _ZN2at6native12_GLOBAL__N_135GammaBetaBackwardCUDAKernelTemplateIddLj32ELj32ELj256ELb0ELb1ELb0EEEvllPKT_S5_PKT0_S8_PS3_S9_.numbered_sgpr, 32
	.set _ZN2at6native12_GLOBAL__N_135GammaBetaBackwardCUDAKernelTemplateIddLj32ELj32ELj256ELb0ELb1ELb0EEEvllPKT_S5_PKT0_S8_PS3_S9_.num_named_barrier, 0
	.set _ZN2at6native12_GLOBAL__N_135GammaBetaBackwardCUDAKernelTemplateIddLj32ELj32ELj256ELb0ELb1ELb0EEEvllPKT_S5_PKT0_S8_PS3_S9_.private_seg_size, 0
	.set _ZN2at6native12_GLOBAL__N_135GammaBetaBackwardCUDAKernelTemplateIddLj32ELj32ELj256ELb0ELb1ELb0EEEvllPKT_S5_PKT0_S8_PS3_S9_.uses_vcc, 1
	.set _ZN2at6native12_GLOBAL__N_135GammaBetaBackwardCUDAKernelTemplateIddLj32ELj32ELj256ELb0ELb1ELb0EEEvllPKT_S5_PKT0_S8_PS3_S9_.uses_flat_scratch, 0
	.set _ZN2at6native12_GLOBAL__N_135GammaBetaBackwardCUDAKernelTemplateIddLj32ELj32ELj256ELb0ELb1ELb0EEEvllPKT_S5_PKT0_S8_PS3_S9_.has_dyn_sized_stack, 0
	.set _ZN2at6native12_GLOBAL__N_135GammaBetaBackwardCUDAKernelTemplateIddLj32ELj32ELj256ELb0ELb1ELb0EEEvllPKT_S5_PKT0_S8_PS3_S9_.has_recursion, 0
	.set _ZN2at6native12_GLOBAL__N_135GammaBetaBackwardCUDAKernelTemplateIddLj32ELj32ELj256ELb0ELb1ELb0EEEvllPKT_S5_PKT0_S8_PS3_S9_.has_indirect_call, 0
	.section	.AMDGPU.csdata,"",@progbits
; Kernel info:
; codeLenInByte = 2480
; TotalNumSgprs: 36
; NumVgprs: 44
; ScratchSize: 0
; MemoryBound: 0
; FloatMode: 240
; IeeeMode: 1
; LDSByteSize: 0 bytes/workgroup (compile time only)
; SGPRBlocks: 4
; VGPRBlocks: 10
; NumSGPRsForWavesPerEU: 36
; NumVGPRsForWavesPerEU: 44
; Occupancy: 5
; WaveLimiterHint : 0
; COMPUTE_PGM_RSRC2:SCRATCH_EN: 0
; COMPUTE_PGM_RSRC2:USER_SGPR: 6
; COMPUTE_PGM_RSRC2:TRAP_HANDLER: 0
; COMPUTE_PGM_RSRC2:TGID_X_EN: 1
; COMPUTE_PGM_RSRC2:TGID_Y_EN: 1
; COMPUTE_PGM_RSRC2:TGID_Z_EN: 0
; COMPUTE_PGM_RSRC2:TIDIG_COMP_CNT: 1
	.section	.text._ZN2at6native12_GLOBAL__N_135GammaBetaBackwardCUDAKernelTemplateIddLj32ELj32ELj256ELb0ELb0ELb0EEEvllPKT_S5_PKT0_S8_PS3_S9_,"axG",@progbits,_ZN2at6native12_GLOBAL__N_135GammaBetaBackwardCUDAKernelTemplateIddLj32ELj32ELj256ELb0ELb0ELb0EEEvllPKT_S5_PKT0_S8_PS3_S9_,comdat
	.globl	_ZN2at6native12_GLOBAL__N_135GammaBetaBackwardCUDAKernelTemplateIddLj32ELj32ELj256ELb0ELb0ELb0EEEvllPKT_S5_PKT0_S8_PS3_S9_ ; -- Begin function _ZN2at6native12_GLOBAL__N_135GammaBetaBackwardCUDAKernelTemplateIddLj32ELj32ELj256ELb0ELb0ELb0EEEvllPKT_S5_PKT0_S8_PS3_S9_
	.p2align	8
	.type	_ZN2at6native12_GLOBAL__N_135GammaBetaBackwardCUDAKernelTemplateIddLj32ELj32ELj256ELb0ELb0ELb0EEEvllPKT_S5_PKT0_S8_PS3_S9_,@function
_ZN2at6native12_GLOBAL__N_135GammaBetaBackwardCUDAKernelTemplateIddLj32ELj32ELj256ELb0ELb0ELb0EEEvllPKT_S5_PKT0_S8_PS3_S9_: ; @_ZN2at6native12_GLOBAL__N_135GammaBetaBackwardCUDAKernelTemplateIddLj32ELj32ELj256ELb0ELb0ELb0EEEvllPKT_S5_PKT0_S8_PS3_S9_
; %bb.0:
	s_mov_b64 s[38:39], s[2:3]
	s_mov_b64 s[36:37], s[0:1]
	s_add_u32 s36, s36, s8
	s_addc_u32 s37, s37, 0
	buffer_store_dword v1, off, s[36:39], 0 offset:76 ; 4-byte Folded Spill
	buffer_store_dword v0, off, s[36:39], 0 offset:72 ; 4-byte Folded Spill
	s_load_dwordx8 s[12:19], s[4:5], 0x0
	s_load_dwordx4 s[20:23], s[4:5], 0x20
	s_lshl_b32 s33, s6, 5
	s_or_b32 s0, s33, 31
	v_mov_b32_e32 v0, s0
	v_mov_b32_e32 v1, 0
	s_lshl_b32 s10, s7, 8
	s_mov_b32 s11, 0
	s_waitcnt lgkmcnt(0)
	v_cmp_le_i64_e32 vcc, s[14:15], v[0:1]
	v_mov_b32_e32 v0, s10
	v_mov_b32_e32 v1, s11
	v_cmp_gt_i64_e64 s[0:1], s[12:13], v[0:1]
	v_cndmask_b32_e64 v0, 0, 1, s[0:1]
	v_cmp_ne_u32_e64 s[0:1], 1, v0
	s_cbranch_vccz .LBB46_48
; %bb.1:
	v_mov_b32_e32 v0, 0
	v_mov_b32_e32 v1, 0
	buffer_store_dword v0, off, s[36:39], 0 ; 4-byte Folded Spill
	s_nop 0
	buffer_store_dword v1, off, s[36:39], 0 offset:4 ; 4-byte Folded Spill
	v_mov_b32_e32 v0, 0
	s_and_b64 vcc, exec, s[0:1]
	v_mov_b32_e32 v1, 0
	buffer_store_dword v0, off, s[36:39], 0 offset:8 ; 4-byte Folded Spill
	s_nop 0
	buffer_store_dword v1, off, s[36:39], 0 offset:12 ; 4-byte Folded Spill
	s_cbranch_vccnz .LBB46_49
; %bb.2:
	buffer_load_dword v0, off, s[36:39], 0 offset:72 ; 4-byte Folded Reload
	v_mov_b32_e32 v2, 0
	s_load_dword s7, s[4:5], 0x44
	v_mov_b32_e32 v6, v2
	s_add_u32 s24, s4, 64
	s_addc_u32 s25, s5, 0
	v_mov_b32_e32 v9, s19
	s_waitcnt lgkmcnt(0)
	s_lshl_b32 s7, s7, 8
	s_mul_i32 s8, s15, s7
	s_mul_hi_u32 s9, s14, s7
	s_add_i32 s9, s9, s8
	s_mul_i32 s8, s14, s7
	s_lshl_b64 s[26:27], s[8:9], 3
	s_add_u32 s28, s10, 0xff
	s_addc_u32 s29, 0, 0
	s_mov_b64 s[30:31], s[10:11]
	s_waitcnt vmcnt(0)
	v_add_u32_e32 v5, s33, v0
	buffer_load_dword v0, off, s[36:39], 0 offset:76 ; 4-byte Folded Reload
	v_lshlrev_b64 v[23:24], 3, v[5:6]
	s_waitcnt vmcnt(0)
	v_lshlrev_b32_e32 v0, 3, v0
	v_add_co_u32_e32 v3, vcc, s10, v0
	v_addc_co_u32_e64 v4, s[2:3], 0, 0, vcc
	buffer_store_dword v0, off, s[36:39], 0 offset:80 ; 4-byte Folded Spill
	v_mul_lo_u32 v7, s15, v3
	v_mul_lo_u32 v8, s14, v4
	v_mad_u64_u32 v[0:1], s[2:3], s14, v3, 0
	v_cmp_gt_i64_e64 s[2:3], s[14:15], v[5:6]
	v_add3_u32 v1, v1, v8, v7
	v_lshlrev_b64 v[5:6], 3, v[0:1]
	v_mov_b32_e32 v7, s17
	v_add_co_u32_e32 v8, vcc, s16, v5
	v_addc_co_u32_e32 v7, vcc, v7, v6, vcc
	buffer_store_dword v7, off, s[36:39], 0 offset:20 ; 4-byte Folded Spill
	v_add_co_u32_e32 v7, vcc, 7, v3
	buffer_store_dword v8, off, s[36:39], 0 offset:16 ; 4-byte Folded Spill
	v_addc_co_u32_e32 v8, vcc, 0, v4, vcc
	v_mul_lo_u32 v10, s15, v7
	v_mul_lo_u32 v11, s14, v8
	v_mad_u64_u32 v[7:8], s[8:9], s14, v7, 0
	v_add_co_u32_e32 v5, vcc, s18, v5
	buffer_store_dword v5, off, s[36:39], 0 offset:24 ; 4-byte Folded Spill
	v_addc_co_u32_e32 v5, vcc, v9, v6, vcc
	v_add3_u32 v8, v8, v11, v10
	buffer_store_dword v5, off, s[36:39], 0 offset:28 ; 4-byte Folded Spill
	v_lshlrev_b64 v[5:6], 3, v[7:8]
	v_mov_b32_e32 v7, s17
	v_add_co_u32_e32 v8, vcc, s16, v5
	v_addc_co_u32_e32 v7, vcc, v7, v6, vcc
	buffer_store_dword v7, off, s[36:39], 0 offset:36 ; 4-byte Folded Spill
	v_add_co_u32_e32 v7, vcc, 6, v3
	buffer_store_dword v8, off, s[36:39], 0 offset:32 ; 4-byte Folded Spill
	v_addc_co_u32_e32 v8, vcc, 0, v4, vcc
	v_mul_lo_u32 v10, s15, v7
	v_mul_lo_u32 v11, s14, v8
	v_mad_u64_u32 v[7:8], s[8:9], s14, v7, 0
	v_add_co_u32_e32 v5, vcc, s18, v5
	buffer_store_dword v5, off, s[36:39], 0 offset:40 ; 4-byte Folded Spill
	v_addc_co_u32_e32 v5, vcc, v9, v6, vcc
	v_add3_u32 v8, v8, v11, v10
	buffer_store_dword v5, off, s[36:39], 0 offset:44 ; 4-byte Folded Spill
	v_lshlrev_b64 v[5:6], 3, v[7:8]
	v_mov_b32_e32 v7, s17
	v_add_co_u32_e32 v8, vcc, s16, v5
	v_addc_co_u32_e32 v7, vcc, v7, v6, vcc
	buffer_store_dword v7, off, s[36:39], 0 offset:52 ; 4-byte Folded Spill
	v_add_co_u32_e32 v7, vcc, 5, v3
	buffer_store_dword v8, off, s[36:39], 0 offset:48 ; 4-byte Folded Spill
	v_addc_co_u32_e32 v8, vcc, 0, v4, vcc
	v_mul_lo_u32 v10, s15, v7
	v_mul_lo_u32 v11, s14, v8
	v_mad_u64_u32 v[7:8], s[8:9], s14, v7, 0
	v_add_co_u32_e32 v5, vcc, s18, v5
	buffer_store_dword v5, off, s[36:39], 0 offset:56 ; 4-byte Folded Spill
	v_addc_co_u32_e32 v5, vcc, v9, v6, vcc
	v_add3_u32 v8, v8, v11, v10
	buffer_store_dword v5, off, s[36:39], 0 offset:60 ; 4-byte Folded Spill
	v_lshlrev_b64 v[5:6], 3, v[7:8]
	v_mov_b32_e32 v7, s17
	v_add_co_u32_e32 v52, vcc, s16, v5
	v_addc_co_u32_e32 v53, vcc, v7, v6, vcc
	v_add_co_u32_e32 v7, vcc, 4, v3
	v_addc_co_u32_e32 v8, vcc, 0, v4, vcc
	v_mul_lo_u32 v10, s15, v7
	v_mul_lo_u32 v11, s14, v8
	v_mad_u64_u32 v[7:8], s[8:9], s14, v7, 0
	v_add_co_u32_e32 v54, vcc, s18, v5
	v_add3_u32 v8, v8, v11, v10
	v_addc_co_u32_e32 v55, vcc, v9, v6, vcc
	v_lshlrev_b64 v[5:6], 3, v[7:8]
	v_mov_b32_e32 v7, s17
	v_add_co_u32_e32 v56, vcc, s16, v5
	v_addc_co_u32_e32 v57, vcc, v7, v6, vcc
	v_add_co_u32_e32 v7, vcc, 3, v3
	v_addc_co_u32_e32 v8, vcc, 0, v4, vcc
	v_mul_lo_u32 v10, s15, v7
	v_mul_lo_u32 v11, s14, v8
	v_mad_u64_u32 v[7:8], s[8:9], s14, v7, 0
	v_add_co_u32_e32 v58, vcc, s18, v5
	v_add3_u32 v8, v8, v11, v10
	v_addc_co_u32_e32 v59, vcc, v9, v6, vcc
	v_lshlrev_b64 v[5:6], 3, v[7:8]
	v_mov_b32_e32 v7, s17
	v_add_co_u32_e32 v60, vcc, s16, v5
	v_addc_co_u32_e32 v61, vcc, v7, v6, vcc
	v_add_co_u32_e32 v3, vcc, 2, v3
	v_addc_co_u32_e32 v4, vcc, 0, v4, vcc
	v_mul_lo_u32 v8, s15, v3
	v_mul_lo_u32 v9, s14, v4
	v_mad_u64_u32 v[3:4], s[8:9], s14, v3, 0
	v_mov_b32_e32 v7, s19
	v_add_co_u32_e32 v62, vcc, s18, v5
	v_add3_u32 v4, v4, v9, v8
	v_lshlrev_b64 v[3:4], 3, v[3:4]
	v_addc_co_u32_e32 v63, vcc, v7, v6, vcc
	v_mov_b32_e32 v5, s17
	v_add_co_u32_e32 v39, vcc, s16, v3
	v_addc_co_u32_e32 v25, vcc, v5, v4, vcc
	v_mov_b32_e32 v5, s19
	v_add_co_u32_e32 v26, vcc, s18, v3
	;; [unrolled: 3-line block ×3, first 2 shown]
	v_addc_co_u32_e32 v1, vcc, v1, v3, vcc
	v_lshlrev_b64 v[0:1], 3, v[0:1]
	v_mov_b32_e32 v3, s17
	v_add_co_u32_e32 v32, vcc, s16, v0
	v_addc_co_u32_e32 v40, vcc, v3, v1, vcc
	v_mov_b32_e32 v3, s19
	v_add_co_u32_e32 v41, vcc, s18, v0
	v_addc_co_u32_e32 v42, vcc, v3, v1, vcc
	v_mov_b32_e32 v0, 0
	v_mov_b32_e32 v1, 0
	buffer_store_dword v0, off, s[36:39], 0 offset:8 ; 4-byte Folded Spill
	s_nop 0
	buffer_store_dword v1, off, s[36:39], 0 offset:12 ; 4-byte Folded Spill
	v_mbcnt_lo_u32_b32 v0, -1, 0
	v_mbcnt_hi_u32_b32 v0, -1, v0
	v_lshlrev_b32_e32 v0, 2, v0
	v_and_b32_e32 v43, 0x100, v0
	v_mov_b32_e32 v0, 0
	v_mov_b32_e32 v1, 0
	buffer_store_dword v0, off, s[36:39], 0 ; 4-byte Folded Spill
	s_nop 0
	buffer_store_dword v1, off, s[36:39], 0 offset:4 ; 4-byte Folded Spill
	s_branch .LBB46_5
.LBB46_3:                               ;   in Loop: Header=BB46_5 Depth=1
	s_or_b64 exec, exec, s[8:9]
	ds_bpermute_b32 v46, v43, v27
	ds_bpermute_b32 v47, v43, v28
	;; [unrolled: 1-line block ×4, first 2 shown]
	s_waitcnt lgkmcnt(2)
	v_add_f64 v[0:1], v[0:1], -v[46:47]
	buffer_load_dword v46, off, s[36:39], 0 offset:8 ; 4-byte Folded Reload
	buffer_load_dword v47, off, s[36:39], 0 offset:12 ; 4-byte Folded Reload
	v_mul_f64 v[0:1], v[3:4], v[0:1]
	s_waitcnt vmcnt(0) lgkmcnt(0)
	v_fma_f64 v[0:1], v[0:1], v[44:45], v[46:47]
	buffer_load_dword v44, off, s[36:39], 0 ; 4-byte Folded Reload
	buffer_load_dword v45, off, s[36:39], 0 offset:4 ; 4-byte Folded Reload
	ds_bpermute_b32 v46, v43, v27 offset:4
	ds_bpermute_b32 v47, v43, v28 offset:4
	s_waitcnt lgkmcnt(0)
	v_add_f64 v[37:38], v[37:38], -v[46:47]
	v_mul_f64 v[37:38], v[5:6], v[37:38]
	s_waitcnt vmcnt(0)
	v_add_f64 v[3:4], v[44:45], v[3:4]
	ds_bpermute_b32 v44, v43, v29 offset:4
	ds_bpermute_b32 v45, v43, v30 offset:4
	s_waitcnt lgkmcnt(0)
	v_fma_f64 v[0:1], v[37:38], v[44:45], v[0:1]
	ds_bpermute_b32 v37, v43, v27 offset:8
	ds_bpermute_b32 v38, v43, v28 offset:8
	v_add_f64 v[3:4], v[5:6], v[3:4]
	ds_bpermute_b32 v5, v43, v29 offset:8
	ds_bpermute_b32 v6, v43, v30 offset:8
	s_waitcnt lgkmcnt(2)
	v_add_f64 v[33:34], v[33:34], -v[37:38]
	v_add_f64 v[3:4], v[7:8], v[3:4]
	v_mul_f64 v[33:34], v[7:8], v[33:34]
	ds_bpermute_b32 v7, v43, v27 offset:12
	ds_bpermute_b32 v8, v43, v28 offset:12
	v_add_f64 v[3:4], v[9:10], v[3:4]
	s_waitcnt lgkmcnt(0)
	v_add_f64 v[7:8], v[35:36], -v[7:8]
	v_fma_f64 v[0:1], v[33:34], v[5:6], v[0:1]
	ds_bpermute_b32 v5, v43, v29 offset:12
	ds_bpermute_b32 v6, v43, v30 offset:12
	v_add_f64 v[3:4], v[11:12], v[3:4]
	v_mul_f64 v[7:8], v[9:10], v[7:8]
	buffer_load_dword v9, off, s[36:39], 0 offset:84 ; 4-byte Folded Reload
	buffer_load_dword v10, off, s[36:39], 0 offset:88 ; 4-byte Folded Reload
	v_add_f64 v[3:4], v[13:14], v[3:4]
	s_waitcnt lgkmcnt(0)
	v_fma_f64 v[0:1], v[7:8], v[5:6], v[0:1]
	ds_bpermute_b32 v7, v43, v27 offset:16
	ds_bpermute_b32 v8, v43, v28 offset:16
	;; [unrolled: 1-line block ×4, first 2 shown]
	v_add_f64 v[3:4], v[15:16], v[3:4]
	s_waitcnt lgkmcnt(2)
	v_add_f64 v[7:8], v[19:20], -v[7:8]
	ds_bpermute_b32 v19, v43, v29 offset:28
	ds_bpermute_b32 v20, v43, v30 offset:28
	v_mul_f64 v[7:8], v[11:12], v[7:8]
	s_waitcnt lgkmcnt(2)
	v_fma_f64 v[0:1], v[7:8], v[5:6], v[0:1]
	ds_bpermute_b32 v7, v43, v27 offset:20
	ds_bpermute_b32 v8, v43, v28 offset:20
	ds_bpermute_b32 v5, v43, v29 offset:20
	ds_bpermute_b32 v6, v43, v30 offset:20
	s_waitcnt lgkmcnt(2)
	v_add_f64 v[7:8], v[21:22], -v[7:8]
	v_mul_f64 v[7:8], v[13:14], v[7:8]
	s_waitcnt lgkmcnt(0)
	v_fma_f64 v[0:1], v[7:8], v[5:6], v[0:1]
	ds_bpermute_b32 v7, v43, v27 offset:24
	ds_bpermute_b32 v8, v43, v28 offset:24
	;; [unrolled: 1-line block ×4, first 2 shown]
	s_waitcnt vmcnt(0) lgkmcnt(2)
	v_add_f64 v[7:8], v[9:10], -v[7:8]
	v_mul_f64 v[7:8], v[15:16], v[7:8]
	s_waitcnt lgkmcnt(0)
	v_fma_f64 v[0:1], v[7:8], v[5:6], v[0:1]
	ds_bpermute_b32 v5, v43, v27 offset:28
	ds_bpermute_b32 v6, v43, v28 offset:28
.LBB46_4:                               ;   in Loop: Header=BB46_5 Depth=1
	buffer_load_dword v7, off, s[36:39], 0 offset:64 ; 4-byte Folded Reload
	buffer_load_dword v8, off, s[36:39], 0 offset:68 ; 4-byte Folded Reload
	v_add_f64 v[3:4], v[3:4], v[17:18]
	s_add_u32 s30, s30, s7
	s_addc_u32 s31, s31, 0
	s_add_u32 s28, s28, s7
	s_addc_u32 s29, s29, 0
	buffer_store_dword v3, off, s[36:39], 0 ; 4-byte Folded Spill
	s_nop 0
	buffer_store_dword v4, off, s[36:39], 0 offset:4 ; 4-byte Folded Spill
	s_waitcnt vmcnt(2) lgkmcnt(0)
	v_add_f64 v[5:6], v[7:8], -v[5:6]
	v_mov_b32_e32 v7, s27
	v_mul_f64 v[3:4], v[17:18], v[5:6]
	buffer_load_dword v5, off, s[36:39], 0 offset:16 ; 4-byte Folded Reload
	v_fma_f64 v[0:1], v[3:4], v[19:20], v[0:1]
	s_waitcnt vmcnt(0)
	v_add_co_u32_e32 v5, vcc, s26, v5
	buffer_store_dword v5, off, s[36:39], 0 offset:16 ; 4-byte Folded Spill
	buffer_load_dword v5, off, s[36:39], 0 offset:20 ; 4-byte Folded Reload
	s_waitcnt vmcnt(0)
	v_addc_co_u32_e32 v5, vcc, v5, v7, vcc
	buffer_store_dword v5, off, s[36:39], 0 offset:20 ; 4-byte Folded Spill
	buffer_load_dword v5, off, s[36:39], 0 offset:24 ; 4-byte Folded Reload
	s_waitcnt vmcnt(0)
	v_add_co_u32_e32 v5, vcc, s26, v5
	buffer_store_dword v5, off, s[36:39], 0 offset:24 ; 4-byte Folded Spill
	buffer_load_dword v5, off, s[36:39], 0 offset:28 ; 4-byte Folded Reload
	s_waitcnt vmcnt(0)
	v_addc_co_u32_e32 v5, vcc, v5, v7, vcc
	buffer_store_dword v5, off, s[36:39], 0 offset:28 ; 4-byte Folded Spill
	buffer_store_dword v0, off, s[36:39], 0 offset:8 ; 4-byte Folded Spill
	s_nop 0
	buffer_store_dword v1, off, s[36:39], 0 offset:12 ; 4-byte Folded Spill
	buffer_load_dword v0, off, s[36:39], 0 offset:32 ; 4-byte Folded Reload
	s_waitcnt vmcnt(0)
	v_add_co_u32_e32 v0, vcc, s26, v0
	buffer_store_dword v0, off, s[36:39], 0 offset:32 ; 4-byte Folded Spill
	buffer_load_dword v0, off, s[36:39], 0 offset:36 ; 4-byte Folded Reload
	s_waitcnt vmcnt(0)
	v_addc_co_u32_e32 v0, vcc, v0, v7, vcc
	buffer_store_dword v0, off, s[36:39], 0 offset:36 ; 4-byte Folded Spill
	buffer_load_dword v0, off, s[36:39], 0 offset:40 ; 4-byte Folded Reload
	s_waitcnt vmcnt(0)
	v_add_co_u32_e32 v0, vcc, s26, v0
	buffer_store_dword v0, off, s[36:39], 0 offset:40 ; 4-byte Folded Spill
	buffer_load_dword v0, off, s[36:39], 0 offset:44 ; 4-byte Folded Reload
	s_waitcnt vmcnt(0)
	v_addc_co_u32_e32 v0, vcc, v0, v7, vcc
	;; [unrolled: 8-line block ×4, first 2 shown]
	v_add_co_u32_e32 v52, vcc, s26, v52
	v_addc_co_u32_e32 v53, vcc, v53, v7, vcc
	v_add_co_u32_e32 v54, vcc, s26, v54
	v_addc_co_u32_e32 v55, vcc, v55, v7, vcc
	;; [unrolled: 2-line block ×9, first 2 shown]
	buffer_store_dword v0, off, s[36:39], 0 offset:60 ; 4-byte Folded Spill
	v_add_co_u32_e32 v41, vcc, s26, v41
	v_mov_b32_e32 v0, s12
	v_addc_co_u32_e32 v42, vcc, v42, v7, vcc
	v_mov_b32_e32 v1, s13
	v_cmp_lt_i64_e32 vcc, s[30:31], v[0:1]
	s_cbranch_vccz .LBB46_49
.LBB46_5:                               ; =>This Inner Loop Header: Depth=1
	v_mov_b32_e32 v0, s12
	v_mov_b32_e32 v1, s13
	v_cmp_ge_i64_e32 vcc, s[28:29], v[0:1]
	buffer_load_dword v1, off, s[36:39], 0 offset:80 ; 4-byte Folded Reload
	v_mov_b32_e32 v0, s29
	s_and_b64 vcc, exec, vcc
                                        ; implicit-def: $vgpr3_vgpr4_vgpr5_vgpr6_vgpr7_vgpr8_vgpr9_vgpr10_vgpr11_vgpr12_vgpr13_vgpr14_vgpr15_vgpr16_vgpr17_vgpr18
                                        ; implicit-def: $vgpr19_vgpr20
                                        ; implicit-def: $vgpr5
                                        ; implicit-def: $vgpr3_vgpr4
	s_waitcnt vmcnt(0)
	v_add_co_u32_e64 v33, s[8:9], s28, v1
	v_addc_co_u32_e64 v34, s[8:9], 0, v0, s[8:9]
	s_mov_b64 s[8:9], -1
                                        ; implicit-def: $vgpr0_vgpr1
                                        ; kill: killed $vgpr0_vgpr1
                                        ; implicit-def: $vgpr0_vgpr1
	s_cbranch_vccz .LBB46_27
; %bb.6:                                ;   in Loop: Header=BB46_5 Depth=1
	s_load_dword s8, s[24:25], 0xc
	buffer_load_dword v0, off, s[36:39], 0 offset:72 ; 4-byte Folded Reload
	buffer_load_dword v1, off, s[36:39], 0 offset:76 ; 4-byte Folded Reload
	v_mov_b32_e32 v35, 0
	v_mov_b32_e32 v29, 0
	;; [unrolled: 1-line block ×3, first 2 shown]
	s_waitcnt lgkmcnt(0)
	s_and_b32 s8, s8, 0xffff
	v_mov_b32_e32 v36, 0
	v_mov_b32_e32 v30, 0
	;; [unrolled: 1-line block ×3, first 2 shown]
	s_waitcnt vmcnt(0)
	v_mad_u32_u24 v0, v1, s8, v0
	v_and_b32_e32 v0, 63, v0
	v_cmp_gt_u32_e32 vcc, 8, v0
	s_and_saveexec_b64 s[8:9], vcc
	s_cbranch_execz .LBB46_10
; %bb.7:                                ;   in Loop: Header=BB46_5 Depth=1
	v_add_co_u32_e32 v0, vcc, v33, v0
	v_addc_co_u32_e32 v1, vcc, 0, v34, vcc
	v_add_co_u32_e32 v0, vcc, 0xffffff01, v0
	v_addc_co_u32_e32 v1, vcc, -1, v1, vcc
	v_cmp_gt_i64_e32 vcc, s[12:13], v[0:1]
	v_mov_b32_e32 v27, 0
	v_mov_b32_e32 v29, 0
	;; [unrolled: 1-line block ×4, first 2 shown]
	s_and_saveexec_b64 s[34:35], vcc
	s_cbranch_execz .LBB46_9
; %bb.8:                                ;   in Loop: Header=BB46_5 Depth=1
	v_lshlrev_b64 v[0:1], 3, v[0:1]
	v_mov_b32_e32 v4, s23
	v_add_co_u32_e32 v3, vcc, s22, v0
	v_addc_co_u32_e32 v4, vcc, v4, v1, vcc
	v_mov_b32_e32 v5, s21
	v_add_co_u32_e32 v0, vcc, s20, v0
	v_addc_co_u32_e32 v1, vcc, v5, v1, vcc
	global_load_dwordx2 v[27:28], v[0:1], off
	global_load_dwordx2 v[29:30], v[3:4], off
.LBB46_9:                               ;   in Loop: Header=BB46_5 Depth=1
	s_or_b64 exec, exec, s[34:35]
.LBB46_10:                              ;   in Loop: Header=BB46_5 Depth=1
	s_or_b64 exec, exec, s[8:9]
	v_add_co_u32_e32 v0, vcc, 0xffffff01, v33
	v_addc_co_u32_e32 v1, vcc, -1, v34, vcc
	v_cmp_gt_i64_e32 vcc, s[12:13], v[0:1]
	v_mov_b32_e32 v3, v2
	v_mov_b32_e32 v4, v2
	v_mov_b32_e32 v5, v2
	v_mov_b32_e32 v6, v2
	v_mov_b32_e32 v7, v2
	v_mov_b32_e32 v8, v2
	v_mov_b32_e32 v9, v2
	v_mov_b32_e32 v10, v2
	v_mov_b32_e32 v11, v2
	v_mov_b32_e32 v12, v2
	v_mov_b32_e32 v13, v2
	v_mov_b32_e32 v14, v2
	v_mov_b32_e32 v15, v2
	v_mov_b32_e32 v16, v2
	v_mov_b32_e32 v17, v2
	v_mov_b32_e32 v18, v17
	v_mov_b32_e32 v17, v16
	v_mov_b32_e32 v16, v15
	v_mov_b32_e32 v15, v14
	v_mov_b32_e32 v14, v13
	v_mov_b32_e32 v13, v12
	v_mov_b32_e32 v12, v11
	v_mov_b32_e32 v11, v10
	v_mov_b32_e32 v10, v9
	v_mov_b32_e32 v9, v8
	v_mov_b32_e32 v8, v7
	v_mov_b32_e32 v7, v6
	v_mov_b32_e32 v6, v5
	v_mov_b32_e32 v5, v4
	v_mov_b32_e32 v4, v3
	v_mov_b32_e32 v3, v2
	s_and_b64 s[34:35], s[2:3], vcc
	s_and_saveexec_b64 s[8:9], s[34:35]
	s_cbranch_execz .LBB46_12
; %bb.11:                               ;   in Loop: Header=BB46_5 Depth=1
	buffer_load_dword v0, off, s[36:39], 0 offset:16 ; 4-byte Folded Reload
	buffer_load_dword v1, off, s[36:39], 0 offset:20 ; 4-byte Folded Reload
	v_mov_b32_e32 v5, v2
	v_mov_b32_e32 v6, v2
	;; [unrolled: 1-line block ×14, first 2 shown]
	s_waitcnt vmcnt(1)
	v_add_co_u32_e32 v0, vcc, v0, v23
	s_waitcnt vmcnt(0)
	v_addc_co_u32_e32 v1, vcc, v1, v24, vcc
	global_load_dwordx2 v[3:4], v[0:1], off
	s_nop 0
	buffer_load_dword v0, off, s[36:39], 0 offset:24 ; 4-byte Folded Reload
	buffer_load_dword v1, off, s[36:39], 0 offset:28 ; 4-byte Folded Reload
	s_waitcnt vmcnt(1)
	v_add_co_u32_e32 v0, vcc, v0, v23
	s_waitcnt vmcnt(0)
	v_addc_co_u32_e32 v1, vcc, v1, v24, vcc
	global_load_dwordx2 v[35:36], v[0:1], off
.LBB46_12:                              ;   in Loop: Header=BB46_5 Depth=1
	s_or_b64 exec, exec, s[8:9]
	v_add_co_u32_e32 v0, vcc, 0xffffff02, v33
	v_addc_co_u32_e32 v1, vcc, -1, v34, vcc
	v_cmp_gt_i64_e32 vcc, s[12:13], v[0:1]
	v_mov_b32_e32 v50, 0
	v_mov_b32_e32 v37, 0
	;; [unrolled: 1-line block ×4, first 2 shown]
	s_and_b64 s[34:35], s[2:3], vcc
	s_and_saveexec_b64 s[8:9], s[34:35]
	s_cbranch_execz .LBB46_14
; %bb.13:                               ;   in Loop: Header=BB46_5 Depth=1
	v_add_co_u32_e32 v0, vcc, v32, v23
	v_addc_co_u32_e32 v1, vcc, v40, v24, vcc
	global_load_dwordx2 v[5:6], v[0:1], off
	v_add_co_u32_e32 v0, vcc, v41, v23
	v_addc_co_u32_e32 v1, vcc, v42, v24, vcc
	global_load_dwordx2 v[37:38], v[0:1], off
.LBB46_14:                              ;   in Loop: Header=BB46_5 Depth=1
	s_or_b64 exec, exec, s[8:9]
	v_add_co_u32_e32 v0, vcc, 0xffffff03, v33
	v_addc_co_u32_e32 v1, vcc, -1, v34, vcc
	v_cmp_gt_i64_e32 vcc, s[12:13], v[0:1]
	s_and_b64 s[34:35], s[2:3], vcc
	s_and_saveexec_b64 s[8:9], s[34:35]
	s_cbranch_execz .LBB46_16
; %bb.15:                               ;   in Loop: Header=BB46_5 Depth=1
	v_add_co_u32_e32 v0, vcc, v39, v23
	v_addc_co_u32_e32 v1, vcc, v25, v24, vcc
	global_load_dwordx2 v[7:8], v[0:1], off
	v_add_co_u32_e32 v0, vcc, v26, v23
	v_addc_co_u32_e32 v1, vcc, v31, v24, vcc
	global_load_dwordx2 v[50:51], v[0:1], off
.LBB46_16:                              ;   in Loop: Header=BB46_5 Depth=1
	s_or_b64 exec, exec, s[8:9]
	v_add_co_u32_e32 v0, vcc, 0xffffff04, v33
	v_addc_co_u32_e32 v1, vcc, -1, v34, vcc
	v_cmp_gt_i64_e32 vcc, s[12:13], v[0:1]
	v_mov_b32_e32 v48, 0
	v_mov_b32_e32 v21, 0
	;; [unrolled: 1-line block ×4, first 2 shown]
	s_and_b64 s[34:35], s[2:3], vcc
	s_and_saveexec_b64 s[8:9], s[34:35]
	s_cbranch_execz .LBB46_18
; %bb.17:                               ;   in Loop: Header=BB46_5 Depth=1
	v_add_co_u32_e32 v0, vcc, v60, v23
	v_addc_co_u32_e32 v1, vcc, v61, v24, vcc
	global_load_dwordx2 v[9:10], v[0:1], off
	v_add_co_u32_e32 v0, vcc, v62, v23
	v_addc_co_u32_e32 v1, vcc, v63, v24, vcc
	global_load_dwordx2 v[21:22], v[0:1], off
.LBB46_18:                              ;   in Loop: Header=BB46_5 Depth=1
	s_or_b64 exec, exec, s[8:9]
	v_add_co_u32_e32 v0, vcc, 0xffffff05, v33
	v_addc_co_u32_e32 v1, vcc, -1, v34, vcc
	v_cmp_gt_i64_e32 vcc, s[12:13], v[0:1]
	s_and_b64 s[34:35], s[2:3], vcc
	s_and_saveexec_b64 s[8:9], s[34:35]
	s_cbranch_execz .LBB46_20
; %bb.19:                               ;   in Loop: Header=BB46_5 Depth=1
	v_add_co_u32_e32 v0, vcc, v56, v23
	v_addc_co_u32_e32 v1, vcc, v57, v24, vcc
	global_load_dwordx2 v[11:12], v[0:1], off
	v_add_co_u32_e32 v0, vcc, v58, v23
	v_addc_co_u32_e32 v1, vcc, v59, v24, vcc
	global_load_dwordx2 v[48:49], v[0:1], off
.LBB46_20:                              ;   in Loop: Header=BB46_5 Depth=1
	s_or_b64 exec, exec, s[8:9]
	v_add_co_u32_e32 v0, vcc, 0xffffff06, v33
	v_addc_co_u32_e32 v1, vcc, -1, v34, vcc
	v_cmp_gt_i64_e32 vcc, s[12:13], v[0:1]
	v_mov_b32_e32 v19, 0
	v_mov_b32_e32 v0, 0
	;; [unrolled: 1-line block ×4, first 2 shown]
	s_and_b64 s[34:35], s[2:3], vcc
	s_and_saveexec_b64 s[8:9], s[34:35]
	s_cbranch_execz .LBB46_22
; %bb.21:                               ;   in Loop: Header=BB46_5 Depth=1
	v_add_co_u32_e32 v0, vcc, v52, v23
	v_addc_co_u32_e32 v1, vcc, v53, v24, vcc
	global_load_dwordx2 v[13:14], v[0:1], off
	v_add_co_u32_e32 v0, vcc, v54, v23
	v_addc_co_u32_e32 v1, vcc, v55, v24, vcc
	global_load_dwordx2 v[0:1], v[0:1], off
.LBB46_22:                              ;   in Loop: Header=BB46_5 Depth=1
	s_or_b64 exec, exec, s[8:9]
	v_add_co_u32_e32 v44, vcc, 0xffffff07, v33
	v_addc_co_u32_e32 v45, vcc, -1, v34, vcc
	v_cmp_gt_i64_e32 vcc, s[12:13], v[44:45]
	s_and_b64 s[34:35], s[2:3], vcc
	s_and_saveexec_b64 s[8:9], s[34:35]
	s_cbranch_execz .LBB46_24
; %bb.23:                               ;   in Loop: Header=BB46_5 Depth=1
	buffer_load_dword v15, off, s[36:39], 0 offset:48 ; 4-byte Folded Reload
	buffer_load_dword v16, off, s[36:39], 0 offset:52 ; 4-byte Folded Reload
	buffer_load_dword v19, off, s[36:39], 0 offset:56 ; 4-byte Folded Reload
	s_waitcnt vmcnt(2)
	v_add_co_u32_e32 v15, vcc, v15, v23
	s_waitcnt vmcnt(1)
	v_addc_co_u32_e32 v16, vcc, v16, v24, vcc
	s_waitcnt vmcnt(0)
	v_add_co_u32_e32 v44, vcc, v19, v23
	buffer_load_dword v19, off, s[36:39], 0 offset:60 ; 4-byte Folded Reload
	s_waitcnt vmcnt(0)
	v_addc_co_u32_e32 v45, vcc, v19, v24, vcc
	global_load_dwordx2 v[15:16], v[15:16], off
	s_nop 0
	global_load_dwordx2 v[19:20], v[44:45], off
.LBB46_24:                              ;   in Loop: Header=BB46_5 Depth=1
	s_or_b64 exec, exec, s[8:9]
	v_add_co_u32_e32 v44, vcc, 0xffffff08, v33
	s_waitcnt vmcnt(0)
	buffer_store_dword v19, off, s[36:39], 0 offset:84 ; 4-byte Folded Spill
	s_nop 0
	buffer_store_dword v20, off, s[36:39], 0 offset:88 ; 4-byte Folded Spill
	v_addc_co_u32_e32 v45, vcc, -1, v34, vcc
	v_mov_b32_e32 v19, v35
	v_cmp_gt_i64_e32 vcc, s[12:13], v[44:45]
	v_mov_b32_e32 v20, v36
	v_mov_b32_e32 v35, 0
	;; [unrolled: 1-line block ×3, first 2 shown]
	s_and_b64 s[34:35], s[2:3], vcc
	buffer_store_dword v35, off, s[36:39], 0 offset:64 ; 4-byte Folded Spill
	s_nop 0
	buffer_store_dword v36, off, s[36:39], 0 offset:68 ; 4-byte Folded Spill
	s_and_saveexec_b64 s[8:9], s[34:35]
	s_cbranch_execz .LBB46_26
; %bb.25:                               ;   in Loop: Header=BB46_5 Depth=1
	buffer_load_dword v17, off, s[36:39], 0 offset:32 ; 4-byte Folded Reload
	buffer_load_dword v18, off, s[36:39], 0 offset:36 ; 4-byte Folded Reload
	buffer_load_dword v35, off, s[36:39], 0 offset:40 ; 4-byte Folded Reload
	s_waitcnt vmcnt(2)
	v_add_co_u32_e32 v17, vcc, v17, v23
	s_waitcnt vmcnt(1)
	v_addc_co_u32_e32 v18, vcc, v18, v24, vcc
	s_waitcnt vmcnt(0)
	v_add_co_u32_e32 v44, vcc, v35, v23
	buffer_load_dword v35, off, s[36:39], 0 offset:44 ; 4-byte Folded Reload
	s_waitcnt vmcnt(0)
	v_addc_co_u32_e32 v45, vcc, v35, v24, vcc
	global_load_dwordx2 v[17:18], v[17:18], off
	s_nop 0
	global_load_dwordx2 v[35:36], v[44:45], off
	s_waitcnt vmcnt(0)
	buffer_store_dword v35, off, s[36:39], 0 offset:64 ; 4-byte Folded Spill
	s_nop 0
	buffer_store_dword v36, off, s[36:39], 0 offset:68 ; 4-byte Folded Spill
.LBB46_26:                              ;   in Loop: Header=BB46_5 Depth=1
	s_or_b64 exec, exec, s[8:9]
	buffer_load_dword v35, off, s[36:39], 0 offset:8 ; 4-byte Folded Reload
	buffer_load_dword v36, off, s[36:39], 0 offset:12 ; 4-byte Folded Reload
	ds_bpermute_b32 v46, v43, v27
	ds_bpermute_b32 v47, v43, v28
	;; [unrolled: 1-line block ×4, first 2 shown]
	s_mov_b64 s[8:9], 0
	s_waitcnt lgkmcnt(2)
	v_add_f64 v[46:47], v[19:20], -v[46:47]
	v_mul_f64 v[46:47], v[3:4], v[46:47]
	s_waitcnt vmcnt(0) lgkmcnt(0)
	v_fma_f64 v[44:45], v[46:47], v[44:45], v[35:36]
	buffer_load_dword v35, off, s[36:39], 0 ; 4-byte Folded Reload
	buffer_load_dword v36, off, s[36:39], 0 offset:4 ; 4-byte Folded Reload
	ds_bpermute_b32 v46, v43, v29 offset:4
	ds_bpermute_b32 v47, v43, v30 offset:4
	s_waitcnt vmcnt(0)
	v_add_f64 v[3:4], v[35:36], v[3:4]
	ds_bpermute_b32 v35, v43, v27 offset:4
	ds_bpermute_b32 v36, v43, v28 offset:4
	s_waitcnt lgkmcnt(0)
	v_add_f64 v[35:36], v[37:38], -v[35:36]
	ds_bpermute_b32 v37, v43, v27 offset:8
	ds_bpermute_b32 v38, v43, v28 offset:8
	v_add_f64 v[3:4], v[5:6], v[3:4]
	s_waitcnt lgkmcnt(0)
	v_add_f64 v[19:20], v[50:51], -v[37:38]
	v_mul_f64 v[35:36], v[5:6], v[35:36]
	ds_bpermute_b32 v5, v43, v29 offset:8
	ds_bpermute_b32 v6, v43, v30 offset:8
	v_add_f64 v[3:4], v[7:8], v[3:4]
	v_mul_f64 v[19:20], v[7:8], v[19:20]
	v_fma_f64 v[35:36], v[35:36], v[46:47], v[44:45]
	ds_bpermute_b32 v7, v43, v29 offset:12
	ds_bpermute_b32 v8, v43, v30 offset:12
	v_add_f64 v[3:4], v[9:10], v[3:4]
	s_waitcnt lgkmcnt(2)
	v_fma_f64 v[5:6], v[19:20], v[5:6], v[35:36]
	ds_bpermute_b32 v19, v43, v27 offset:12
	ds_bpermute_b32 v20, v43, v28 offset:12
	v_add_f64 v[3:4], v[11:12], v[3:4]
	s_waitcnt lgkmcnt(0)
	v_add_f64 v[19:20], v[21:22], -v[19:20]
	v_add_f64 v[3:4], v[13:14], v[3:4]
	v_mul_f64 v[19:20], v[9:10], v[19:20]
	ds_bpermute_b32 v9, v43, v27 offset:16
	ds_bpermute_b32 v10, v43, v28 offset:16
	v_add_f64 v[3:4], v[15:16], v[3:4]
	s_waitcnt lgkmcnt(0)
	v_add_f64 v[9:10], v[48:49], -v[9:10]
	v_fma_f64 v[5:6], v[19:20], v[7:8], v[5:6]
	ds_bpermute_b32 v7, v43, v29 offset:16
	ds_bpermute_b32 v8, v43, v30 offset:16
	;; [unrolled: 1-line block ×4, first 2 shown]
	v_mul_f64 v[9:10], v[11:12], v[9:10]
	s_waitcnt lgkmcnt(2)
	v_fma_f64 v[5:6], v[9:10], v[7:8], v[5:6]
	ds_bpermute_b32 v9, v43, v27 offset:20
	ds_bpermute_b32 v10, v43, v28 offset:20
	;; [unrolled: 1-line block ×4, first 2 shown]
	s_waitcnt lgkmcnt(2)
	v_add_f64 v[0:1], v[0:1], -v[9:10]
	buffer_load_dword v9, off, s[36:39], 0 offset:84 ; 4-byte Folded Reload
	buffer_load_dword v10, off, s[36:39], 0 offset:88 ; 4-byte Folded Reload
	v_mul_f64 v[0:1], v[13:14], v[0:1]
	s_waitcnt lgkmcnt(0)
	v_fma_f64 v[0:1], v[0:1], v[7:8], v[5:6]
	ds_bpermute_b32 v7, v43, v27 offset:24
	ds_bpermute_b32 v8, v43, v28 offset:24
	;; [unrolled: 1-line block ×4, first 2 shown]
	s_waitcnt vmcnt(0) lgkmcnt(2)
	v_add_f64 v[7:8], v[9:10], -v[7:8]
	v_mul_f64 v[7:8], v[15:16], v[7:8]
	s_waitcnt lgkmcnt(0)
	v_fma_f64 v[0:1], v[7:8], v[5:6], v[0:1]
	ds_bpermute_b32 v5, v43, v27 offset:28
	ds_bpermute_b32 v6, v43, v28 offset:28
.LBB46_27:                              ;   in Loop: Header=BB46_5 Depth=1
	s_and_b64 vcc, exec, s[8:9]
	s_cbranch_vccz .LBB46_4
; %bb.28:                               ;   in Loop: Header=BB46_5 Depth=1
	s_load_dword s8, s[24:25], 0x0
	v_mov_b32_e32 v0, 0
	v_mov_b32_e32 v29, 0
	;; [unrolled: 1-line block ×4, first 2 shown]
	s_waitcnt lgkmcnt(0)
	s_cmp_lt_u32 s6, s8
	s_cselect_b32 s8, 12, 18
	s_add_u32 s8, s24, s8
	s_addc_u32 s9, s25, 0
	global_load_ushort v3, v2, s[8:9]
	buffer_load_dword v4, off, s[36:39], 0 offset:72 ; 4-byte Folded Reload
	buffer_load_dword v5, off, s[36:39], 0 offset:76 ; 4-byte Folded Reload
	v_mov_b32_e32 v30, 0
	v_mov_b32_e32 v28, 0
	s_waitcnt vmcnt(0)
	v_mad_u32_u24 v3, v5, v3, v4
	v_and_b32_e32 v3, 63, v3
	v_cmp_gt_u32_e32 vcc, 8, v3
	s_and_saveexec_b64 s[8:9], vcc
	s_cbranch_execz .LBB46_32
; %bb.29:                               ;   in Loop: Header=BB46_5 Depth=1
	v_add_co_u32_e32 v3, vcc, v33, v3
	v_addc_co_u32_e32 v4, vcc, 0, v34, vcc
	v_add_co_u32_e32 v3, vcc, 0xffffff01, v3
	v_addc_co_u32_e32 v4, vcc, -1, v4, vcc
	v_cmp_gt_i64_e32 vcc, s[12:13], v[3:4]
	v_mov_b32_e32 v27, 0
	v_mov_b32_e32 v29, 0
	;; [unrolled: 1-line block ×4, first 2 shown]
	s_and_saveexec_b64 s[34:35], vcc
	s_cbranch_execz .LBB46_31
; %bb.30:                               ;   in Loop: Header=BB46_5 Depth=1
	v_lshlrev_b64 v[3:4], 3, v[3:4]
	v_mov_b32_e32 v6, s23
	v_add_co_u32_e32 v5, vcc, s22, v3
	v_addc_co_u32_e32 v6, vcc, v6, v4, vcc
	v_mov_b32_e32 v7, s21
	v_add_co_u32_e32 v3, vcc, s20, v3
	v_addc_co_u32_e32 v4, vcc, v7, v4, vcc
	global_load_dwordx2 v[27:28], v[3:4], off
	global_load_dwordx2 v[29:30], v[5:6], off
.LBB46_31:                              ;   in Loop: Header=BB46_5 Depth=1
	s_or_b64 exec, exec, s[34:35]
.LBB46_32:                              ;   in Loop: Header=BB46_5 Depth=1
	s_or_b64 exec, exec, s[8:9]
	v_mov_b32_e32 v3, v2
	v_mov_b32_e32 v4, v2
	;; [unrolled: 1-line block ×31, first 2 shown]
	s_and_saveexec_b64 s[8:9], s[2:3]
	s_cbranch_execz .LBB46_34
; %bb.33:                               ;   in Loop: Header=BB46_5 Depth=1
	buffer_load_dword v0, off, s[36:39], 0 offset:16 ; 4-byte Folded Reload
	buffer_load_dword v1, off, s[36:39], 0 offset:20 ; 4-byte Folded Reload
	v_mov_b32_e32 v5, v2
	v_mov_b32_e32 v6, v2
	;; [unrolled: 1-line block ×14, first 2 shown]
	s_waitcnt vmcnt(1)
	v_add_co_u32_e32 v0, vcc, v0, v23
	s_waitcnt vmcnt(0)
	v_addc_co_u32_e32 v1, vcc, v1, v24, vcc
	global_load_dwordx2 v[3:4], v[0:1], off
	s_nop 0
	buffer_load_dword v0, off, s[36:39], 0 offset:24 ; 4-byte Folded Reload
	buffer_load_dword v1, off, s[36:39], 0 offset:28 ; 4-byte Folded Reload
	s_waitcnt vmcnt(1)
	v_add_co_u32_e32 v0, vcc, v0, v23
	s_waitcnt vmcnt(0)
	v_addc_co_u32_e32 v1, vcc, v1, v24, vcc
	global_load_dwordx2 v[0:1], v[0:1], off
.LBB46_34:                              ;   in Loop: Header=BB46_5 Depth=1
	s_or_b64 exec, exec, s[8:9]
	v_mov_b32_e32 v33, 0
	v_mov_b32_e32 v37, 0
	;; [unrolled: 1-line block ×4, first 2 shown]
	s_and_saveexec_b64 s[8:9], s[2:3]
	s_cbranch_execz .LBB46_36
; %bb.35:                               ;   in Loop: Header=BB46_5 Depth=1
	v_add_co_u32_e32 v5, vcc, v32, v23
	v_addc_co_u32_e32 v6, vcc, v40, v24, vcc
	v_add_co_u32_e32 v19, vcc, v41, v23
	v_addc_co_u32_e32 v20, vcc, v42, v24, vcc
	global_load_dwordx2 v[5:6], v[5:6], off
	s_nop 0
	global_load_dwordx2 v[37:38], v[19:20], off
.LBB46_36:                              ;   in Loop: Header=BB46_5 Depth=1
	s_or_b64 exec, exec, s[8:9]
	s_and_saveexec_b64 s[8:9], s[2:3]
	s_cbranch_execz .LBB46_38
; %bb.37:                               ;   in Loop: Header=BB46_5 Depth=1
	v_add_co_u32_e32 v7, vcc, v39, v23
	v_addc_co_u32_e32 v8, vcc, v25, v24, vcc
	v_add_co_u32_e32 v19, vcc, v26, v23
	v_addc_co_u32_e32 v20, vcc, v31, v24, vcc
	global_load_dwordx2 v[7:8], v[7:8], off
	s_nop 0
	global_load_dwordx2 v[33:34], v[19:20], off
.LBB46_38:                              ;   in Loop: Header=BB46_5 Depth=1
	s_or_b64 exec, exec, s[8:9]
	v_mov_b32_e32 v19, 0
	v_mov_b32_e32 v35, 0
	;; [unrolled: 1-line block ×4, first 2 shown]
	s_and_saveexec_b64 s[8:9], s[2:3]
	s_cbranch_execz .LBB46_40
; %bb.39:                               ;   in Loop: Header=BB46_5 Depth=1
	v_add_co_u32_e32 v9, vcc, v60, v23
	v_addc_co_u32_e32 v10, vcc, v61, v24, vcc
	v_add_co_u32_e32 v21, vcc, v62, v23
	v_addc_co_u32_e32 v22, vcc, v63, v24, vcc
	global_load_dwordx2 v[9:10], v[9:10], off
	s_nop 0
	global_load_dwordx2 v[35:36], v[21:22], off
.LBB46_40:                              ;   in Loop: Header=BB46_5 Depth=1
	s_or_b64 exec, exec, s[8:9]
	s_and_saveexec_b64 s[8:9], s[2:3]
	s_cbranch_execz .LBB46_42
; %bb.41:                               ;   in Loop: Header=BB46_5 Depth=1
	v_add_co_u32_e32 v11, vcc, v56, v23
	v_addc_co_u32_e32 v12, vcc, v57, v24, vcc
	v_add_co_u32_e32 v19, vcc, v58, v23
	v_addc_co_u32_e32 v20, vcc, v59, v24, vcc
	global_load_dwordx2 v[11:12], v[11:12], off
	s_nop 0
	global_load_dwordx2 v[19:20], v[19:20], off
.LBB46_42:                              ;   in Loop: Header=BB46_5 Depth=1
	s_or_b64 exec, exec, s[8:9]
	v_mov_b32_e32 v44, 0
	v_mov_b32_e32 v21, 0
	;; [unrolled: 1-line block ×4, first 2 shown]
	s_and_saveexec_b64 s[8:9], s[2:3]
	s_cbranch_execz .LBB46_44
; %bb.43:                               ;   in Loop: Header=BB46_5 Depth=1
	v_add_co_u32_e32 v13, vcc, v52, v23
	v_addc_co_u32_e32 v14, vcc, v53, v24, vcc
	v_add_co_u32_e32 v21, vcc, v54, v23
	v_addc_co_u32_e32 v22, vcc, v55, v24, vcc
	global_load_dwordx2 v[13:14], v[13:14], off
	s_nop 0
	global_load_dwordx2 v[21:22], v[21:22], off
.LBB46_44:                              ;   in Loop: Header=BB46_5 Depth=1
	s_or_b64 exec, exec, s[8:9]
	s_and_saveexec_b64 s[8:9], s[2:3]
	s_cbranch_execz .LBB46_46
; %bb.45:                               ;   in Loop: Header=BB46_5 Depth=1
	buffer_load_dword v15, off, s[36:39], 0 offset:48 ; 4-byte Folded Reload
	buffer_load_dword v16, off, s[36:39], 0 offset:52 ; 4-byte Folded Reload
	;; [unrolled: 1-line block ×4, first 2 shown]
	s_waitcnt vmcnt(3)
	v_add_co_u32_e32 v15, vcc, v15, v23
	s_waitcnt vmcnt(2)
	v_addc_co_u32_e32 v16, vcc, v16, v24, vcc
	s_waitcnt vmcnt(1)
	v_add_co_u32_e32 v44, vcc, v44, v23
	s_waitcnt vmcnt(0)
	v_addc_co_u32_e32 v45, vcc, v45, v24, vcc
	global_load_dwordx2 v[15:16], v[15:16], off
	s_nop 0
	global_load_dwordx2 v[44:45], v[44:45], off
.LBB46_46:                              ;   in Loop: Header=BB46_5 Depth=1
	s_or_b64 exec, exec, s[8:9]
	s_waitcnt vmcnt(0)
	buffer_store_dword v44, off, s[36:39], 0 offset:84 ; 4-byte Folded Spill
	s_nop 0
	buffer_store_dword v45, off, s[36:39], 0 offset:88 ; 4-byte Folded Spill
	v_mov_b32_e32 v44, 0
	v_mov_b32_e32 v45, 0
	buffer_store_dword v44, off, s[36:39], 0 offset:64 ; 4-byte Folded Spill
	s_nop 0
	buffer_store_dword v45, off, s[36:39], 0 offset:68 ; 4-byte Folded Spill
	s_and_saveexec_b64 s[8:9], s[2:3]
	s_cbranch_execz .LBB46_3
; %bb.47:                               ;   in Loop: Header=BB46_5 Depth=1
	buffer_load_dword v17, off, s[36:39], 0 offset:32 ; 4-byte Folded Reload
	buffer_load_dword v18, off, s[36:39], 0 offset:36 ; 4-byte Folded Reload
	;; [unrolled: 1-line block ×4, first 2 shown]
	s_waitcnt vmcnt(3)
	v_add_co_u32_e32 v17, vcc, v17, v23
	s_waitcnt vmcnt(2)
	v_addc_co_u32_e32 v18, vcc, v18, v24, vcc
	s_waitcnt vmcnt(1)
	v_add_co_u32_e32 v44, vcc, v44, v23
	s_waitcnt vmcnt(0)
	v_addc_co_u32_e32 v45, vcc, v45, v24, vcc
	global_load_dwordx2 v[17:18], v[17:18], off
	s_nop 0
	global_load_dwordx2 v[44:45], v[44:45], off
	s_waitcnt vmcnt(0)
	buffer_store_dword v44, off, s[36:39], 0 offset:64 ; 4-byte Folded Spill
	s_nop 0
	buffer_store_dword v45, off, s[36:39], 0 offset:68 ; 4-byte Folded Spill
	s_branch .LBB46_3
.LBB46_48:
                                        ; implicit-def: $vgpr0_vgpr1
                                        ; kill: killed $vgpr0_vgpr1
                                        ; implicit-def: $vgpr0_vgpr1
                                        ; kill: killed $vgpr0_vgpr1
	s_branch .LBB46_50
.LBB46_49:
	s_cbranch_execnz .LBB46_81
.LBB46_50:
	v_mov_b32_e32 v0, 0
	v_mov_b32_e32 v1, 0
	buffer_store_dword v0, off, s[36:39], 0 ; 4-byte Folded Spill
	s_nop 0
	buffer_store_dword v1, off, s[36:39], 0 offset:4 ; 4-byte Folded Spill
	v_mov_b32_e32 v0, 0
	s_and_b64 vcc, exec, s[0:1]
	v_mov_b32_e32 v1, 0
	buffer_store_dword v0, off, s[36:39], 0 offset:8 ; 4-byte Folded Spill
	s_nop 0
	buffer_store_dword v1, off, s[36:39], 0 offset:12 ; 4-byte Folded Spill
	s_cbranch_vccnz .LBB46_81
; %bb.51:
	buffer_load_dword v7, off, s[36:39], 0 offset:76 ; 4-byte Folded Reload
	s_load_dword s7, s[4:5], 0x44
	s_add_u32 s2, s4, 64
	s_addc_u32 s3, s5, 0
	v_mov_b32_e32 v6, s17
	v_mov_b32_e32 v11, s15
	s_waitcnt lgkmcnt(0)
	s_lshl_b32 s7, s7, 8
	s_waitcnt vmcnt(0)
	v_lshlrev_b32_e32 v0, 3, v7
	v_add_co_u32_e32 v4, vcc, s10, v0
	v_addc_co_u32_e64 v5, s[0:1], 0, 0, vcc
	buffer_store_dword v0, off, s[36:39], 0 offset:192 ; 4-byte Folded Spill
	v_mul_lo_u32 v0, s15, v4
	v_mul_lo_u32 v1, s14, v5
	v_mad_u64_u32 v[2:3], s[0:1], s14, v4, 0
	s_mul_i32 s0, s15, s7
	s_mul_hi_u32 s1, s14, s7
	v_add3_u32 v3, v3, v1, v0
	v_lshlrev_b64 v[0:1], 3, v[2:3]
	s_add_i32 s1, s1, s0
	v_add_co_u32_e32 v8, vcc, s16, v0
	v_addc_co_u32_e32 v6, vcc, v6, v1, vcc
	s_mul_i32 s0, s14, s7
	buffer_store_dword v6, off, s[36:39], 0 offset:20 ; 4-byte Folded Spill
	s_lshl_b64 s[8:9], s[0:1], 3
	v_mov_b32_e32 v6, s19
	v_add_co_u32_e32 v0, vcc, s18, v0
	buffer_store_dword v0, off, s[36:39], 0 offset:24 ; 4-byte Folded Spill
	v_addc_co_u32_e32 v0, vcc, v6, v1, vcc
	s_add_u32 s24, s10, 0xff
	buffer_store_dword v0, off, s[36:39], 0 offset:28 ; 4-byte Folded Spill
	s_addc_u32 s25, 0, 0
	v_lshlrev_b32_e32 v0, 6, v7
	s_lshl_b64 s[0:1], s[10:11], 3
	v_mov_b32_e32 v1, s1
	v_add_co_u32_e32 v6, vcc, s0, v0
	v_addc_co_u32_e32 v7, vcc, 0, v1, vcc
	buffer_store_dword v8, off, s[36:39], 0 offset:16 ; 4-byte Folded Spill
	v_add_co_u32_e32 v8, vcc, 8, v6
	v_addc_co_u32_e32 v9, vcc, 0, v7, vcc
	v_mov_b32_e32 v0, s16
	v_mul_lo_u32 v12, s14, v9
	v_mov_b32_e32 v9, s18
	v_mov_b32_e32 v1, s17
	;; [unrolled: 1-line block ×3, first 2 shown]
	v_mad_u64_u32 v[23:24], s[0:1], s14, v8, v[0:1]
	v_mul_lo_u32 v13, s15, v8
	v_mad_u64_u32 v[25:26], s[0:1], s14, v8, v[9:10]
	v_add_co_u32_e32 v8, vcc, 16, v6
	v_addc_co_u32_e32 v14, vcc, 0, v7, vcc
	v_add_co_u32_e32 v2, vcc, s14, v2
	v_addc_co_u32_e32 v3, vcc, v3, v11, vcc
	v_mul_lo_u32 v15, s15, v8
	v_mad_u64_u32 v[27:28], s[0:1], s14, v8, v[0:1]
	v_mad_u64_u32 v[29:30], s[0:1], s14, v8, v[9:10]
	v_add_co_u32_e32 v8, vcc, 24, v6
	v_addc_co_u32_e32 v11, vcc, 0, v7, vcc
	v_add3_u32 v24, v13, v24, v12
	v_add3_u32 v26, v13, v26, v12
	v_mul_lo_u32 v11, s14, v11
	v_mul_lo_u32 v12, s15, v8
	v_mad_u64_u32 v[31:32], s[0:1], s14, v8, v[0:1]
	v_mad_u64_u32 v[33:34], s[0:1], s14, v8, v[9:10]
	v_add_co_u32_e32 v8, vcc, 32, v6
	v_mul_lo_u32 v14, s14, v14
	v_addc_co_u32_e32 v13, vcc, 0, v7, vcc
	v_mul_lo_u32 v16, s15, v8
	v_mad_u64_u32 v[35:36], s[0:1], s14, v8, v[0:1]
	v_mad_u64_u32 v[37:38], s[0:1], s14, v8, v[9:10]
	v_add_co_u32_e32 v8, vcc, 40, v6
	v_add3_u32 v32, v12, v32, v11
	v_add3_u32 v34, v12, v34, v11
	v_addc_co_u32_e32 v11, vcc, 0, v7, vcc
	v_mul_lo_u32 v12, s15, v8
	v_mad_u64_u32 v[39:40], s[0:1], s14, v8, v[0:1]
	v_mad_u64_u32 v[41:42], s[0:1], s14, v8, v[9:10]
	v_add_co_u32_e32 v8, vcc, 48, v6
	v_add3_u32 v28, v15, v28, v14
	v_add3_u32 v30, v15, v30, v14
	v_addc_co_u32_e32 v14, vcc, 0, v7, vcc
	v_add_co_u32_e32 v6, vcc, 56, v6
	v_addc_co_u32_e32 v7, vcc, 0, v7, vcc
	v_mad_u64_u32 v[43:44], s[0:1], s14, v8, v[0:1]
	v_mad_u64_u32 v[47:48], s[0:1], s14, v6, v[0:1]
	v_add_co_u32_e32 v0, vcc, 7, v4
	v_addc_co_u32_e32 v1, vcc, 0, v5, vcc
	v_mul_lo_u32 v15, s15, v8
	v_mad_u64_u32 v[45:46], s[0:1], s14, v8, v[9:10]
	v_mad_u64_u32 v[49:50], s[0:1], s14, v6, v[9:10]
	v_mul_lo_u32 v8, s14, v1
	v_mul_lo_u32 v9, s15, v0
	v_mad_u64_u32 v[0:1], s[0:1], s14, v0, 0
	v_mul_lo_u32 v7, s14, v7
	v_mul_lo_u32 v6, s15, v6
	v_add3_u32 v1, v1, v8, v9
	v_lshlrev_b64 v[0:1], 3, v[0:1]
	v_mov_b32_e32 v8, s19
	v_add3_u32 v48, v6, v48, v7
	v_add3_u32 v50, v6, v50, v7
	v_mov_b32_e32 v6, s17
	v_add_co_u32_e32 v7, vcc, s16, v0
	v_addc_co_u32_e32 v6, vcc, v6, v1, vcc
	buffer_store_dword v6, off, s[36:39], 0 offset:36 ; 4-byte Folded Spill
	v_add_co_u32_e32 v6, vcc, 6, v4
	buffer_store_dword v7, off, s[36:39], 0 offset:32 ; 4-byte Folded Spill
	v_addc_co_u32_e32 v7, vcc, 0, v5, vcc
	v_mul_lo_u32 v9, s14, v7
	v_mul_lo_u32 v10, s15, v6
	v_mad_u64_u32 v[6:7], s[0:1], s14, v6, 0
	v_add_co_u32_e32 v0, vcc, s18, v0
	buffer_store_dword v0, off, s[36:39], 0 offset:40 ; 4-byte Folded Spill
	v_addc_co_u32_e32 v0, vcc, v8, v1, vcc
	v_add3_u32 v7, v7, v9, v10
	buffer_store_dword v0, off, s[36:39], 0 offset:44 ; 4-byte Folded Spill
	v_lshlrev_b64 v[0:1], 3, v[6:7]
	v_mov_b32_e32 v6, s17
	v_add_co_u32_e32 v7, vcc, s16, v0
	v_addc_co_u32_e32 v6, vcc, v6, v1, vcc
	buffer_store_dword v6, off, s[36:39], 0 offset:52 ; 4-byte Folded Spill
	v_add_co_u32_e32 v6, vcc, 5, v4
	buffer_store_dword v7, off, s[36:39], 0 offset:48 ; 4-byte Folded Spill
	v_addc_co_u32_e32 v7, vcc, 0, v5, vcc
	v_mul_lo_u32 v9, s14, v7
	v_mul_lo_u32 v10, s15, v6
	v_mad_u64_u32 v[6:7], s[0:1], s14, v6, 0
	v_add_co_u32_e32 v0, vcc, s18, v0
	buffer_store_dword v0, off, s[36:39], 0 offset:56 ; 4-byte Folded Spill
	v_addc_co_u32_e32 v0, vcc, v8, v1, vcc
	v_add3_u32 v7, v7, v9, v10
	buffer_store_dword v0, off, s[36:39], 0 offset:60 ; 4-byte Folded Spill
	v_lshlrev_b64 v[0:1], 3, v[6:7]
	;; [unrolled: 16-line block ×3, first 2 shown]
	v_mov_b32_e32 v6, s17
	v_add_co_u32_e32 v7, vcc, s16, v0
	v_addc_co_u32_e32 v6, vcc, v6, v1, vcc
	buffer_store_dword v6, off, s[36:39], 0 offset:100 ; 4-byte Folded Spill
	v_mov_b32_e32 v6, s19
	v_add_co_u32_e32 v0, vcc, s18, v0
	buffer_store_dword v0, off, s[36:39], 0 offset:104 ; 4-byte Folded Spill
	v_addc_co_u32_e32 v0, vcc, v6, v1, vcc
	buffer_store_dword v0, off, s[36:39], 0 offset:108 ; 4-byte Folded Spill
	v_add_co_u32_e32 v0, vcc, 3, v4
	v_addc_co_u32_e32 v1, vcc, 0, v5, vcc
	buffer_store_dword v7, off, s[36:39], 0 offset:96 ; 4-byte Folded Spill
	v_mul_lo_u32 v6, s14, v1
	v_mul_lo_u32 v7, s15, v0
	v_mad_u64_u32 v[0:1], s[0:1], s14, v0, 0
	v_mul_lo_u32 v13, s14, v13
	v_mul_lo_u32 v11, s14, v11
	v_add3_u32 v1, v1, v6, v7
	v_lshlrev_b64 v[0:1], 3, v[0:1]
	v_mov_b32_e32 v6, s17
	v_add_co_u32_e32 v7, vcc, s16, v0
	v_addc_co_u32_e32 v6, vcc, v6, v1, vcc
	buffer_store_dword v6, off, s[36:39], 0 offset:116 ; 4-byte Folded Spill
	v_mov_b32_e32 v6, s19
	v_add_co_u32_e32 v0, vcc, s18, v0
	buffer_store_dword v0, off, s[36:39], 0 offset:120 ; 4-byte Folded Spill
	v_addc_co_u32_e32 v0, vcc, v6, v1, vcc
	buffer_store_dword v0, off, s[36:39], 0 offset:124 ; 4-byte Folded Spill
	v_add_co_u32_e32 v0, vcc, 2, v4
	v_addc_co_u32_e32 v1, vcc, 0, v5, vcc
	v_mul_lo_u32 v4, s14, v1
	v_mul_lo_u32 v5, s15, v0
	v_mad_u64_u32 v[0:1], s[0:1], s14, v0, 0
	v_mul_lo_u32 v14, s14, v14
	buffer_store_dword v7, off, s[36:39], 0 offset:112 ; 4-byte Folded Spill
	v_add3_u32 v1, v1, v4, v5
	v_lshlrev_b64 v[0:1], 3, v[0:1]
	v_mov_b32_e32 v4, s17
	v_add_co_u32_e32 v5, vcc, s16, v0
	v_addc_co_u32_e32 v4, vcc, v4, v1, vcc
	buffer_store_dword v4, off, s[36:39], 0 offset:132 ; 4-byte Folded Spill
	v_mov_b32_e32 v4, s19
	v_add_co_u32_e32 v0, vcc, s18, v0
	buffer_store_dword v0, off, s[36:39], 0 offset:136 ; 4-byte Folded Spill
	v_addc_co_u32_e32 v0, vcc, v4, v1, vcc
	buffer_store_dword v0, off, s[36:39], 0 offset:140 ; 4-byte Folded Spill
	v_lshlrev_b64 v[0:1], 3, v[2:3]
	v_mov_b32_e32 v2, s17
	v_add_co_u32_e32 v3, vcc, s16, v0
	v_addc_co_u32_e32 v2, vcc, v2, v1, vcc
	buffer_store_dword v2, off, s[36:39], 0 offset:148 ; 4-byte Folded Spill
	v_mov_b32_e32 v2, s19
	v_add_co_u32_e32 v0, vcc, s18, v0
	buffer_store_dword v0, off, s[36:39], 0 offset:152 ; 4-byte Folded Spill
	v_addc_co_u32_e32 v0, vcc, v2, v1, vcc
	buffer_store_dword v0, off, s[36:39], 0 offset:156 ; 4-byte Folded Spill
	buffer_load_dword v0, off, s[36:39], 0 offset:72 ; 4-byte Folded Reload
	v_mov_b32_e32 v2, 0
	v_mov_b32_e32 v1, v2
	buffer_store_dword v5, off, s[36:39], 0 offset:128 ; 4-byte Folded Spill
	buffer_store_dword v3, off, s[36:39], 0 offset:144 ; 4-byte Folded Spill
	v_add3_u32 v36, v16, v36, v13
	v_add3_u32 v38, v16, v38, v13
	;; [unrolled: 1-line block ×6, first 2 shown]
	s_waitcnt vmcnt(2)
	v_add_u32_e32 v0, s33, v0
	v_lshlrev_b64 v[51:52], 3, v[0:1]
	v_mbcnt_lo_u32_b32 v0, -1, 0
	v_mbcnt_hi_u32_b32 v0, -1, v0
	v_lshlrev_b32_e32 v0, 2, v0
	v_and_b32_e32 v63, 0x100, v0
	v_mov_b32_e32 v0, 0
	v_mov_b32_e32 v1, 0
	buffer_store_dword v0, off, s[36:39], 0 offset:8 ; 4-byte Folded Spill
	s_nop 0
	buffer_store_dword v1, off, s[36:39], 0 offset:12 ; 4-byte Folded Spill
	v_mov_b32_e32 v0, 0
	v_mov_b32_e32 v1, 0
	buffer_store_dword v0, off, s[36:39], 0 ; 4-byte Folded Spill
	s_nop 0
	buffer_store_dword v1, off, s[36:39], 0 offset:4 ; 4-byte Folded Spill
	s_branch .LBB46_55
.LBB46_52:                              ;   in Loop: Header=BB46_55 Depth=1
	s_or_b64 exec, exec, s[16:17]
.LBB46_53:                              ;   in Loop: Header=BB46_55 Depth=1
	s_or_b64 exec, exec, s[0:1]
	buffer_load_dword v0, off, s[36:39], 0 offset:24 ; 4-byte Folded Reload
	buffer_load_dword v1, off, s[36:39], 0 offset:28 ; 4-byte Folded Reload
	s_waitcnt vmcnt(3)
	ds_bpermute_b32 v17, v63, v5
	ds_bpermute_b32 v18, v63, v6
	ds_bpermute_b32 v19, v63, v5 offset:4
	ds_bpermute_b32 v20, v63, v6 offset:4
	s_waitcnt vmcnt(1)
	v_add_co_u32_e32 v0, vcc, v0, v51
	s_waitcnt vmcnt(0)
	v_addc_co_u32_e32 v1, vcc, v1, v52, vcc
	global_load_dwordx2 v[11:12], v[0:1], off
	s_waitcnt vmcnt(0) lgkmcnt(2)
	v_add_f64 v[11:12], v[11:12], -v[17:18]
	buffer_load_dword v0, off, s[36:39], 0 offset:16 ; 4-byte Folded Reload
	buffer_load_dword v1, off, s[36:39], 0 offset:20 ; 4-byte Folded Reload
	ds_bpermute_b32 v17, v63, v3
	ds_bpermute_b32 v18, v63, v4
	s_waitcnt vmcnt(1)
	v_add_co_u32_e32 v0, vcc, v0, v51
	s_waitcnt vmcnt(0)
	v_addc_co_u32_e32 v1, vcc, v1, v52, vcc
	global_load_dwordx2 v[9:10], v[0:1], off
	v_add_co_u32_e32 v0, vcc, v25, v51
	v_addc_co_u32_e32 v1, vcc, v26, v52, vcc
	global_load_dwordx2 v[13:14], v[0:1], off
	v_add_co_u32_e32 v0, vcc, v23, v51
	v_addc_co_u32_e32 v1, vcc, v24, v52, vcc
	v_add_co_u32_e32 v7, vcc, v29, v51
	v_addc_co_u32_e32 v8, vcc, v30, v52, vcc
	global_load_dwordx2 v[0:1], v[0:1], off
	s_nop 0
	global_load_dwordx2 v[15:16], v[7:8], off
	v_add_co_u32_e32 v7, vcc, v27, v51
	v_addc_co_u32_e32 v8, vcc, v28, v52, vcc
	global_load_dwordx2 v[7:8], v[7:8], off
	s_nop 0
	buffer_load_dword v21, off, s[36:39], 0 offset:8 ; 4-byte Folded Reload
	buffer_load_dword v22, off, s[36:39], 0 offset:12 ; 4-byte Folded Reload
	s_waitcnt vmcnt(6)
	v_mul_f64 v[11:12], v[9:10], v[11:12]
	s_waitcnt vmcnt(5) lgkmcnt(2)
	v_add_f64 v[13:14], v[13:14], -v[19:20]
	s_waitcnt vmcnt(4)
	v_mul_f64 v[13:14], v[0:1], v[13:14]
	s_waitcnt vmcnt(0) lgkmcnt(0)
	v_fma_f64 v[11:12], v[11:12], v[17:18], v[21:22]
	v_add_co_u32_e32 v17, vcc, v33, v51
	v_addc_co_u32_e32 v18, vcc, v34, v52, vcc
	global_load_dwordx2 v[17:18], v[17:18], off
	ds_bpermute_b32 v21, v63, v5 offset:8
	ds_bpermute_b32 v22, v63, v6 offset:8
	v_add_co_u32_e32 v19, vcc, v31, v51
	v_addc_co_u32_e32 v20, vcc, v32, v52, vcc
	s_waitcnt lgkmcnt(0)
	v_add_f64 v[15:16], v[15:16], -v[21:22]
	global_load_dwordx2 v[19:20], v[19:20], off
	ds_bpermute_b32 v21, v63, v3 offset:4
	ds_bpermute_b32 v22, v63, v4 offset:4
	s_waitcnt lgkmcnt(0)
	v_fma_f64 v[11:12], v[13:14], v[21:22], v[11:12]
	v_mul_f64 v[15:16], v[7:8], v[15:16]
	ds_bpermute_b32 v13, v63, v3 offset:8
	ds_bpermute_b32 v14, v63, v4 offset:8
	v_add_co_u32_e32 v21, vcc, v37, v51
	v_addc_co_u32_e32 v22, vcc, v38, v52, vcc
	global_load_dwordx2 v[21:22], v[21:22], off
	s_waitcnt lgkmcnt(0)
	v_fma_f64 v[11:12], v[15:16], v[13:14], v[11:12]
	v_add_co_u32_e32 v13, vcc, v41, v51
	v_addc_co_u32_e32 v14, vcc, v42, v52, vcc
	global_load_dwordx2 v[13:14], v[13:14], off
	s_nop 0
	buffer_load_dword v53, off, s[36:39], 0 ; 4-byte Folded Reload
	buffer_load_dword v54, off, s[36:39], 0 offset:4 ; 4-byte Folded Reload
	ds_bpermute_b32 v15, v63, v5 offset:12
	ds_bpermute_b32 v16, v63, v6 offset:12
	s_waitcnt vmcnt(5) lgkmcnt(0)
	v_add_f64 v[15:16], v[17:18], -v[15:16]
	ds_bpermute_b32 v17, v63, v3 offset:12
	ds_bpermute_b32 v18, v63, v4 offset:12
	s_waitcnt vmcnt(4)
	v_mul_f64 v[15:16], v[19:20], v[15:16]
	s_waitcnt lgkmcnt(0)
	v_fma_f64 v[11:12], v[15:16], v[17:18], v[11:12]
	ds_bpermute_b32 v15, v63, v5 offset:16
	ds_bpermute_b32 v16, v63, v6 offset:16
	v_add_co_u32_e32 v17, vcc, v35, v51
	v_addc_co_u32_e32 v18, vcc, v36, v52, vcc
	s_waitcnt vmcnt(3) lgkmcnt(0)
	v_add_f64 v[15:16], v[21:22], -v[15:16]
	v_add_co_u32_e32 v21, vcc, v45, v51
	v_addc_co_u32_e32 v22, vcc, v46, v52, vcc
	global_load_dwordx2 v[17:18], v[17:18], off
	s_nop 0
	global_load_dwordx2 v[21:22], v[21:22], off
	s_waitcnt vmcnt(2)
	v_add_f64 v[9:10], v[53:54], v[9:10]
	ds_bpermute_b32 v53, v63, v5 offset:20
	ds_bpermute_b32 v54, v63, v6 offset:20
	s_waitcnt lgkmcnt(0)
	v_add_f64 v[13:14], v[13:14], -v[53:54]
	v_add_co_u32_e32 v53, vcc, v39, v51
	v_addc_co_u32_e32 v54, vcc, v40, v52, vcc
	global_load_dwordx2 v[53:54], v[53:54], off
	v_add_f64 v[0:1], v[9:10], v[0:1]
	v_add_co_u32_e32 v9, vcc, v43, v51
	v_addc_co_u32_e32 v10, vcc, v44, v52, vcc
	global_load_dwordx2 v[9:10], v[9:10], off
	v_add_f64 v[0:1], v[0:1], v[7:8]
	;; [unrolled: 4-line block ×3, first 2 shown]
	ds_bpermute_b32 v19, v63, v5 offset:24
	ds_bpermute_b32 v20, v63, v6 offset:24
	ds_bpermute_b32 v5, v63, v5 offset:28
	ds_bpermute_b32 v6, v63, v6 offset:28
	s_waitcnt vmcnt(4)
	v_mul_f64 v[15:16], v[17:18], v[15:16]
	s_waitcnt vmcnt(3) lgkmcnt(2)
	v_add_f64 v[19:20], v[21:22], -v[19:20]
	ds_bpermute_b32 v21, v63, v3 offset:16
	ds_bpermute_b32 v22, v63, v4 offset:16
	v_add_f64 v[0:1], v[0:1], v[17:18]
	ds_bpermute_b32 v17, v63, v3 offset:20
	ds_bpermute_b32 v18, v63, v4 offset:20
	s_waitcnt lgkmcnt(2)
	v_fma_f64 v[11:12], v[15:16], v[21:22], v[11:12]
	v_add_co_u32_e32 v15, vcc, v47, v51
	v_addc_co_u32_e32 v16, vcc, v48, v52, vcc
	ds_bpermute_b32 v21, v63, v3 offset:28
	ds_bpermute_b32 v22, v63, v4 offset:28
	s_waitcnt vmcnt(2)
	v_mul_f64 v[13:14], v[53:54], v[13:14]
	v_add_f64 v[0:1], v[0:1], v[53:54]
	s_waitcnt vmcnt(1)
	v_mul_f64 v[19:20], v[9:10], v[19:20]
	s_waitcnt lgkmcnt(2)
	v_fma_f64 v[11:12], v[13:14], v[17:18], v[11:12]
	global_load_dwordx2 v[17:18], v[15:16], off
	ds_bpermute_b32 v13, v63, v3 offset:24
	ds_bpermute_b32 v14, v63, v4 offset:24
	v_add_f64 v[0:1], v[0:1], v[9:10]
	s_waitcnt vmcnt(1)
	v_add_f64 v[5:6], v[7:8], -v[5:6]
	s_waitcnt lgkmcnt(0)
	v_fma_f64 v[3:4], v[19:20], v[13:14], v[11:12]
	s_waitcnt vmcnt(0)
	v_mul_f64 v[5:6], v[17:18], v[5:6]
	v_mul_f64 v[5:6], v[5:6], v[21:22]
.LBB46_54:                              ;   in Loop: Header=BB46_55 Depth=1
	v_add_f64 v[3:4], v[3:4], v[5:6]
	v_add_f64 v[0:1], v[0:1], v[17:18]
	s_add_u32 s10, s10, s7
	s_addc_u32 s11, s11, 0
	s_add_u32 s24, s24, s7
	s_addc_u32 s25, s25, 0
	buffer_store_dword v3, off, s[36:39], 0 offset:8 ; 4-byte Folded Spill
	s_nop 0
	buffer_store_dword v4, off, s[36:39], 0 offset:12 ; 4-byte Folded Spill
	buffer_store_dword v0, off, s[36:39], 0 ; 4-byte Folded Spill
	s_nop 0
	buffer_store_dword v1, off, s[36:39], 0 offset:4 ; 4-byte Folded Spill
	buffer_load_dword v0, off, s[36:39], 0 offset:16 ; 4-byte Folded Reload
	s_nop 0
	buffer_load_dword v1, off, s[36:39], 0 offset:20 ; 4-byte Folded Reload
	s_waitcnt vmcnt(1)
	v_add_co_u32_e32 v0, vcc, s8, v0
	buffer_store_dword v0, off, s[36:39], 0 offset:16 ; 4-byte Folded Spill
	v_mov_b32_e32 v0, s9
	s_waitcnt vmcnt(1)
	v_addc_co_u32_e32 v1, vcc, v1, v0, vcc
	buffer_store_dword v1, off, s[36:39], 0 offset:20 ; 4-byte Folded Spill
	buffer_load_dword v1, off, s[36:39], 0 offset:24 ; 4-byte Folded Reload
	s_waitcnt vmcnt(0)
	v_add_co_u32_e32 v1, vcc, s8, v1
	buffer_store_dword v1, off, s[36:39], 0 offset:24 ; 4-byte Folded Spill
	buffer_load_dword v1, off, s[36:39], 0 offset:28 ; 4-byte Folded Reload
	s_waitcnt vmcnt(0)
	v_addc_co_u32_e32 v1, vcc, v1, v0, vcc
	buffer_store_dword v1, off, s[36:39], 0 offset:28 ; 4-byte Folded Spill
	buffer_load_dword v1, off, s[36:39], 0 offset:32 ; 4-byte Folded Reload
	v_add_co_u32_e32 v23, vcc, s8, v23
	v_addc_co_u32_e32 v24, vcc, v24, v0, vcc
	v_add_co_u32_e32 v27, vcc, s8, v27
	v_addc_co_u32_e32 v28, vcc, v28, v0, vcc
	;; [unrolled: 2-line block ×14, first 2 shown]
	s_waitcnt vmcnt(0)
	v_add_co_u32_e32 v1, vcc, s8, v1
	buffer_store_dword v1, off, s[36:39], 0 offset:32 ; 4-byte Folded Spill
	buffer_load_dword v1, off, s[36:39], 0 offset:36 ; 4-byte Folded Reload
	s_waitcnt vmcnt(0)
	v_addc_co_u32_e32 v1, vcc, v1, v0, vcc
	buffer_store_dword v1, off, s[36:39], 0 offset:36 ; 4-byte Folded Spill
	buffer_load_dword v1, off, s[36:39], 0 offset:40 ; 4-byte Folded Reload
	s_waitcnt vmcnt(0)
	v_add_co_u32_e32 v1, vcc, s8, v1
	buffer_store_dword v1, off, s[36:39], 0 offset:40 ; 4-byte Folded Spill
	buffer_load_dword v1, off, s[36:39], 0 offset:44 ; 4-byte Folded Reload
	s_waitcnt vmcnt(0)
	v_addc_co_u32_e32 v1, vcc, v1, v0, vcc
	buffer_store_dword v1, off, s[36:39], 0 offset:44 ; 4-byte Folded Spill
	buffer_load_dword v1, off, s[36:39], 0 offset:48 ; 4-byte Folded Reload
	;; [unrolled: 8-line block ×13, first 2 shown]
	s_waitcnt vmcnt(0)
	v_add_co_u32_e32 v1, vcc, s8, v1
	buffer_store_dword v1, off, s[36:39], 0 offset:152 ; 4-byte Folded Spill
	buffer_load_dword v1, off, s[36:39], 0 offset:156 ; 4-byte Folded Reload
	s_waitcnt vmcnt(0)
	v_addc_co_u32_e32 v1, vcc, v1, v0, vcc
	buffer_store_dword v1, off, s[36:39], 0 offset:156 ; 4-byte Folded Spill
	v_mov_b32_e32 v0, s12
	v_mov_b32_e32 v1, s13
	v_cmp_ge_i64_e32 vcc, s[10:11], v[0:1]
	s_cbranch_vccnz .LBB46_81
.LBB46_55:                              ; =>This Inner Loop Header: Depth=1
	v_mov_b32_e32 v0, s12
	v_mov_b32_e32 v1, s13
	v_cmp_ge_i64_e32 vcc, s[24:25], v[0:1]
	buffer_load_dword v1, off, s[36:39], 0 offset:192 ; 4-byte Folded Reload
	v_mov_b32_e32 v0, s25
	s_and_b64 vcc, exec, vcc
                                        ; implicit-def: $vgpr17_vgpr18
                                        ; implicit-def: $vgpr5_vgpr6
                                        ; implicit-def: $vgpr3_vgpr4
	s_waitcnt vmcnt(0)
	v_add_co_u32_e64 v61, s[0:1], s24, v1
	v_addc_co_u32_e64 v62, s[0:1], 0, v0, s[0:1]
	s_mov_b64 s[0:1], -1
                                        ; implicit-def: $vgpr0_vgpr1
	s_cbranch_vccz .LBB46_77
; %bb.56:                               ;   in Loop: Header=BB46_55 Depth=1
	v_mov_b32_e32 v0, 0
	v_mov_b32_e32 v1, 0
	s_load_dword s0, s[2:3], 0xc
	buffer_store_dword v0, off, s[36:39], 0 offset:160 ; 4-byte Folded Spill
	s_nop 0
	buffer_store_dword v1, off, s[36:39], 0 offset:164 ; 4-byte Folded Spill
	buffer_load_dword v0, off, s[36:39], 0 offset:72 ; 4-byte Folded Reload
	s_nop 0
	buffer_load_dword v1, off, s[36:39], 0 offset:76 ; 4-byte Folded Reload
	v_mov_b32_e32 v55, 0
	v_mov_b32_e32 v53, 0
	s_waitcnt lgkmcnt(0)
	s_and_b32 s0, s0, 0xffff
	v_mov_b32_e32 v56, 0
	v_mov_b32_e32 v54, 0
	s_waitcnt vmcnt(0)
	v_mad_u32_u24 v0, v1, s0, v0
	v_and_b32_e32 v0, 63, v0
	v_cmp_gt_u32_e32 vcc, 8, v0
	s_and_saveexec_b64 s[0:1], vcc
	s_cbranch_execz .LBB46_60
; %bb.57:                               ;   in Loop: Header=BB46_55 Depth=1
	v_add_co_u32_e32 v0, vcc, v61, v0
	v_addc_co_u32_e32 v1, vcc, 0, v62, vcc
	v_add_co_u32_e32 v0, vcc, 0xffffff01, v0
	v_addc_co_u32_e32 v1, vcc, -1, v1, vcc
	v_cmp_gt_i64_e32 vcc, s[12:13], v[0:1]
	v_mov_b32_e32 v53, 0
	v_mov_b32_e32 v55, 0
	;; [unrolled: 1-line block ×4, first 2 shown]
	s_and_saveexec_b64 s[16:17], vcc
	s_cbranch_execz .LBB46_59
; %bb.58:                               ;   in Loop: Header=BB46_55 Depth=1
	v_lshlrev_b64 v[0:1], 3, v[0:1]
	v_mov_b32_e32 v4, s23
	v_add_co_u32_e32 v3, vcc, s22, v0
	v_addc_co_u32_e32 v4, vcc, v4, v1, vcc
	v_mov_b32_e32 v5, s21
	v_add_co_u32_e32 v0, vcc, s20, v0
	v_addc_co_u32_e32 v1, vcc, v5, v1, vcc
	global_load_dwordx2 v[53:54], v[0:1], off
	global_load_dwordx2 v[55:56], v[3:4], off
.LBB46_59:                              ;   in Loop: Header=BB46_55 Depth=1
	s_or_b64 exec, exec, s[16:17]
.LBB46_60:                              ;   in Loop: Header=BB46_55 Depth=1
	s_or_b64 exec, exec, s[0:1]
	v_add_co_u32_e32 v0, vcc, 0xffffff01, v61
	v_addc_co_u32_e32 v1, vcc, -1, v62, vcc
	v_mov_b32_e32 v3, v2
	v_mov_b32_e32 v4, v2
	v_mov_b32_e32 v5, v2
	v_mov_b32_e32 v6, v2
	v_mov_b32_e32 v7, v2
	v_mov_b32_e32 v8, v2
	v_mov_b32_e32 v9, v2
	v_mov_b32_e32 v10, v2
	v_mov_b32_e32 v11, v2
	v_mov_b32_e32 v12, v2
	v_mov_b32_e32 v13, v2
	v_mov_b32_e32 v14, v2
	v_mov_b32_e32 v15, v2
	v_mov_b32_e32 v16, v2
	v_mov_b32_e32 v17, v2
	v_cmp_gt_i64_e32 vcc, s[12:13], v[0:1]
	v_mov_b32_e32 v18, v17
	v_mov_b32_e32 v17, v16
	;; [unrolled: 1-line block ×16, first 2 shown]
	s_and_saveexec_b64 s[0:1], vcc
	s_cbranch_execz .LBB46_62
; %bb.61:                               ;   in Loop: Header=BB46_55 Depth=1
	buffer_load_dword v0, off, s[36:39], 0 offset:16 ; 4-byte Folded Reload
	buffer_load_dword v1, off, s[36:39], 0 offset:20 ; 4-byte Folded Reload
	v_mov_b32_e32 v5, v2
	v_mov_b32_e32 v6, v2
	;; [unrolled: 1-line block ×14, first 2 shown]
	s_waitcnt vmcnt(1)
	v_add_co_u32_e32 v0, vcc, v0, v51
	s_waitcnt vmcnt(0)
	v_addc_co_u32_e32 v1, vcc, v1, v52, vcc
	global_load_dwordx2 v[3:4], v[0:1], off
	s_nop 0
	buffer_load_dword v0, off, s[36:39], 0 offset:24 ; 4-byte Folded Reload
	buffer_load_dword v1, off, s[36:39], 0 offset:28 ; 4-byte Folded Reload
	s_waitcnt vmcnt(1)
	v_add_co_u32_e32 v0, vcc, v0, v51
	s_waitcnt vmcnt(0)
	v_addc_co_u32_e32 v1, vcc, v1, v52, vcc
	global_load_dwordx2 v[0:1], v[0:1], off
	s_waitcnt vmcnt(0)
	buffer_store_dword v0, off, s[36:39], 0 offset:160 ; 4-byte Folded Spill
	s_nop 0
	buffer_store_dword v1, off, s[36:39], 0 offset:164 ; 4-byte Folded Spill
.LBB46_62:                              ;   in Loop: Header=BB46_55 Depth=1
	s_or_b64 exec, exec, s[0:1]
	v_add_co_u32_e32 v0, vcc, 0xffffff02, v61
	v_addc_co_u32_e32 v1, vcc, -1, v62, vcc
	v_cmp_gt_i64_e32 vcc, s[12:13], v[0:1]
	v_mov_b32_e32 v0, 0
	v_mov_b32_e32 v59, 0
	;; [unrolled: 1-line block ×4, first 2 shown]
	buffer_store_dword v0, off, s[36:39], 0 offset:184 ; 4-byte Folded Spill
	s_nop 0
	buffer_store_dword v1, off, s[36:39], 0 offset:188 ; 4-byte Folded Spill
	s_and_saveexec_b64 s[0:1], vcc
	s_cbranch_execz .LBB46_64
; %bb.63:                               ;   in Loop: Header=BB46_55 Depth=1
	buffer_load_dword v0, off, s[36:39], 0 offset:144 ; 4-byte Folded Reload
	s_waitcnt vmcnt(0)
	v_add_co_u32_e32 v5, vcc, v0, v51
	buffer_load_dword v0, off, s[36:39], 0 offset:148 ; 4-byte Folded Reload
	s_waitcnt vmcnt(0)
	v_addc_co_u32_e32 v6, vcc, v0, v52, vcc
	buffer_load_dword v0, off, s[36:39], 0 offset:152 ; 4-byte Folded Reload
	s_waitcnt vmcnt(0)
	v_add_co_u32_e32 v19, vcc, v0, v51
	buffer_load_dword v0, off, s[36:39], 0 offset:156 ; 4-byte Folded Reload
	s_waitcnt vmcnt(0)
	v_addc_co_u32_e32 v20, vcc, v0, v52, vcc
	global_load_dwordx2 v[5:6], v[5:6], off
	s_nop 0
	global_load_dwordx2 v[59:60], v[19:20], off
.LBB46_64:                              ;   in Loop: Header=BB46_55 Depth=1
	s_or_b64 exec, exec, s[0:1]
	v_add_co_u32_e32 v19, vcc, 0xffffff03, v61
	v_addc_co_u32_e32 v20, vcc, -1, v62, vcc
	v_cmp_gt_i64_e32 vcc, s[12:13], v[19:20]
	s_and_saveexec_b64 s[0:1], vcc
	s_cbranch_execz .LBB46_66
; %bb.65:                               ;   in Loop: Header=BB46_55 Depth=1
	buffer_load_dword v0, off, s[36:39], 0 offset:128 ; 4-byte Folded Reload
	buffer_load_dword v1, off, s[36:39], 0 offset:132 ; 4-byte Folded Reload
	s_waitcnt vmcnt(1)
	v_add_co_u32_e32 v0, vcc, v0, v51
	s_waitcnt vmcnt(0)
	v_addc_co_u32_e32 v1, vcc, v1, v52, vcc
	global_load_dwordx2 v[7:8], v[0:1], off
	s_nop 0
	buffer_load_dword v0, off, s[36:39], 0 offset:136 ; 4-byte Folded Reload
	buffer_load_dword v1, off, s[36:39], 0 offset:140 ; 4-byte Folded Reload
	s_waitcnt vmcnt(1)
	v_add_co_u32_e32 v0, vcc, v0, v51
	s_waitcnt vmcnt(0)
	v_addc_co_u32_e32 v1, vcc, v1, v52, vcc
	global_load_dwordx2 v[0:1], v[0:1], off
	s_waitcnt vmcnt(0)
	buffer_store_dword v0, off, s[36:39], 0 offset:184 ; 4-byte Folded Spill
	s_nop 0
	buffer_store_dword v1, off, s[36:39], 0 offset:188 ; 4-byte Folded Spill
.LBB46_66:                              ;   in Loop: Header=BB46_55 Depth=1
	s_or_b64 exec, exec, s[0:1]
	v_add_co_u32_e32 v19, vcc, 0xffffff04, v61
	v_addc_co_u32_e32 v20, vcc, -1, v62, vcc
	v_cmp_gt_i64_e32 vcc, s[12:13], v[19:20]
	v_mov_b32_e32 v0, 0
	v_mov_b32_e32 v57, 0
	;; [unrolled: 1-line block ×4, first 2 shown]
	buffer_store_dword v0, off, s[36:39], 0 offset:176 ; 4-byte Folded Spill
	s_nop 0
	buffer_store_dword v1, off, s[36:39], 0 offset:180 ; 4-byte Folded Spill
	s_and_saveexec_b64 s[0:1], vcc
	s_cbranch_execz .LBB46_68
; %bb.67:                               ;   in Loop: Header=BB46_55 Depth=1
	buffer_load_dword v0, off, s[36:39], 0 offset:112 ; 4-byte Folded Reload
	s_waitcnt vmcnt(0)
	v_add_co_u32_e32 v9, vcc, v0, v51
	buffer_load_dword v0, off, s[36:39], 0 offset:116 ; 4-byte Folded Reload
	s_waitcnt vmcnt(0)
	v_addc_co_u32_e32 v10, vcc, v0, v52, vcc
	buffer_load_dword v0, off, s[36:39], 0 offset:120 ; 4-byte Folded Reload
	s_waitcnt vmcnt(0)
	v_add_co_u32_e32 v21, vcc, v0, v51
	buffer_load_dword v0, off, s[36:39], 0 offset:124 ; 4-byte Folded Reload
	s_waitcnt vmcnt(0)
	v_addc_co_u32_e32 v22, vcc, v0, v52, vcc
	global_load_dwordx2 v[9:10], v[9:10], off
	s_nop 0
	global_load_dwordx2 v[57:58], v[21:22], off
.LBB46_68:                              ;   in Loop: Header=BB46_55 Depth=1
	s_or_b64 exec, exec, s[0:1]
	v_add_co_u32_e32 v21, vcc, 0xffffff05, v61
	v_addc_co_u32_e32 v22, vcc, -1, v62, vcc
	v_cmp_gt_i64_e32 vcc, s[12:13], v[21:22]
	s_and_saveexec_b64 s[0:1], vcc
	s_cbranch_execz .LBB46_70
; %bb.69:                               ;   in Loop: Header=BB46_55 Depth=1
	buffer_load_dword v0, off, s[36:39], 0 offset:96 ; 4-byte Folded Reload
	s_waitcnt vmcnt(0)
	v_add_co_u32_e32 v11, vcc, v0, v51
	buffer_load_dword v0, off, s[36:39], 0 offset:100 ; 4-byte Folded Reload
	s_waitcnt vmcnt(0)
	v_addc_co_u32_e32 v12, vcc, v0, v52, vcc
	buffer_load_dword v0, off, s[36:39], 0 offset:104 ; 4-byte Folded Reload
	s_waitcnt vmcnt(0)
	v_add_co_u32_e32 v19, vcc, v0, v51
	buffer_load_dword v0, off, s[36:39], 0 offset:108 ; 4-byte Folded Reload
	s_waitcnt vmcnt(0)
	v_addc_co_u32_e32 v20, vcc, v0, v52, vcc
	global_load_dwordx2 v[11:12], v[11:12], off
	s_nop 0
	global_load_dwordx2 v[0:1], v[19:20], off
	s_waitcnt vmcnt(0)
	buffer_store_dword v0, off, s[36:39], 0 offset:176 ; 4-byte Folded Spill
	s_nop 0
	buffer_store_dword v1, off, s[36:39], 0 offset:180 ; 4-byte Folded Spill
.LBB46_70:                              ;   in Loop: Header=BB46_55 Depth=1
	s_or_b64 exec, exec, s[0:1]
	v_add_co_u32_e32 v21, vcc, 0xffffff06, v61
	v_addc_co_u32_e32 v22, vcc, -1, v62, vcc
	v_cmp_gt_i64_e32 vcc, s[12:13], v[21:22]
	v_mov_b32_e32 v0, 0
	v_mov_b32_e32 v21, 0
	;; [unrolled: 1-line block ×4, first 2 shown]
	buffer_store_dword v0, off, s[36:39], 0 offset:168 ; 4-byte Folded Spill
	s_nop 0
	buffer_store_dword v1, off, s[36:39], 0 offset:172 ; 4-byte Folded Spill
	s_and_saveexec_b64 s[0:1], vcc
	s_cbranch_execz .LBB46_72
; %bb.71:                               ;   in Loop: Header=BB46_55 Depth=1
	buffer_load_dword v0, off, s[36:39], 0 offset:64 ; 4-byte Folded Reload
	s_waitcnt vmcnt(0)
	v_add_co_u32_e32 v13, vcc, v0, v51
	buffer_load_dword v0, off, s[36:39], 0 offset:80 ; 4-byte Folded Reload
	s_waitcnt vmcnt(0)
	v_addc_co_u32_e32 v14, vcc, v0, v52, vcc
	buffer_load_dword v0, off, s[36:39], 0 offset:84 ; 4-byte Folded Reload
	s_waitcnt vmcnt(0)
	v_add_co_u32_e32 v21, vcc, v0, v51
	buffer_load_dword v0, off, s[36:39], 0 offset:92 ; 4-byte Folded Reload
	s_waitcnt vmcnt(0)
	v_addc_co_u32_e32 v22, vcc, v0, v52, vcc
	global_load_dwordx2 v[13:14], v[13:14], off
	s_nop 0
	global_load_dwordx2 v[21:22], v[21:22], off
.LBB46_72:                              ;   in Loop: Header=BB46_55 Depth=1
	s_or_b64 exec, exec, s[0:1]
	v_add_co_u32_e32 v19, vcc, 0xffffff07, v61
	v_addc_co_u32_e32 v20, vcc, -1, v62, vcc
	v_cmp_gt_i64_e32 vcc, s[12:13], v[19:20]
	s_and_saveexec_b64 s[0:1], vcc
	s_cbranch_execz .LBB46_74
; %bb.73:                               ;   in Loop: Header=BB46_55 Depth=1
	buffer_load_dword v0, off, s[36:39], 0 offset:48 ; 4-byte Folded Reload
	s_waitcnt vmcnt(0)
	v_add_co_u32_e32 v15, vcc, v0, v51
	buffer_load_dword v0, off, s[36:39], 0 offset:52 ; 4-byte Folded Reload
	s_waitcnt vmcnt(0)
	v_addc_co_u32_e32 v16, vcc, v0, v52, vcc
	buffer_load_dword v0, off, s[36:39], 0 offset:56 ; 4-byte Folded Reload
	s_waitcnt vmcnt(0)
	v_add_co_u32_e32 v19, vcc, v0, v51
	buffer_load_dword v0, off, s[36:39], 0 offset:60 ; 4-byte Folded Reload
	s_waitcnt vmcnt(0)
	v_addc_co_u32_e32 v20, vcc, v0, v52, vcc
	global_load_dwordx2 v[15:16], v[15:16], off
	s_nop 0
	global_load_dwordx2 v[0:1], v[19:20], off
	s_waitcnt vmcnt(0)
	buffer_store_dword v0, off, s[36:39], 0 offset:168 ; 4-byte Folded Spill
	s_nop 0
	buffer_store_dword v1, off, s[36:39], 0 offset:172 ; 4-byte Folded Spill
.LBB46_74:                              ;   in Loop: Header=BB46_55 Depth=1
	s_or_b64 exec, exec, s[0:1]
	v_add_co_u32_e32 v19, vcc, 0xffffff08, v61
	v_addc_co_u32_e32 v20, vcc, -1, v62, vcc
	v_cmp_gt_i64_e32 vcc, s[12:13], v[19:20]
	v_mov_b32_e32 v0, 0
	v_mov_b32_e32 v1, 0
	s_waitcnt vmcnt(0)
	buffer_store_dword v21, off, s[36:39], 0 offset:204 ; 4-byte Folded Spill
	s_nop 0
	buffer_store_dword v22, off, s[36:39], 0 offset:208 ; 4-byte Folded Spill
	s_and_saveexec_b64 s[0:1], vcc
	s_cbranch_execz .LBB46_76
; %bb.75:                               ;   in Loop: Header=BB46_55 Depth=1
	buffer_load_dword v0, off, s[36:39], 0 offset:32 ; 4-byte Folded Reload
	s_waitcnt vmcnt(0)
	v_add_co_u32_e32 v17, vcc, v0, v51
	buffer_load_dword v0, off, s[36:39], 0 offset:36 ; 4-byte Folded Reload
	s_waitcnt vmcnt(0)
	v_addc_co_u32_e32 v18, vcc, v0, v52, vcc
	buffer_load_dword v0, off, s[36:39], 0 offset:40 ; 4-byte Folded Reload
	s_waitcnt vmcnt(0)
	v_add_co_u32_e32 v19, vcc, v0, v51
	buffer_load_dword v0, off, s[36:39], 0 offset:44 ; 4-byte Folded Reload
	s_waitcnt vmcnt(0)
	v_addc_co_u32_e32 v20, vcc, v0, v52, vcc
	global_load_dwordx2 v[17:18], v[17:18], off
	s_nop 0
	global_load_dwordx2 v[0:1], v[19:20], off
.LBB46_76:                              ;   in Loop: Header=BB46_55 Depth=1
	s_or_b64 exec, exec, s[0:1]
	s_waitcnt vmcnt(0)
	buffer_store_dword v0, off, s[36:39], 0 offset:196 ; 4-byte Folded Spill
	s_nop 0
	buffer_store_dword v1, off, s[36:39], 0 offset:200 ; 4-byte Folded Spill
	buffer_load_dword v21, off, s[36:39], 0 offset:160 ; 4-byte Folded Reload
	buffer_load_dword v22, off, s[36:39], 0 offset:164 ; 4-byte Folded Reload
	ds_bpermute_b32 v0, v63, v53
	ds_bpermute_b32 v1, v63, v54
	;; [unrolled: 1-line block ×4, first 2 shown]
	s_mov_b64 s[0:1], 0
	s_waitcnt vmcnt(0) lgkmcnt(2)
	v_add_f64 v[0:1], v[21:22], -v[0:1]
	buffer_load_dword v21, off, s[36:39], 0 offset:8 ; 4-byte Folded Reload
	buffer_load_dword v22, off, s[36:39], 0 offset:12 ; 4-byte Folded Reload
	v_mul_f64 v[0:1], v[3:4], v[0:1]
	s_waitcnt vmcnt(0) lgkmcnt(0)
	v_fma_f64 v[0:1], v[0:1], v[19:20], v[21:22]
	buffer_load_dword v19, off, s[36:39], 0 ; 4-byte Folded Reload
	buffer_load_dword v20, off, s[36:39], 0 offset:4 ; 4-byte Folded Reload
	ds_bpermute_b32 v21, v63, v53 offset:4
	ds_bpermute_b32 v22, v63, v54 offset:4
	s_waitcnt lgkmcnt(0)
	v_add_f64 v[21:22], v[59:60], -v[21:22]
	v_mul_f64 v[21:22], v[5:6], v[21:22]
	s_waitcnt vmcnt(0)
	v_add_f64 v[3:4], v[19:20], v[3:4]
	ds_bpermute_b32 v19, v63, v55 offset:4
	ds_bpermute_b32 v20, v63, v56 offset:4
	s_waitcnt lgkmcnt(0)
	v_fma_f64 v[0:1], v[21:22], v[19:20], v[0:1]
	buffer_load_dword v21, off, s[36:39], 0 offset:184 ; 4-byte Folded Reload
	buffer_load_dword v22, off, s[36:39], 0 offset:188 ; 4-byte Folded Reload
	ds_bpermute_b32 v19, v63, v53 offset:8
	ds_bpermute_b32 v20, v63, v54 offset:8
	v_add_f64 v[3:4], v[5:6], v[3:4]
	ds_bpermute_b32 v5, v63, v55 offset:8
	ds_bpermute_b32 v6, v63, v56 offset:8
	v_add_f64 v[3:4], v[7:8], v[3:4]
	v_add_f64 v[3:4], v[9:10], v[3:4]
	;; [unrolled: 1-line block ×3, first 2 shown]
	s_waitcnt vmcnt(0) lgkmcnt(2)
	v_add_f64 v[19:20], v[21:22], -v[19:20]
	v_mul_f64 v[19:20], v[7:8], v[19:20]
	ds_bpermute_b32 v7, v63, v53 offset:12
	ds_bpermute_b32 v8, v63, v54 offset:12
	s_waitcnt lgkmcnt(0)
	v_add_f64 v[7:8], v[57:58], -v[7:8]
	v_fma_f64 v[0:1], v[19:20], v[5:6], v[0:1]
	ds_bpermute_b32 v5, v63, v55 offset:12
	ds_bpermute_b32 v6, v63, v56 offset:12
	v_mul_f64 v[7:8], v[9:10], v[7:8]
	buffer_load_dword v9, off, s[36:39], 0 offset:176 ; 4-byte Folded Reload
	buffer_load_dword v10, off, s[36:39], 0 offset:180 ; 4-byte Folded Reload
	s_waitcnt lgkmcnt(0)
	v_fma_f64 v[0:1], v[7:8], v[5:6], v[0:1]
	ds_bpermute_b32 v7, v63, v53 offset:16
	ds_bpermute_b32 v8, v63, v54 offset:16
	ds_bpermute_b32 v5, v63, v55 offset:16
	ds_bpermute_b32 v6, v63, v56 offset:16
	s_waitcnt vmcnt(0) lgkmcnt(2)
	v_add_f64 v[7:8], v[9:10], -v[7:8]
	buffer_load_dword v9, off, s[36:39], 0 offset:204 ; 4-byte Folded Reload
	buffer_load_dword v10, off, s[36:39], 0 offset:208 ; 4-byte Folded Reload
	v_mul_f64 v[7:8], v[11:12], v[7:8]
	s_waitcnt lgkmcnt(0)
	v_fma_f64 v[0:1], v[7:8], v[5:6], v[0:1]
	ds_bpermute_b32 v7, v63, v53 offset:20
	ds_bpermute_b32 v8, v63, v54 offset:20
	;; [unrolled: 1-line block ×4, first 2 shown]
	s_waitcnt vmcnt(0) lgkmcnt(2)
	v_add_f64 v[7:8], v[9:10], -v[7:8]
	buffer_load_dword v9, off, s[36:39], 0 offset:168 ; 4-byte Folded Reload
	buffer_load_dword v10, off, s[36:39], 0 offset:172 ; 4-byte Folded Reload
	v_mul_f64 v[7:8], v[13:14], v[7:8]
	s_waitcnt lgkmcnt(0)
	v_fma_f64 v[0:1], v[7:8], v[5:6], v[0:1]
	ds_bpermute_b32 v7, v63, v53 offset:24
	ds_bpermute_b32 v8, v63, v54 offset:24
	v_add_f64 v[5:6], v[13:14], v[3:4]
	ds_bpermute_b32 v3, v63, v55 offset:24
	ds_bpermute_b32 v4, v63, v56 offset:24
	s_waitcnt vmcnt(0) lgkmcnt(2)
	v_add_f64 v[7:8], v[9:10], -v[7:8]
	buffer_load_dword v9, off, s[36:39], 0 offset:196 ; 4-byte Folded Reload
	buffer_load_dword v10, off, s[36:39], 0 offset:200 ; 4-byte Folded Reload
	v_mul_f64 v[7:8], v[15:16], v[7:8]
	s_waitcnt lgkmcnt(0)
	v_fma_f64 v[3:4], v[7:8], v[3:4], v[0:1]
	ds_bpermute_b32 v7, v63, v53 offset:28
	ds_bpermute_b32 v8, v63, v54 offset:28
	v_add_f64 v[0:1], v[15:16], v[5:6]
	ds_bpermute_b32 v5, v63, v55 offset:28
	ds_bpermute_b32 v6, v63, v56 offset:28
	s_waitcnt vmcnt(0) lgkmcnt(2)
	v_add_f64 v[7:8], v[9:10], -v[7:8]
	v_mul_f64 v[7:8], v[17:18], v[7:8]
	s_waitcnt lgkmcnt(0)
	v_mul_f64 v[5:6], v[7:8], v[5:6]
.LBB46_77:                              ;   in Loop: Header=BB46_55 Depth=1
	s_and_b64 vcc, exec, s[0:1]
	s_cbranch_vccz .LBB46_54
; %bb.78:                               ;   in Loop: Header=BB46_55 Depth=1
	s_load_dword s0, s[2:3], 0x0
	v_mov_b32_e32 v3, 0
	v_mov_b32_e32 v4, 0
	s_waitcnt lgkmcnt(0)
	s_cmp_lt_u32 s6, s0
	s_cselect_b32 s0, 12, 18
	s_add_u32 s0, s2, s0
	s_addc_u32 s1, s3, 0
	global_load_ushort v0, v2, s[0:1]
	buffer_load_dword v1, off, s[36:39], 0 offset:72 ; 4-byte Folded Reload
	buffer_load_dword v5, off, s[36:39], 0 offset:76 ; 4-byte Folded Reload
	s_waitcnt vmcnt(0)
	v_mad_u32_u24 v0, v5, v0, v1
	v_and_b32_e32 v0, 63, v0
	v_mov_b32_e32 v5, 0
	v_mov_b32_e32 v6, 0
	v_cmp_gt_u32_e32 vcc, 8, v0
	s_and_saveexec_b64 s[0:1], vcc
	s_cbranch_execz .LBB46_53
; %bb.79:                               ;   in Loop: Header=BB46_55 Depth=1
	v_add_co_u32_e32 v0, vcc, v61, v0
	v_addc_co_u32_e32 v1, vcc, 0, v62, vcc
	v_add_co_u32_e32 v0, vcc, 0xffffff01, v0
	v_addc_co_u32_e32 v1, vcc, -1, v1, vcc
	v_cmp_gt_i64_e32 vcc, s[12:13], v[0:1]
	v_mov_b32_e32 v5, 0
	v_mov_b32_e32 v3, 0
	;; [unrolled: 1-line block ×4, first 2 shown]
	s_and_saveexec_b64 s[16:17], vcc
	s_cbranch_execz .LBB46_52
; %bb.80:                               ;   in Loop: Header=BB46_55 Depth=1
	v_lshlrev_b64 v[0:1], 3, v[0:1]
	v_mov_b32_e32 v4, s23
	v_add_co_u32_e32 v3, vcc, s22, v0
	v_addc_co_u32_e32 v4, vcc, v4, v1, vcc
	v_mov_b32_e32 v5, s21
	v_add_co_u32_e32 v0, vcc, s20, v0
	v_addc_co_u32_e32 v1, vcc, v5, v1, vcc
	global_load_dwordx2 v[5:6], v[0:1], off
	s_nop 0
	global_load_dwordx2 v[3:4], v[3:4], off
	s_branch .LBB46_52
.LBB46_81:
	buffer_load_dword v0, off, s[36:39], 0 offset:72 ; 4-byte Folded Reload
	buffer_load_dword v2, off, s[36:39], 0 offset:76 ; 4-byte Folded Reload
	;; [unrolled: 1-line block ×4, first 2 shown]
	s_movk_i32 s0, 0x800
	s_waitcnt vmcnt(2)
	v_mad_u32_u24 v0, v2, 33, v0
	v_lshl_add_u32 v1, v0, 3, 0
	s_waitcnt vmcnt(0)
	ds_write_b64 v1, v[3:4]
	buffer_load_dword v3, off, s[36:39], 0  ; 4-byte Folded Reload
	buffer_load_dword v4, off, s[36:39], 0 offset:4 ; 4-byte Folded Reload
	v_sub_u32_e32 v6, v0, v2
	v_cmp_gt_u32_e32 vcc, s0, v6
	s_waitcnt vmcnt(0)
	ds_write_b64 v1, v[3:4] offset:8448
	s_waitcnt lgkmcnt(0)
	s_barrier
	s_and_saveexec_b64 s[0:1], vcc
	s_cbranch_execz .LBB46_97
; %bb.82:
	s_load_dwordx4 s[8:11], s[4:5], 0x30
	v_and_b32_e32 v0, 63, v6
	v_lshrrev_b32_e32 v8, 6, v6
	v_cmp_gt_u32_e64 s[0:1], 32, v0
	v_mul_u32_u24_e32 v7, 33, v0
                                        ; implicit-def: $vgpr0_vgpr1
                                        ; implicit-def: $vgpr2_vgpr3
	s_and_saveexec_b64 s[2:3], s[0:1]
	s_cbranch_execz .LBB46_84
; %bb.83:
	v_add_u32_e32 v0, v8, v7
	v_lshl_add_u32 v0, v0, 3, 0
	ds_read_b64 v[2:3], v0
	ds_read_b64 v[0:1], v0 offset:8448
.LBB46_84:
	s_or_b64 exec, exec, s[2:3]
	v_mbcnt_lo_u32_b32 v4, -1, 0
	v_mbcnt_hi_u32_b32 v15, -1, v4
	v_and_b32_e32 v4, 64, v15
	v_add_u32_e32 v16, 64, v4
	v_xor_b32_e32 v4, 16, v15
	v_cmp_lt_i32_e32 vcc, v4, v16
	v_cndmask_b32_e32 v4, v15, v4, vcc
	v_lshlrev_b32_e32 v9, 2, v4
	s_waitcnt lgkmcnt(0)
	ds_bpermute_b32 v4, v9, v2
	ds_bpermute_b32 v5, v9, v3
	;; [unrolled: 1-line block ×4, first 2 shown]
	s_mov_b32 s7, 0
	s_lshl_b64 s[4:5], s[6:7], 5
	s_waitcnt lgkmcnt(2)
	v_add_f64 v[2:3], v[2:3], v[4:5]
	v_xor_b32_e32 v4, 8, v15
	s_waitcnt lgkmcnt(0)
	v_add_f64 v[0:1], v[0:1], v[10:11]
	v_cmp_lt_i32_e32 vcc, v4, v16
	v_cndmask_b32_e32 v4, v15, v4, vcc
	v_lshlrev_b32_e32 v10, 2, v4
	s_cmp_lg_u64 s[8:9], 0
	s_cselect_b64 s[12:13], -1, 0
	ds_bpermute_b32 v4, v10, v2
	ds_bpermute_b32 v5, v10, v3
	ds_bpermute_b32 v11, v10, v0
	ds_bpermute_b32 v12, v10, v1
	s_cmp_lg_u64 s[10:11], 0
	s_cselect_b64 s[6:7], -1, 0
	s_waitcnt lgkmcnt(2)
	v_add_f64 v[2:3], v[2:3], v[4:5]
	v_xor_b32_e32 v4, 4, v15
	s_waitcnt lgkmcnt(0)
	v_add_f64 v[0:1], v[0:1], v[11:12]
	v_cmp_lt_i32_e32 vcc, v4, v16
	v_cndmask_b32_e32 v4, v15, v4, vcc
	v_lshlrev_b32_e32 v11, 2, v4
	ds_bpermute_b32 v4, v11, v2
	ds_bpermute_b32 v5, v11, v3
	;; [unrolled: 1-line block ×4, first 2 shown]
	s_waitcnt lgkmcnt(2)
	v_add_f64 v[2:3], v[2:3], v[4:5]
	v_xor_b32_e32 v4, 2, v15
	s_waitcnt lgkmcnt(0)
	v_add_f64 v[0:1], v[0:1], v[12:13]
	v_cmp_lt_i32_e32 vcc, v4, v16
	v_cndmask_b32_e32 v4, v15, v4, vcc
	v_lshlrev_b32_e32 v12, 2, v4
	ds_bpermute_b32 v4, v12, v2
	ds_bpermute_b32 v5, v12, v3
	;; [unrolled: 1-line block ×4, first 2 shown]
	s_waitcnt lgkmcnt(2)
	v_add_f64 v[2:3], v[2:3], v[4:5]
	s_waitcnt lgkmcnt(0)
	v_add_f64 v[4:5], v[0:1], v[13:14]
	v_xor_b32_e32 v0, 1, v15
	v_cmp_lt_i32_e32 vcc, v0, v16
	buffer_load_dword v16, off, s[36:39], 0 offset:72 ; 4-byte Folded Reload
	v_cndmask_b32_e32 v0, v15, v0, vcc
	v_lshlrev_b32_e32 v13, 2, v0
	ds_bpermute_b32 v0, v13, v2
	ds_bpermute_b32 v1, v13, v3
	;; [unrolled: 1-line block ×4, first 2 shown]
	s_waitcnt lgkmcnt(2)
	v_add_f64 v[0:1], v[2:3], v[0:1]
	s_waitcnt lgkmcnt(0)
	v_add_f64 v[2:3], v[4:5], v[14:15]
	v_or_b32_e32 v4, s4, v8
	v_mov_b32_e32 v5, s5
	v_cmp_gt_i64_e32 vcc, s[14:15], v[4:5]
	s_waitcnt vmcnt(0)
	v_cmp_eq_u32_e64 s[2:3], 0, v16
	s_and_b64 s[18:19], s[2:3], vcc
	s_and_saveexec_b64 s[16:17], s[18:19]
	s_cbranch_execz .LBB46_89
; %bb.85:
	v_lshlrev_b64 v[4:5], 3, v[4:5]
	s_andn2_b64 vcc, exec, s[12:13]
	s_cbranch_vccnz .LBB46_87
; %bb.86:
	v_mov_b32_e32 v15, s9
	v_add_co_u32_e32 v14, vcc, s8, v4
	v_addc_co_u32_e32 v15, vcc, v15, v5, vcc
	global_store_dwordx2 v[14:15], v[0:1], off
.LBB46_87:
	s_andn2_b64 vcc, exec, s[6:7]
	s_cbranch_vccnz .LBB46_89
; %bb.88:
	v_mov_b32_e32 v14, s11
	v_add_co_u32_e32 v4, vcc, s10, v4
	v_addc_co_u32_e32 v5, vcc, v14, v5, vcc
	global_store_dwordx2 v[4:5], v[2:3], off
.LBB46_89:
	s_or_b64 exec, exec, s[16:17]
	s_movk_i32 s16, 0x400
	v_cmp_gt_u32_e32 vcc, s16, v6
	s_and_b64 exec, exec, vcc
	s_cbranch_execz .LBB46_97
; %bb.90:
	s_and_saveexec_b64 s[16:17], s[0:1]
	s_cbranch_execz .LBB46_92
; %bb.91:
	v_add_u32_e32 v0, v8, v7
	v_lshl_add_u32 v2, v0, 3, 0
	ds_read_b64 v[0:1], v2 offset:128
	ds_read_b64 v[2:3], v2 offset:8576
.LBB46_92:
	s_or_b64 exec, exec, s[16:17]
	s_waitcnt lgkmcnt(1)
	ds_bpermute_b32 v4, v9, v0
	ds_bpermute_b32 v5, v9, v1
	s_waitcnt lgkmcnt(2)
	ds_bpermute_b32 v6, v9, v2
	ds_bpermute_b32 v7, v9, v3
	v_add_u32_e32 v9, 16, v8
	v_or_b32_e32 v9, s4, v9
	s_waitcnt lgkmcnt(2)
	v_add_f64 v[0:1], v[0:1], v[4:5]
	s_waitcnt lgkmcnt(0)
	v_add_f64 v[2:3], v[2:3], v[6:7]
	ds_bpermute_b32 v4, v10, v0
	ds_bpermute_b32 v5, v10, v1
	;; [unrolled: 1-line block ×4, first 2 shown]
	v_mov_b32_e32 v10, s5
	v_cmp_gt_i64_e32 vcc, s[14:15], v[9:10]
	s_waitcnt lgkmcnt(2)
	v_add_f64 v[0:1], v[0:1], v[4:5]
	s_and_b64 s[0:1], s[2:3], vcc
	s_waitcnt lgkmcnt(0)
	v_add_f64 v[2:3], v[2:3], v[6:7]
	ds_bpermute_b32 v4, v11, v0
	ds_bpermute_b32 v5, v11, v1
	;; [unrolled: 1-line block ×4, first 2 shown]
	s_waitcnt lgkmcnt(2)
	v_add_f64 v[0:1], v[0:1], v[4:5]
	s_waitcnt lgkmcnt(0)
	v_add_f64 v[2:3], v[2:3], v[6:7]
	ds_bpermute_b32 v4, v12, v0
	ds_bpermute_b32 v5, v12, v1
	;; [unrolled: 1-line block ×4, first 2 shown]
	s_waitcnt lgkmcnt(2)
	v_add_f64 v[4:5], v[0:1], v[4:5]
	s_waitcnt lgkmcnt(0)
	v_add_f64 v[0:1], v[2:3], v[6:7]
	ds_bpermute_b32 v6, v13, v4
	ds_bpermute_b32 v7, v13, v5
	;; [unrolled: 1-line block ×4, first 2 shown]
	s_and_b64 exec, exec, s[0:1]
	s_cbranch_execz .LBB46_97
; %bb.93:
	s_andn2_b64 vcc, exec, s[12:13]
	s_cbranch_vccnz .LBB46_95
; %bb.94:
	s_waitcnt lgkmcnt(2)
	v_add_f64 v[4:5], v[4:5], v[6:7]
	v_mov_b32_e32 v7, s5
	v_add_co_u32_e32 v6, vcc, s4, v8
	v_addc_co_u32_e32 v7, vcc, 0, v7, vcc
	v_lshlrev_b64 v[6:7], 3, v[6:7]
	v_mov_b32_e32 v9, s9
	v_add_co_u32_e32 v6, vcc, s8, v6
	v_addc_co_u32_e32 v7, vcc, v9, v7, vcc
	global_store_dwordx2 v[6:7], v[4:5], off offset:128
.LBB46_95:
	s_andn2_b64 vcc, exec, s[6:7]
	s_cbranch_vccnz .LBB46_97
; %bb.96:
	s_waitcnt lgkmcnt(0)
	v_add_f64 v[0:1], v[0:1], v[2:3]
	v_mov_b32_e32 v3, s5
	v_add_co_u32_e32 v2, vcc, s4, v8
	v_addc_co_u32_e32 v3, vcc, 0, v3, vcc
	v_lshlrev_b64 v[2:3], 3, v[2:3]
	v_mov_b32_e32 v4, s11
	v_add_co_u32_e32 v2, vcc, s10, v2
	v_addc_co_u32_e32 v3, vcc, v4, v3, vcc
	global_store_dwordx2 v[2:3], v[0:1], off offset:128
.LBB46_97:
	s_endpgm
	.section	.rodata,"a",@progbits
	.p2align	6, 0x0
	.amdhsa_kernel _ZN2at6native12_GLOBAL__N_135GammaBetaBackwardCUDAKernelTemplateIddLj32ELj32ELj256ELb0ELb0ELb0EEEvllPKT_S5_PKT0_S8_PS3_S9_
		.amdhsa_group_segment_fixed_size 0
		.amdhsa_private_segment_fixed_size 216
		.amdhsa_kernarg_size 320
		.amdhsa_user_sgpr_count 6
		.amdhsa_user_sgpr_private_segment_buffer 1
		.amdhsa_user_sgpr_dispatch_ptr 0
		.amdhsa_user_sgpr_queue_ptr 0
		.amdhsa_user_sgpr_kernarg_segment_ptr 1
		.amdhsa_user_sgpr_dispatch_id 0
		.amdhsa_user_sgpr_flat_scratch_init 0
		.amdhsa_user_sgpr_private_segment_size 0
		.amdhsa_uses_dynamic_stack 0
		.amdhsa_system_sgpr_private_segment_wavefront_offset 1
		.amdhsa_system_sgpr_workgroup_id_x 1
		.amdhsa_system_sgpr_workgroup_id_y 1
		.amdhsa_system_sgpr_workgroup_id_z 0
		.amdhsa_system_sgpr_workgroup_info 0
		.amdhsa_system_vgpr_workitem_id 1
		.amdhsa_next_free_vgpr 64
		.amdhsa_next_free_sgpr 40
		.amdhsa_reserve_vcc 1
		.amdhsa_reserve_flat_scratch 0
		.amdhsa_float_round_mode_32 0
		.amdhsa_float_round_mode_16_64 0
		.amdhsa_float_denorm_mode_32 3
		.amdhsa_float_denorm_mode_16_64 3
		.amdhsa_dx10_clamp 1
		.amdhsa_ieee_mode 1
		.amdhsa_fp16_overflow 0
		.amdhsa_exception_fp_ieee_invalid_op 0
		.amdhsa_exception_fp_denorm_src 0
		.amdhsa_exception_fp_ieee_div_zero 0
		.amdhsa_exception_fp_ieee_overflow 0
		.amdhsa_exception_fp_ieee_underflow 0
		.amdhsa_exception_fp_ieee_inexact 0
		.amdhsa_exception_int_div_zero 0
	.end_amdhsa_kernel
	.section	.text._ZN2at6native12_GLOBAL__N_135GammaBetaBackwardCUDAKernelTemplateIddLj32ELj32ELj256ELb0ELb0ELb0EEEvllPKT_S5_PKT0_S8_PS3_S9_,"axG",@progbits,_ZN2at6native12_GLOBAL__N_135GammaBetaBackwardCUDAKernelTemplateIddLj32ELj32ELj256ELb0ELb0ELb0EEEvllPKT_S5_PKT0_S8_PS3_S9_,comdat
.Lfunc_end46:
	.size	_ZN2at6native12_GLOBAL__N_135GammaBetaBackwardCUDAKernelTemplateIddLj32ELj32ELj256ELb0ELb0ELb0EEEvllPKT_S5_PKT0_S8_PS3_S9_, .Lfunc_end46-_ZN2at6native12_GLOBAL__N_135GammaBetaBackwardCUDAKernelTemplateIddLj32ELj32ELj256ELb0ELb0ELb0EEEvllPKT_S5_PKT0_S8_PS3_S9_
                                        ; -- End function
	.set _ZN2at6native12_GLOBAL__N_135GammaBetaBackwardCUDAKernelTemplateIddLj32ELj32ELj256ELb0ELb0ELb0EEEvllPKT_S5_PKT0_S8_PS3_S9_.num_vgpr, 64
	.set _ZN2at6native12_GLOBAL__N_135GammaBetaBackwardCUDAKernelTemplateIddLj32ELj32ELj256ELb0ELb0ELb0EEEvllPKT_S5_PKT0_S8_PS3_S9_.num_agpr, 0
	.set _ZN2at6native12_GLOBAL__N_135GammaBetaBackwardCUDAKernelTemplateIddLj32ELj32ELj256ELb0ELb0ELb0EEEvllPKT_S5_PKT0_S8_PS3_S9_.numbered_sgpr, 40
	.set _ZN2at6native12_GLOBAL__N_135GammaBetaBackwardCUDAKernelTemplateIddLj32ELj32ELj256ELb0ELb0ELb0EEEvllPKT_S5_PKT0_S8_PS3_S9_.num_named_barrier, 0
	.set _ZN2at6native12_GLOBAL__N_135GammaBetaBackwardCUDAKernelTemplateIddLj32ELj32ELj256ELb0ELb0ELb0EEEvllPKT_S5_PKT0_S8_PS3_S9_.private_seg_size, 216
	.set _ZN2at6native12_GLOBAL__N_135GammaBetaBackwardCUDAKernelTemplateIddLj32ELj32ELj256ELb0ELb0ELb0EEEvllPKT_S5_PKT0_S8_PS3_S9_.uses_vcc, 1
	.set _ZN2at6native12_GLOBAL__N_135GammaBetaBackwardCUDAKernelTemplateIddLj32ELj32ELj256ELb0ELb0ELb0EEEvllPKT_S5_PKT0_S8_PS3_S9_.uses_flat_scratch, 0
	.set _ZN2at6native12_GLOBAL__N_135GammaBetaBackwardCUDAKernelTemplateIddLj32ELj32ELj256ELb0ELb0ELb0EEEvllPKT_S5_PKT0_S8_PS3_S9_.has_dyn_sized_stack, 0
	.set _ZN2at6native12_GLOBAL__N_135GammaBetaBackwardCUDAKernelTemplateIddLj32ELj32ELj256ELb0ELb0ELb0EEEvllPKT_S5_PKT0_S8_PS3_S9_.has_recursion, 0
	.set _ZN2at6native12_GLOBAL__N_135GammaBetaBackwardCUDAKernelTemplateIddLj32ELj32ELj256ELb0ELb0ELb0EEEvllPKT_S5_PKT0_S8_PS3_S9_.has_indirect_call, 0
	.section	.AMDGPU.csdata,"",@progbits
; Kernel info:
; codeLenInByte = 12104
; TotalNumSgprs: 44
; NumVgprs: 64
; ScratchSize: 216
; MemoryBound: 0
; FloatMode: 240
; IeeeMode: 1
; LDSByteSize: 0 bytes/workgroup (compile time only)
; SGPRBlocks: 5
; VGPRBlocks: 15
; NumSGPRsForWavesPerEU: 44
; NumVGPRsForWavesPerEU: 64
; Occupancy: 4
; WaveLimiterHint : 0
; COMPUTE_PGM_RSRC2:SCRATCH_EN: 1
; COMPUTE_PGM_RSRC2:USER_SGPR: 6
; COMPUTE_PGM_RSRC2:TRAP_HANDLER: 0
; COMPUTE_PGM_RSRC2:TGID_X_EN: 1
; COMPUTE_PGM_RSRC2:TGID_Y_EN: 1
; COMPUTE_PGM_RSRC2:TGID_Z_EN: 0
; COMPUTE_PGM_RSRC2:TIDIG_COMP_CNT: 1
	.section	.text._ZN2at6native12_GLOBAL__N_118cuComputeGradInputIffLb0EEEvPKT_S5_llPKT0_S8_S5_PS3_,"axG",@progbits,_ZN2at6native12_GLOBAL__N_118cuComputeGradInputIffLb0EEEvPKT_S5_llPKT0_S8_S5_PS3_,comdat
	.globl	_ZN2at6native12_GLOBAL__N_118cuComputeGradInputIffLb0EEEvPKT_S5_llPKT0_S8_S5_PS3_ ; -- Begin function _ZN2at6native12_GLOBAL__N_118cuComputeGradInputIffLb0EEEvPKT_S5_llPKT0_S8_S5_PS3_
	.p2align	8
	.type	_ZN2at6native12_GLOBAL__N_118cuComputeGradInputIffLb0EEEvPKT_S5_llPKT0_S8_S5_PS3_,@function
_ZN2at6native12_GLOBAL__N_118cuComputeGradInputIffLb0EEEvPKT_S5_llPKT0_S8_S5_PS3_: ; @_ZN2at6native12_GLOBAL__N_118cuComputeGradInputIffLb0EEEvPKT_S5_llPKT0_S8_S5_PS3_
; %bb.0:
	s_load_dwordx4 s[24:27], s[4:5], 0x10
	s_mov_b32 s14, s7
	s_ashr_i32 s15, s7, 31
	v_mov_b32_e32 v2, s14
	v_mov_b32_e32 v3, s15
	s_waitcnt lgkmcnt(0)
	v_cmp_le_i64_e32 vcc, s[24:25], v[2:3]
	s_cbranch_vccnz .LBB47_49
; %bb.1:
	s_load_dword s0, s[4:5], 0x4c
	s_load_dwordx8 s[16:23], s[4:5], 0x20
	s_load_dword s41, s[4:5], 0x44
	s_load_dwordx4 s[28:31], s[4:5], 0x0
	v_cmp_gt_i64_e64 s[4:5], s[26:27], 0
	v_mbcnt_lo_u32_b32 v8, -1, 0
	s_waitcnt lgkmcnt(0)
	s_lshr_b32 s33, s0, 16
	s_and_b32 s40, s0, 0xffff
	s_cmp_lg_u64 s[20:21], 0
	s_cselect_b64 s[8:9], -1, 0
	s_cmp_gt_u32 s40, 1
	s_cselect_b64 s[34:35], -1, 0
	s_cmp_gt_u32 s33, 1
	s_cselect_b64 s[36:37], -1, 0
	s_xor_b32 s1, s26, s27
	s_flbit_i32 s0, s27
	s_ashr_i32 s1, s1, 31
	s_add_i32 s0, s0, -1
	s_add_i32 s1, s1, 32
	s_min_u32 s2, s0, s1
	s_lshl_b64 s[0:1], s[26:27], s2
	s_min_u32 s0, s0, 1
	s_or_b32 s0, s1, s0
	v_cvt_f32_i32_e32 v2, s0
	s_sub_i32 s0, 32, s2
	v_cndmask_b32_e64 v5, 0, 1, s[4:5]
	v_cmp_ne_u32_e64 s[4:5], 1, v5
	v_ldexp_f32 v12, v2, s0
	v_div_scale_f32 v2, s[0:1], v12, v12, 1.0
	v_div_scale_f32 v4, vcc, 1.0, v12, 1.0
	v_mbcnt_hi_u32_b32 v13, -1, v8
	s_mul_i32 s42, s33, s40
	v_mov_b32_e32 v3, 0
	s_ashr_i32 s43, s42, 31
	v_lshlrev_b32_e32 v6, 3, v0
	v_cmp_eq_u32_e64 s[0:1], 0, v1
	v_cmp_ne_u32_e64 s[2:3], 0, v1
	v_add_u32_e32 v16, 0, v6
	v_rcp_f32_e32 v7, v2
	v_fma_f32 v5, -v2, v7, 1.0
	v_fmac_f32_e32 v7, v5, v7
	v_mul_f32_e32 v5, v4, v7
	v_fma_f32 v8, -v2, v5, v4
	v_fmac_f32_e32 v5, v8, v7
	v_fma_f32 v2, -v2, v5, v4
	v_div_fmas_f32 v7, v2, v7, v5
	v_mad_u32_u24 v2, v1, s40, v0
	v_lshlrev_b32_e32 v4, 3, v2
	v_add_u32_e32 v5, s42, v2
	v_cndmask_b32_e64 v8, 0, 1, s[8:9]
	v_cmp_gt_i64_e64 s[6:7], s[26:27], v[2:3]
	v_ashrrev_i32_e32 v9, 31, v5
	v_cmp_ne_u32_e64 s[8:9], 1, v8
	v_add_u32_e32 v14, 0, v4
	v_mov_b32_e32 v8, s43
	v_subrev_co_u32_e32 v4, vcc, s42, v5
	v_subb_co_u32_e32 v5, vcc, v9, v8, vcc
	v_div_fixup_f32 v15, v7, v12, 1.0
	s_branch .LBB47_4
.LBB47_2:                               ;   in Loop: Header=BB47_4 Depth=1
	s_or_b64 exec, exec, s[12:13]
.LBB47_3:                               ;   in Loop: Header=BB47_4 Depth=1
	s_add_i32 s14, s41, s14
	s_ashr_i32 s15, s14, 31
	v_mov_b32_e32 v6, s14
	v_mov_b32_e32 v7, s15
	v_cmp_le_i64_e32 vcc, s[24:25], v[6:7]
	s_waitcnt vmcnt(0)
	s_barrier
	s_cbranch_vccnz .LBB47_49
.LBB47_4:                               ; =>This Loop Header: Depth=1
                                        ;     Child Loop BB47_8 Depth 2
                                        ;     Child Loop BB47_20 Depth 2
                                        ;     Child Loop BB47_27 Depth 2
                                        ;     Child Loop BB47_29 Depth 2
                                        ;     Child Loop BB47_43 Depth 2
                                        ;     Child Loop BB47_48 Depth 2
	s_mul_i32 s10, s14, s27
	s_mul_hi_u32 s11, s14, s26
	s_add_i32 s10, s11, s10
	s_mul_i32 s11, s15, s26
	s_add_i32 s11, s10, s11
	s_lshl_b64 s[12:13], s[14:15], 2
	s_add_u32 s38, s16, s12
	s_addc_u32 s39, s17, s13
	s_add_u32 s12, s18, s12
	s_mul_i32 s10, s14, s26
	s_addc_u32 s13, s19, s13
	s_load_dword s15, s[38:39], 0x0
	s_load_dword s44, s[12:13], 0x0
	s_lshl_b64 s[38:39], s[10:11], 2
	s_add_u32 s45, s30, s38
	s_addc_u32 s46, s31, s39
	s_add_u32 s47, s28, s38
	s_addc_u32 s48, s29, s39
	s_and_b64 vcc, exec, s[8:9]
	s_cbranch_vccnz .LBB47_14
; %bb.5:                                ;   in Loop: Header=BB47_4 Depth=1
	s_and_b64 vcc, exec, s[4:5]
	s_cbranch_vccnz .LBB47_15
; %bb.6:                                ;   in Loop: Header=BB47_4 Depth=1
	v_mov_b32_e32 v6, 0
	s_mov_b32 s49, 0
	v_mov_b32_e32 v7, v6
	s_branch .LBB47_8
.LBB47_7:                               ;   in Loop: Header=BB47_8 Depth=2
	s_or_b64 exec, exec, s[10:11]
	s_add_i32 s49, s49, s42
	s_waitcnt vmcnt(0)
	v_mul_f32_e32 v8, v10, v17
	s_waitcnt lgkmcnt(0)
	v_subrev_f32_e32 v9, s15, v11
	s_ashr_i32 s10, s49, 31
	v_fmac_f32_e32 v6, v10, v17
	v_mul_f32_e32 v10, v9, v8
	v_mov_b32_e32 v8, s49
	v_mov_b32_e32 v9, s10
	v_cmp_le_i64_e32 vcc, s[26:27], v[8:9]
	v_fmac_f32_e32 v7, s44, v10
	s_cbranch_vccnz .LBB47_16
.LBB47_8:                               ;   Parent Loop BB47_4 Depth=1
                                        ; =>  This Inner Loop Header: Depth=2
	v_add_u32_e32 v8, s49, v2
	v_ashrrev_i32_e32 v9, 31, v8
	v_cmp_gt_i64_e32 vcc, s[26:27], v[8:9]
	v_lshlrev_b64 v[8:9], 2, v[8:9]
	v_mov_b32_e32 v10, 0
	s_and_saveexec_b64 s[12:13], vcc
	s_cbranch_execz .LBB47_10
; %bb.9:                                ;   in Loop: Header=BB47_8 Depth=2
	v_mov_b32_e32 v11, s21
	v_add_co_u32_e64 v10, s[10:11], s20, v8
	v_addc_co_u32_e64 v11, s[10:11], v11, v9, s[10:11]
	global_load_dword v10, v[10:11], off
.LBB47_10:                              ;   in Loop: Header=BB47_8 Depth=2
	s_or_b64 exec, exec, s[12:13]
	v_mov_b32_e32 v17, 0
	v_mov_b32_e32 v11, 0
	s_and_saveexec_b64 s[12:13], vcc
	s_cbranch_execz .LBB47_12
; %bb.11:                               ;   in Loop: Header=BB47_8 Depth=2
	v_mov_b32_e32 v11, s46
	v_add_co_u32_e64 v18, s[10:11], s45, v8
	v_addc_co_u32_e64 v19, s[10:11], v11, v9, s[10:11]
	global_load_dword v11, v[18:19], off
.LBB47_12:                              ;   in Loop: Header=BB47_8 Depth=2
	s_or_b64 exec, exec, s[12:13]
	s_and_saveexec_b64 s[10:11], vcc
	s_cbranch_execz .LBB47_7
; %bb.13:                               ;   in Loop: Header=BB47_8 Depth=2
	v_mov_b32_e32 v17, s48
	v_add_co_u32_e32 v8, vcc, s47, v8
	v_addc_co_u32_e32 v9, vcc, v17, v9, vcc
	global_load_dword v17, v[8:9], off
	s_branch .LBB47_7
.LBB47_14:                              ;   in Loop: Header=BB47_4 Depth=1
                                        ; implicit-def: $vgpr6
	s_branch .LBB47_17
.LBB47_15:                              ;   in Loop: Header=BB47_4 Depth=1
	v_mov_b32_e32 v6, 0
	v_mov_b32_e32 v7, v6
.LBB47_16:                              ;   in Loop: Header=BB47_4 Depth=1
	s_cbranch_execnz .LBB47_25
.LBB47_17:                              ;   in Loop: Header=BB47_4 Depth=1
	s_and_b64 vcc, exec, s[4:5]
	s_cbranch_vccnz .LBB47_24
; %bb.18:                               ;   in Loop: Header=BB47_4 Depth=1
	v_mov_b32_e32 v6, 0
	s_mov_b32 s49, 0
	v_mov_b32_e32 v7, v6
	s_branch .LBB47_20
.LBB47_19:                              ;   in Loop: Header=BB47_20 Depth=2
	s_or_b64 exec, exec, s[10:11]
	s_add_i32 s49, s49, s42
	s_waitcnt vmcnt(0) lgkmcnt(0)
	v_subrev_f32_e32 v8, s15, v10
	s_ashr_i32 s10, s49, 31
	v_mul_f32_e32 v10, v8, v11
	v_mov_b32_e32 v8, s49
	v_mov_b32_e32 v9, s10
	v_cmp_le_i64_e32 vcc, s[26:27], v[8:9]
	v_add_f32_e32 v6, v6, v11
	v_fmac_f32_e32 v7, s44, v10
	s_cbranch_vccnz .LBB47_25
.LBB47_20:                              ;   Parent Loop BB47_4 Depth=1
                                        ; =>  This Inner Loop Header: Depth=2
	v_add_u32_e32 v8, s49, v2
	v_ashrrev_i32_e32 v9, 31, v8
	v_cmp_gt_i64_e32 vcc, s[26:27], v[8:9]
	v_lshlrev_b64 v[8:9], 2, v[8:9]
	v_mov_b32_e32 v10, 0
	s_and_saveexec_b64 s[12:13], vcc
	s_cbranch_execz .LBB47_22
; %bb.21:                               ;   in Loop: Header=BB47_20 Depth=2
	v_mov_b32_e32 v11, s46
	v_add_co_u32_e64 v10, s[10:11], s45, v8
	v_addc_co_u32_e64 v11, s[10:11], v11, v9, s[10:11]
	global_load_dword v10, v[10:11], off
.LBB47_22:                              ;   in Loop: Header=BB47_20 Depth=2
	s_or_b64 exec, exec, s[12:13]
	v_mov_b32_e32 v11, 0
	s_and_saveexec_b64 s[10:11], vcc
	s_cbranch_execz .LBB47_19
; %bb.23:                               ;   in Loop: Header=BB47_20 Depth=2
	v_mov_b32_e32 v11, s48
	v_add_co_u32_e32 v8, vcc, s47, v8
	v_addc_co_u32_e32 v9, vcc, v11, v9, vcc
	global_load_dword v11, v[8:9], off
	s_branch .LBB47_19
.LBB47_24:                              ;   in Loop: Header=BB47_4 Depth=1
	v_mov_b32_e32 v6, 0
	v_mov_b32_e32 v7, v6
.LBB47_25:                              ;   in Loop: Header=BB47_4 Depth=1
	s_andn2_b64 vcc, exec, s[34:35]
	s_cbranch_vccnz .LBB47_28
; %bb.26:                               ;   in Loop: Header=BB47_4 Depth=1
	v_and_b32_e32 v8, 64, v13
	v_add_u32_e32 v8, 64, v8
	s_mov_b32 s10, s40
.LBB47_27:                              ;   Parent Loop BB47_4 Depth=1
                                        ; =>  This Inner Loop Header: Depth=2
	s_lshr_b32 s11, s10, 1
	v_xor_b32_e32 v9, s11, v13
	v_cmp_lt_i32_e32 vcc, v9, v8
	v_cndmask_b32_e32 v9, v13, v9, vcc
	v_lshlrev_b32_e32 v9, 2, v9
	ds_bpermute_b32 v10, v9, v6
	ds_bpermute_b32 v9, v9, v7
	s_cmp_lt_u32 s10, 4
	s_mov_b32 s10, s11
	s_waitcnt lgkmcnt(0)
	v_add_f32_e32 v6, v6, v10
	v_add_f32_e32 v7, v7, v9
	s_cbranch_scc0 .LBB47_27
.LBB47_28:                              ;   in Loop: Header=BB47_4 Depth=1
	s_andn2_b64 vcc, exec, s[36:37]
	s_mov_b32 s49, s33
	s_cbranch_vccnz .LBB47_40
.LBB47_29:                              ;   Parent Loop BB47_4 Depth=1
                                        ; =>  This Inner Loop Header: Depth=2
	s_lshr_b32 s50, s49, 1
	s_and_b32 s12, s49, 0xfffe
	v_cmp_le_u32_e64 s[10:11], s50, v1
	v_cmp_gt_u32_e64 s[12:13], s12, v1
	v_cmp_gt_u32_e32 vcc, s50, v1
	s_and_b64 s[12:13], s[10:11], s[12:13]
	s_and_saveexec_b64 s[10:11], s[12:13]
; %bb.30:                               ;   in Loop: Header=BB47_29 Depth=2
	v_subrev_u32_e32 v8, s50, v1
	v_mad_u32_u24 v8, v8, s40, v0
	v_lshl_add_u32 v8, v8, 3, 0
	ds_write_b64 v8, v[6:7]
; %bb.31:                               ;   in Loop: Header=BB47_29 Depth=2
	s_or_b64 exec, exec, s[10:11]
	s_waitcnt lgkmcnt(0)
	s_barrier
	s_and_saveexec_b64 s[10:11], vcc
	s_cbranch_execz .LBB47_33
; %bb.32:                               ;   in Loop: Header=BB47_29 Depth=2
	ds_read_b64 v[8:9], v14
	s_waitcnt lgkmcnt(0)
	v_add_f32_e32 v6, v6, v8
	v_add_f32_e32 v7, v7, v9
.LBB47_33:                              ;   in Loop: Header=BB47_29 Depth=2
	s_or_b64 exec, exec, s[10:11]
	s_cmp_lt_u32 s49, 4
	s_barrier
	s_cbranch_scc1 .LBB47_35
; %bb.34:                               ;   in Loop: Header=BB47_29 Depth=2
	s_mov_b32 s49, s50
	s_branch .LBB47_29
.LBB47_35:                              ;   in Loop: Header=BB47_4 Depth=1
	s_and_saveexec_b64 s[10:11], s[0:1]
; %bb.36:                               ;   in Loop: Header=BB47_4 Depth=1
	ds_write_b64 v16, v[6:7]
; %bb.37:                               ;   in Loop: Header=BB47_4 Depth=1
	s_or_b64 exec, exec, s[10:11]
	s_waitcnt lgkmcnt(0)
	s_barrier
	s_and_saveexec_b64 s[10:11], s[2:3]
; %bb.38:                               ;   in Loop: Header=BB47_4 Depth=1
	ds_read_b64 v[6:7], v16
; %bb.39:                               ;   in Loop: Header=BB47_4 Depth=1
	s_or_b64 exec, exec, s[10:11]
.LBB47_40:                              ;   in Loop: Header=BB47_4 Depth=1
	s_add_u32 s49, s22, s38
	s_addc_u32 s50, s23, s39
	s_and_b64 vcc, exec, s[8:9]
	s_waitcnt lgkmcnt(0)
	v_mul_f32_e32 v17, s44, v15
	s_cbranch_vccnz .LBB47_45
; %bb.41:                               ;   in Loop: Header=BB47_4 Depth=1
	s_and_saveexec_b64 s[10:11], s[6:7]
	s_cbranch_execz .LBB47_44
; %bb.42:                               ;   in Loop: Header=BB47_4 Depth=1
	v_mov_b32_e32 v9, v5
	v_mov_b32_e32 v11, v3
	s_mov_b64 s[12:13], 0
	v_mov_b32_e32 v8, v4
	v_mov_b32_e32 v10, v2
.LBB47_43:                              ;   Parent Loop BB47_4 Depth=1
                                        ; =>  This Inner Loop Header: Depth=2
	v_lshlrev_b64 v[10:11], 2, v[10:11]
	v_mov_b32_e32 v19, s46
	v_add_co_u32_e32 v18, vcc, s45, v10
	v_addc_co_u32_e32 v19, vcc, v19, v11, vcc
	global_load_dword v20, v[18:19], off
	v_add_co_u32_e32 v18, vcc, s47, v10
	v_mov_b32_e32 v19, s48
	v_addc_co_u32_e32 v19, vcc, v19, v11, vcc
	global_load_dword v18, v[18:19], off
	v_mov_b32_e32 v19, s21
	s_waitcnt vmcnt(0)
	v_mul_f32_e32 v21, v18, v12
	v_add_co_u32_e32 v18, vcc, s20, v10
	v_addc_co_u32_e32 v19, vcc, v19, v11, vcc
	global_load_dword v18, v[18:19], off
	v_subrev_f32_e32 v19, s15, v20
	v_mul_f32_e32 v19, s44, v19
	v_add_co_u32_e32 v10, vcc, s49, v10
	s_waitcnt vmcnt(0)
	v_fma_f32 v18, v21, v18, -v6
	v_fma_f32 v18, -v7, v19, v18
	v_mov_b32_e32 v19, s50
	v_mul_f32_e32 v18, v17, v18
	v_addc_co_u32_e32 v11, vcc, v19, v11, vcc
	global_store_dword v[10:11], v18, off
	v_add_co_u32_e32 v8, vcc, s42, v8
	v_mov_b32_e32 v10, s43
	v_addc_co_u32_e32 v9, vcc, v9, v10, vcc
	v_cmp_le_i64_e32 vcc, s[26:27], v[8:9]
	v_ashrrev_i32_e32 v11, 31, v8
	v_mov_b32_e32 v10, v8
	s_or_b64 s[12:13], vcc, s[12:13]
	s_andn2_b64 exec, exec, s[12:13]
	s_cbranch_execnz .LBB47_43
.LBB47_44:                              ;   in Loop: Header=BB47_4 Depth=1
	s_or_b64 exec, exec, s[10:11]
	s_cbranch_execnz .LBB47_3
	s_branch .LBB47_46
.LBB47_45:                              ;   in Loop: Header=BB47_4 Depth=1
.LBB47_46:                              ;   in Loop: Header=BB47_4 Depth=1
	s_and_saveexec_b64 s[12:13], s[6:7]
	s_cbranch_execz .LBB47_2
; %bb.47:                               ;   in Loop: Header=BB47_4 Depth=1
	v_mov_b32_e32 v9, v5
	v_mov_b32_e32 v11, v3
	s_mov_b64 s[38:39], 0
	v_mov_b32_e32 v8, v4
	v_mov_b32_e32 v10, v2
.LBB47_48:                              ;   Parent Loop BB47_4 Depth=1
                                        ; =>  This Inner Loop Header: Depth=2
	v_lshlrev_b64 v[18:19], 2, v[10:11]
	v_mov_b32_e32 v11, s46
	v_add_co_u32_e32 v10, vcc, s45, v18
	v_addc_co_u32_e32 v11, vcc, v11, v19, vcc
	v_mov_b32_e32 v21, s48
	v_add_co_u32_e32 v20, vcc, s47, v18
	v_addc_co_u32_e32 v21, vcc, v21, v19, vcc
	global_load_dword v22, v[10:11], off
	s_nop 0
	global_load_dword v20, v[20:21], off
	v_mov_b32_e32 v21, s50
	v_mov_b32_e32 v10, s43
	v_add_co_u32_e32 v8, vcc, s42, v8
	v_add_co_u32_e64 v18, s[10:11], s49, v18
	v_addc_co_u32_e32 v9, vcc, v9, v10, vcc
	v_addc_co_u32_e64 v19, s[10:11], v21, v19, s[10:11]
	v_cmp_le_i64_e32 vcc, s[26:27], v[8:9]
	v_ashrrev_i32_e32 v11, 31, v8
	v_mov_b32_e32 v10, v8
	s_or_b64 s[38:39], vcc, s[38:39]
	s_waitcnt vmcnt(1)
	v_subrev_f32_e32 v21, s15, v22
	s_waitcnt vmcnt(0)
	v_fma_f32 v20, v20, v12, -v6
	v_mul_f32_e32 v21, s44, v21
	v_fma_f32 v20, -v7, v21, v20
	v_mul_f32_e32 v20, v17, v20
	global_store_dword v[18:19], v20, off
	s_andn2_b64 exec, exec, s[38:39]
	s_cbranch_execnz .LBB47_48
	s_branch .LBB47_2
.LBB47_49:
	s_endpgm
	.section	.rodata,"a",@progbits
	.p2align	6, 0x0
	.amdhsa_kernel _ZN2at6native12_GLOBAL__N_118cuComputeGradInputIffLb0EEEvPKT_S5_llPKT0_S8_S5_PS3_
		.amdhsa_group_segment_fixed_size 0
		.amdhsa_private_segment_fixed_size 0
		.amdhsa_kernarg_size 320
		.amdhsa_user_sgpr_count 6
		.amdhsa_user_sgpr_private_segment_buffer 1
		.amdhsa_user_sgpr_dispatch_ptr 0
		.amdhsa_user_sgpr_queue_ptr 0
		.amdhsa_user_sgpr_kernarg_segment_ptr 1
		.amdhsa_user_sgpr_dispatch_id 0
		.amdhsa_user_sgpr_flat_scratch_init 0
		.amdhsa_user_sgpr_private_segment_size 0
		.amdhsa_uses_dynamic_stack 0
		.amdhsa_system_sgpr_private_segment_wavefront_offset 0
		.amdhsa_system_sgpr_workgroup_id_x 1
		.amdhsa_system_sgpr_workgroup_id_y 1
		.amdhsa_system_sgpr_workgroup_id_z 0
		.amdhsa_system_sgpr_workgroup_info 0
		.amdhsa_system_vgpr_workitem_id 1
		.amdhsa_next_free_vgpr 23
		.amdhsa_next_free_sgpr 51
		.amdhsa_reserve_vcc 1
		.amdhsa_reserve_flat_scratch 0
		.amdhsa_float_round_mode_32 0
		.amdhsa_float_round_mode_16_64 0
		.amdhsa_float_denorm_mode_32 3
		.amdhsa_float_denorm_mode_16_64 3
		.amdhsa_dx10_clamp 1
		.amdhsa_ieee_mode 1
		.amdhsa_fp16_overflow 0
		.amdhsa_exception_fp_ieee_invalid_op 0
		.amdhsa_exception_fp_denorm_src 0
		.amdhsa_exception_fp_ieee_div_zero 0
		.amdhsa_exception_fp_ieee_overflow 0
		.amdhsa_exception_fp_ieee_underflow 0
		.amdhsa_exception_fp_ieee_inexact 0
		.amdhsa_exception_int_div_zero 0
	.end_amdhsa_kernel
	.section	.text._ZN2at6native12_GLOBAL__N_118cuComputeGradInputIffLb0EEEvPKT_S5_llPKT0_S8_S5_PS3_,"axG",@progbits,_ZN2at6native12_GLOBAL__N_118cuComputeGradInputIffLb0EEEvPKT_S5_llPKT0_S8_S5_PS3_,comdat
.Lfunc_end47:
	.size	_ZN2at6native12_GLOBAL__N_118cuComputeGradInputIffLb0EEEvPKT_S5_llPKT0_S8_S5_PS3_, .Lfunc_end47-_ZN2at6native12_GLOBAL__N_118cuComputeGradInputIffLb0EEEvPKT_S5_llPKT0_S8_S5_PS3_
                                        ; -- End function
	.set _ZN2at6native12_GLOBAL__N_118cuComputeGradInputIffLb0EEEvPKT_S5_llPKT0_S8_S5_PS3_.num_vgpr, 23
	.set _ZN2at6native12_GLOBAL__N_118cuComputeGradInputIffLb0EEEvPKT_S5_llPKT0_S8_S5_PS3_.num_agpr, 0
	.set _ZN2at6native12_GLOBAL__N_118cuComputeGradInputIffLb0EEEvPKT_S5_llPKT0_S8_S5_PS3_.numbered_sgpr, 51
	.set _ZN2at6native12_GLOBAL__N_118cuComputeGradInputIffLb0EEEvPKT_S5_llPKT0_S8_S5_PS3_.num_named_barrier, 0
	.set _ZN2at6native12_GLOBAL__N_118cuComputeGradInputIffLb0EEEvPKT_S5_llPKT0_S8_S5_PS3_.private_seg_size, 0
	.set _ZN2at6native12_GLOBAL__N_118cuComputeGradInputIffLb0EEEvPKT_S5_llPKT0_S8_S5_PS3_.uses_vcc, 1
	.set _ZN2at6native12_GLOBAL__N_118cuComputeGradInputIffLb0EEEvPKT_S5_llPKT0_S8_S5_PS3_.uses_flat_scratch, 0
	.set _ZN2at6native12_GLOBAL__N_118cuComputeGradInputIffLb0EEEvPKT_S5_llPKT0_S8_S5_PS3_.has_dyn_sized_stack, 0
	.set _ZN2at6native12_GLOBAL__N_118cuComputeGradInputIffLb0EEEvPKT_S5_llPKT0_S8_S5_PS3_.has_recursion, 0
	.set _ZN2at6native12_GLOBAL__N_118cuComputeGradInputIffLb0EEEvPKT_S5_llPKT0_S8_S5_PS3_.has_indirect_call, 0
	.section	.AMDGPU.csdata,"",@progbits
; Kernel info:
; codeLenInByte = 1596
; TotalNumSgprs: 55
; NumVgprs: 23
; ScratchSize: 0
; MemoryBound: 0
; FloatMode: 240
; IeeeMode: 1
; LDSByteSize: 0 bytes/workgroup (compile time only)
; SGPRBlocks: 6
; VGPRBlocks: 5
; NumSGPRsForWavesPerEU: 55
; NumVGPRsForWavesPerEU: 23
; Occupancy: 10
; WaveLimiterHint : 0
; COMPUTE_PGM_RSRC2:SCRATCH_EN: 0
; COMPUTE_PGM_RSRC2:USER_SGPR: 6
; COMPUTE_PGM_RSRC2:TRAP_HANDLER: 0
; COMPUTE_PGM_RSRC2:TGID_X_EN: 1
; COMPUTE_PGM_RSRC2:TGID_Y_EN: 1
; COMPUTE_PGM_RSRC2:TGID_Z_EN: 0
; COMPUTE_PGM_RSRC2:TIDIG_COMP_CNT: 1
	.section	.text._ZN2at6native12_GLOBAL__N_128layer_norm_grad_input_kernelIffLb0EEEvPKT_S5_PKT0_S8_S5_PS3_i,"axG",@progbits,_ZN2at6native12_GLOBAL__N_128layer_norm_grad_input_kernelIffLb0EEEvPKT_S5_PKT0_S8_S5_PS3_i,comdat
	.globl	_ZN2at6native12_GLOBAL__N_128layer_norm_grad_input_kernelIffLb0EEEvPKT_S5_PKT0_S8_S5_PS3_i ; -- Begin function _ZN2at6native12_GLOBAL__N_128layer_norm_grad_input_kernelIffLb0EEEvPKT_S5_PKT0_S8_S5_PS3_i
	.p2align	8
	.type	_ZN2at6native12_GLOBAL__N_128layer_norm_grad_input_kernelIffLb0EEEvPKT_S5_PKT0_S8_S5_PS3_i,@function
_ZN2at6native12_GLOBAL__N_128layer_norm_grad_input_kernelIffLb0EEEvPKT_S5_PKT0_S8_S5_PS3_i: ; @_ZN2at6native12_GLOBAL__N_128layer_norm_grad_input_kernelIffLb0EEEvPKT_S5_PKT0_S8_S5_PS3_i
; %bb.0:
	s_load_dword s18, s[4:5], 0x30
	s_load_dwordx2 s[16:17], s[4:5], 0x20
	s_load_dwordx8 s[8:15], s[4:5], 0x0
	s_mov_b32 s7, 0
	s_lshl_b64 s[2:3], s[6:7], 2
	s_waitcnt lgkmcnt(0)
	s_ashr_i32 s0, s18, 31
	s_mul_hi_u32 s1, s18, s6
	s_mul_i32 s0, s0, s6
	s_add_i32 s1, s1, s0
	s_mul_i32 s0, s18, s6
	s_add_u32 s6, s12, s2
	s_addc_u32 s7, s13, s3
	s_add_u32 s2, s14, s2
	s_addc_u32 s3, s15, s3
	s_load_dword s19, s[6:7], 0x0
	s_load_dword s20, s[2:3], 0x0
	s_lshl_b64 s[6:7], s[0:1], 2
	s_add_u32 s21, s10, s6
	v_lshlrev_b32_e32 v1, 2, v0
	s_addc_u32 s23, s11, s7
	s_add_u32 s22, s8, s6
	v_or_b32_e32 v2, 3, v1
	s_addc_u32 s24, s9, s7
	v_cmp_gt_u32_e32 vcc, s18, v2
	v_mov_b32_e32 v10, 0
	v_mov_b32_e32 v9, 0
	s_and_saveexec_b64 s[2:3], vcc
	s_cbranch_execz .LBB48_12
; %bb.1:
	s_load_dword s0, s[4:5], 0x44
	s_cmp_lg_u64 s[16:17], 0
	s_cselect_b64 s[14:15], -1, 0
	v_cndmask_b32_e64 v3, 0, 1, s[14:15]
	s_mov_b64 s[12:13], 0
	s_waitcnt lgkmcnt(0)
	s_and_b32 s0, s0, 0xffff
	v_mov_b32_e32 v2, 0
	s_lshl_b32 s25, s0, 2
	v_mov_b32_e32 v11, s23
	v_mov_b32_e32 v12, s24
	v_cmp_ne_u32_e64 s[0:1], 1, v3
	v_mov_b32_e32 v10, 0
	v_mov_b32_e32 v9, 0
	s_branch .LBB48_3
.LBB48_2:                               ;   in Loop: Header=BB48_3 Depth=1
	global_load_dword v7, v[5:6], off offset:12
	global_load_dword v8, v[3:4], off offset:12
	s_waitcnt vmcnt(6)
	v_mul_f32_e32 v3, v14, v17
	v_subrev_f32_e32 v4, s19, v15
	s_waitcnt vmcnt(4)
	v_mul_f32_e32 v5, v13, v18
	v_subrev_f32_e32 v6, s19, v20
	v_mul_f32_e32 v3, v4, v3
	v_fmac_f32_e32 v10, v14, v17
	s_waitcnt vmcnt(2)
	v_mul_f32_e32 v14, v19, v21
	v_subrev_f32_e32 v15, s19, v22
	v_add_u32_e32 v1, s25, v1
	v_mul_f32_e32 v4, v6, v5
	v_fmac_f32_e32 v9, s20, v3
	v_fmac_f32_e32 v10, v13, v18
	v_mul_f32_e32 v5, v15, v14
	v_add_u32_e32 v6, 3, v1
	v_fmac_f32_e32 v9, s20, v4
	v_fmac_f32_e32 v10, v19, v21
	v_cmp_le_u32_e32 vcc, s18, v6
	v_fmac_f32_e32 v9, s20, v5
	s_or_b64 s[12:13], vcc, s[12:13]
	s_waitcnt vmcnt(1)
	v_mul_f32_e32 v3, v16, v7
	s_waitcnt vmcnt(0)
	v_subrev_f32_e32 v4, s19, v8
	v_mul_f32_e32 v3, v4, v3
	v_fmac_f32_e32 v10, v16, v7
	v_fmac_f32_e32 v9, s20, v3
	s_andn2_b64 exec, exec, s[12:13]
	s_cbranch_execz .LBB48_11
.LBB48_3:                               ; =>This Inner Loop Header: Depth=1
	v_lshlrev_b64 v[7:8], 2, v[1:2]
	v_mov_b32_e32 v13, 1.0
	s_and_b64 vcc, exec, s[14:15]
	v_mov_b32_e32 v14, 1.0
	s_cbranch_vccz .LBB48_5
; %bb.4:                                ;   in Loop: Header=BB48_3 Depth=1
	v_mov_b32_e32 v4, s17
	v_add_co_u32_e32 v3, vcc, s16, v7
	v_addc_co_u32_e32 v4, vcc, v4, v8, vcc
	global_load_dword v14, v[3:4], off
.LBB48_5:                               ;   in Loop: Header=BB48_3 Depth=1
	v_add_co_u32_e32 v3, vcc, s21, v7
	v_addc_co_u32_e32 v4, vcc, v11, v8, vcc
	v_add_co_u32_e32 v5, vcc, s22, v7
	v_addc_co_u32_e32 v6, vcc, v12, v8, vcc
	global_load_dword v15, v[3:4], off
	global_load_dword v17, v[5:6], off
	s_and_b64 vcc, exec, s[0:1]
	s_cbranch_vccnz .LBB48_7
; %bb.6:                                ;   in Loop: Header=BB48_3 Depth=1
	v_mov_b32_e32 v13, s17
	v_add_co_u32_e32 v18, vcc, s16, v7
	v_addc_co_u32_e32 v19, vcc, v13, v8, vcc
	global_load_dword v13, v[18:19], off offset:4
.LBB48_7:                               ;   in Loop: Header=BB48_3 Depth=1
	global_load_dword v20, v[3:4], off offset:4
	s_nop 0
	global_load_dword v18, v[5:6], off offset:4
	v_mov_b32_e32 v16, 1.0
	s_and_b64 vcc, exec, s[0:1]
	v_mov_b32_e32 v19, 1.0
	s_cbranch_vccnz .LBB48_9
; %bb.8:                                ;   in Loop: Header=BB48_3 Depth=1
	v_mov_b32_e32 v19, s17
	v_add_co_u32_e32 v21, vcc, s16, v7
	v_addc_co_u32_e32 v22, vcc, v19, v8, vcc
	global_load_dword v19, v[21:22], off offset:8
.LBB48_9:                               ;   in Loop: Header=BB48_3 Depth=1
	s_nop 0
	global_load_dword v22, v[3:4], off offset:8
	global_load_dword v21, v[5:6], off offset:8
	s_and_b64 vcc, exec, s[0:1]
	s_cbranch_vccnz .LBB48_2
; %bb.10:                               ;   in Loop: Header=BB48_3 Depth=1
	v_mov_b32_e32 v16, s17
	v_add_co_u32_e32 v7, vcc, s16, v7
	v_addc_co_u32_e32 v8, vcc, v16, v8, vcc
	global_load_dword v16, v[7:8], off offset:12
	s_branch .LBB48_2
.LBB48_11:
	s_or_b64 exec, exec, s[12:13]
.LBB48_12:
	s_or_b64 exec, exec, s[2:3]
	v_cmp_gt_u32_e32 vcc, s18, v1
	s_and_saveexec_b64 s[2:3], vcc
	s_cbranch_execz .LBB48_19
; %bb.13:
	v_mov_b32_e32 v2, 0
	v_lshlrev_b64 v[4:5], 2, v[1:2]
	v_mov_b32_e32 v3, s17
	v_add_co_u32_e32 v2, vcc, s16, v4
	v_addc_co_u32_e32 v3, vcc, v3, v5, vcc
	v_mov_b32_e32 v6, s7
	v_add_co_u32_e32 v7, vcc, s6, v4
	v_addc_co_u32_e32 v8, vcc, v6, v5, vcc
	v_mov_b32_e32 v5, s11
	v_add_co_u32_e32 v4, vcc, s10, v7
	s_cmp_lg_u64 s[16:17], 0
	v_addc_co_u32_e32 v5, vcc, v5, v8, vcc
	v_mov_b32_e32 v11, s9
	v_add_co_u32_e32 v6, vcc, s8, v7
	s_cselect_b64 s[0:1], -1, 0
	v_addc_co_u32_e32 v7, vcc, v11, v8, vcc
	v_cndmask_b32_e64 v8, 0, 1, s[0:1]
	s_mov_b64 s[12:13], 0
	v_cmp_ne_u32_e64 s[0:1], 1, v8
	s_branch .LBB48_16
.LBB48_14:                              ;   in Loop: Header=BB48_16 Depth=1
	global_load_dword v8, v[2:3], off
.LBB48_15:                              ;   in Loop: Header=BB48_16 Depth=1
	global_load_dword v11, v[6:7], off
	global_load_dword v12, v[4:5], off
	v_add_co_u32_e32 v2, vcc, 4, v2
	v_addc_co_u32_e32 v3, vcc, 0, v3, vcc
	v_add_co_u32_e32 v4, vcc, 4, v4
	v_add_u32_e32 v1, 1, v1
	v_addc_co_u32_e32 v5, vcc, 0, v5, vcc
	v_cmp_le_u32_e32 vcc, s18, v1
	s_or_b64 s[12:13], vcc, s[12:13]
	v_add_co_u32_e32 v6, vcc, 4, v6
	v_addc_co_u32_e32 v7, vcc, 0, v7, vcc
	s_waitcnt vmcnt(1)
	v_mul_f32_e32 v13, v8, v11
	v_fmac_f32_e32 v10, v8, v11
	s_waitcnt vmcnt(0) lgkmcnt(0)
	v_subrev_f32_e32 v8, s19, v12
	v_mul_f32_e32 v8, v8, v13
	v_fmac_f32_e32 v9, s20, v8
	s_andn2_b64 exec, exec, s[12:13]
	s_cbranch_execz .LBB48_18
.LBB48_16:                              ; =>This Inner Loop Header: Depth=1
	s_and_b64 vcc, exec, s[0:1]
	s_cbranch_vccz .LBB48_14
; %bb.17:                               ;   in Loop: Header=BB48_16 Depth=1
	v_mov_b32_e32 v8, 1.0
	s_branch .LBB48_15
.LBB48_18:
	s_or_b64 exec, exec, s[12:13]
.LBB48_19:
	s_or_b64 exec, exec, s[2:3]
	v_mbcnt_lo_u32_b32 v1, -1, 0
	v_mbcnt_hi_u32_b32 v1, -1, v1
	v_mov_b32_e32 v2, 0x80
	v_lshl_or_b32 v3, v1, 2, v2
	ds_bpermute_b32 v2, v3, v10
	v_and_b32_e32 v8, 63, v1
	v_cmp_gt_u32_e32 vcc, 48, v8
	v_cndmask_b32_e64 v4, 0, 16, vcc
	v_add_lshl_u32 v4, v4, v1, 2
	s_waitcnt lgkmcnt(0)
	v_add_f32_e32 v2, v10, v2
	ds_bpermute_b32 v6, v4, v2
	v_cmp_gt_u32_e32 vcc, 56, v8
	v_cndmask_b32_e64 v5, 0, 8, vcc
	v_add_lshl_u32 v5, v5, v1, 2
	v_cmp_gt_u32_e32 vcc, 60, v8
	s_waitcnt lgkmcnt(0)
	v_add_f32_e32 v2, v2, v6
	ds_bpermute_b32 v7, v5, v2
	v_cndmask_b32_e64 v6, 0, 4, vcc
	v_add_lshl_u32 v6, v6, v1, 2
	v_cmp_gt_u32_e32 vcc, 62, v8
	v_and_b32_e32 v10, 63, v0
	s_waitcnt lgkmcnt(0)
	v_add_f32_e32 v2, v2, v7
	ds_bpermute_b32 v11, v6, v2
	v_cndmask_b32_e64 v7, 0, 2, vcc
	v_add_lshl_u32 v7, v7, v1, 2
	v_cmp_ne_u32_e32 vcc, 63, v8
	v_addc_co_u32_e32 v1, vcc, 0, v1, vcc
	s_waitcnt lgkmcnt(0)
	v_add_f32_e32 v2, v2, v11
	ds_bpermute_b32 v11, v7, v2
	v_lshlrev_b32_e32 v8, 2, v1
	v_cmp_eq_u32_e32 vcc, 0, v10
	s_waitcnt lgkmcnt(0)
	s_barrier
	v_add_f32_e32 v1, v2, v11
	ds_bpermute_b32 v11, v8, v1
	v_lshrrev_b32_e32 v2, 4, v0
	s_waitcnt lgkmcnt(0)
	s_and_saveexec_b64 s[0:1], vcc
; %bb.20:
	v_add_u32_e32 v12, 0, v2
	v_add_f32_e32 v1, v1, v11
	ds_write_b32 v12, v1
; %bb.21:
	s_or_b64 exec, exec, s[0:1]
	s_waitcnt lgkmcnt(0)
	s_barrier
	s_load_dword s10, s[4:5], 0x44
	v_mov_b32_e32 v1, 0
	v_lshl_add_u32 v10, v10, 2, 0
	s_waitcnt lgkmcnt(0)
	s_bfe_u32 s0, s10, 0xa0006
	v_cmp_gt_u32_e64 s[0:1], s0, v0
	s_and_saveexec_b64 s[2:3], s[0:1]
; %bb.22:
	ds_read_b32 v1, v10
; %bb.23:
	s_or_b64 exec, exec, s[2:3]
	v_cmp_gt_u32_e64 s[2:3], 64, v0
	s_and_saveexec_b64 s[8:9], s[2:3]
	s_cbranch_execz .LBB48_25
; %bb.24:
	s_waitcnt lgkmcnt(0)
	ds_bpermute_b32 v11, v3, v1
	s_waitcnt lgkmcnt(0)
	v_add_f32_e32 v1, v1, v11
	ds_bpermute_b32 v11, v4, v1
	s_waitcnt lgkmcnt(0)
	v_add_f32_e32 v1, v1, v11
	ds_bpermute_b32 v11, v5, v1
	s_waitcnt lgkmcnt(0)
	v_add_f32_e32 v1, v1, v11
	ds_bpermute_b32 v11, v6, v1
	s_waitcnt lgkmcnt(0)
	v_add_f32_e32 v1, v1, v11
	ds_bpermute_b32 v11, v7, v1
	s_waitcnt lgkmcnt(0)
	v_add_f32_e32 v1, v1, v11
	ds_bpermute_b32 v11, v8, v1
	s_waitcnt lgkmcnt(0)
	v_add_f32_e32 v1, v1, v11
.LBB48_25:
	s_or_b64 exec, exec, s[8:9]
	ds_bpermute_b32 v11, v3, v9
	s_waitcnt lgkmcnt(0)
	s_barrier
	v_add_f32_e32 v9, v9, v11
	ds_bpermute_b32 v11, v4, v9
	s_waitcnt lgkmcnt(0)
	v_add_f32_e32 v9, v9, v11
	ds_bpermute_b32 v11, v5, v9
	s_waitcnt lgkmcnt(0)
	;; [unrolled: 3-line block ×4, first 2 shown]
	v_add_f32_e32 v9, v9, v11
	ds_bpermute_b32 v11, v8, v9
	s_and_saveexec_b64 s[8:9], vcc
	s_cbranch_execz .LBB48_27
; %bb.26:
	v_add_u32_e32 v2, 0, v2
	s_waitcnt lgkmcnt(0)
	v_add_f32_e32 v9, v9, v11
	ds_write_b32 v2, v9
.LBB48_27:
	s_or_b64 exec, exec, s[8:9]
	v_mov_b32_e32 v2, 0
	s_waitcnt lgkmcnt(0)
	s_barrier
	s_and_saveexec_b64 s[8:9], s[0:1]
	s_cbranch_execnz .LBB48_38
; %bb.28:
	s_or_b64 exec, exec, s[8:9]
	s_and_saveexec_b64 s[0:1], s[2:3]
	s_cbranch_execnz .LBB48_39
.LBB48_29:
	s_or_b64 exec, exec, s[0:1]
	v_cmp_eq_u32_e32 vcc, 0, v0
	s_and_saveexec_b64 s[0:1], vcc
	s_cbranch_execz .LBB48_31
.LBB48_30:
	v_mov_b32_e32 v3, 0
	s_waitcnt lgkmcnt(0)
	ds_write_b64 v3, v[1:2]
.LBB48_31:
	s_or_b64 exec, exec, s[0:1]
	v_cmp_gt_i32_e32 vcc, s18, v0
	s_waitcnt lgkmcnt(0)
	s_barrier
	s_and_saveexec_b64 s[0:1], vcc
	s_cbranch_execz .LBB48_37
; %bb.32:
	v_cvt_f32_i32_e32 v6, s18
	s_and_b32 s8, 0xffff, s10
	s_mov_b64 s[2:3], 0
	v_mov_b32_e32 v7, s23
	v_div_scale_f32 v1, s[0:1], v6, v6, 1.0
	v_div_scale_f32 v2, vcc, 1.0, v6, 1.0
	s_load_dwordx2 s[0:1], s[4:5], 0x28
	v_mov_b32_e32 v8, s24
	s_waitcnt lgkmcnt(0)
	s_add_u32 s4, s0, s6
	s_addc_u32 s5, s1, s7
	s_cmp_lg_u64 s[16:17], 0
	s_cselect_b64 s[0:1], -1, 0
	v_mov_b32_e32 v10, s5
	v_rcp_f32_e32 v3, v1
	v_fma_f32 v4, -v1, v3, 1.0
	v_fmac_f32_e32 v3, v4, v3
	v_mul_f32_e32 v4, v2, v3
	v_fma_f32 v5, -v1, v4, v2
	v_fmac_f32_e32 v4, v5, v3
	v_fma_f32 v1, -v1, v4, v2
	v_div_fmas_f32 v1, v1, v3, v4
	v_mov_b32_e32 v2, 0
	ds_read_b64 v[2:3], v2
	v_cndmask_b32_e64 v4, 0, 1, s[0:1]
	v_cmp_ne_u32_e64 s[0:1], 1, v4
	v_div_fixup_f32 v1, v1, v6, 1.0
	v_mul_f32_e32 v9, s20, v1
	s_branch .LBB48_35
.LBB48_33:                              ;   in Loop: Header=BB48_35 Depth=1
	v_mov_b32_e32 v13, s17
	v_add_co_u32_e32 v12, vcc, s16, v4
	v_addc_co_u32_e32 v13, vcc, v13, v5, vcc
	global_load_dword v12, v[12:13], off
.LBB48_34:                              ;   in Loop: Header=BB48_35 Depth=1
	s_waitcnt vmcnt(1)
	v_subrev_f32_e32 v1, s19, v1
	v_mul_f32_e32 v1, s20, v1
	s_waitcnt vmcnt(0)
	v_mul_f32_e32 v12, v12, v6
	s_waitcnt lgkmcnt(0)
	v_mul_f32_e32 v1, v3, v1
	v_add_co_u32_e32 v4, vcc, s4, v4
	v_fma_f32 v1, v11, v12, -v1
	v_addc_co_u32_e32 v5, vcc, v10, v5, vcc
	v_add_u32_e32 v0, s8, v0
	v_sub_f32_e32 v1, v1, v2
	v_cmp_le_i32_e32 vcc, s18, v0
	v_mul_f32_e32 v1, v9, v1
	s_or_b64 s[2:3], vcc, s[2:3]
	global_store_dword v[4:5], v1, off
	s_andn2_b64 exec, exec, s[2:3]
	s_cbranch_execz .LBB48_37
.LBB48_35:                              ; =>This Inner Loop Header: Depth=1
	v_ashrrev_i32_e32 v1, 31, v0
	v_lshlrev_b64 v[4:5], 2, v[0:1]
	v_add_co_u32_e32 v11, vcc, s21, v4
	v_addc_co_u32_e32 v12, vcc, v7, v5, vcc
	global_load_dword v1, v[11:12], off
	v_add_co_u32_e32 v11, vcc, s22, v4
	v_addc_co_u32_e32 v12, vcc, v8, v5, vcc
	global_load_dword v11, v[11:12], off
	s_and_b64 vcc, exec, s[0:1]
	s_cbranch_vccz .LBB48_33
; %bb.36:                               ;   in Loop: Header=BB48_35 Depth=1
	v_mov_b32_e32 v12, 1.0
	s_branch .LBB48_34
.LBB48_37:
	s_endpgm
.LBB48_38:
	ds_read_b32 v2, v10
	s_or_b64 exec, exec, s[8:9]
	s_and_saveexec_b64 s[0:1], s[2:3]
	s_cbranch_execz .LBB48_29
.LBB48_39:
	s_waitcnt lgkmcnt(0)
	ds_bpermute_b32 v3, v3, v2
	s_waitcnt lgkmcnt(0)
	v_add_f32_e32 v2, v2, v3
	ds_bpermute_b32 v3, v4, v2
	s_waitcnt lgkmcnt(0)
	v_add_f32_e32 v2, v2, v3
	;; [unrolled: 3-line block ×6, first 2 shown]
	s_or_b64 exec, exec, s[0:1]
	v_cmp_eq_u32_e32 vcc, 0, v0
	s_and_saveexec_b64 s[0:1], vcc
	s_cbranch_execnz .LBB48_30
	s_branch .LBB48_31
	.section	.rodata,"a",@progbits
	.p2align	6, 0x0
	.amdhsa_kernel _ZN2at6native12_GLOBAL__N_128layer_norm_grad_input_kernelIffLb0EEEvPKT_S5_PKT0_S8_S5_PS3_i
		.amdhsa_group_segment_fixed_size 0
		.amdhsa_private_segment_fixed_size 0
		.amdhsa_kernarg_size 312
		.amdhsa_user_sgpr_count 6
		.amdhsa_user_sgpr_private_segment_buffer 1
		.amdhsa_user_sgpr_dispatch_ptr 0
		.amdhsa_user_sgpr_queue_ptr 0
		.amdhsa_user_sgpr_kernarg_segment_ptr 1
		.amdhsa_user_sgpr_dispatch_id 0
		.amdhsa_user_sgpr_flat_scratch_init 0
		.amdhsa_user_sgpr_private_segment_size 0
		.amdhsa_uses_dynamic_stack 0
		.amdhsa_system_sgpr_private_segment_wavefront_offset 0
		.amdhsa_system_sgpr_workgroup_id_x 1
		.amdhsa_system_sgpr_workgroup_id_y 0
		.amdhsa_system_sgpr_workgroup_id_z 0
		.amdhsa_system_sgpr_workgroup_info 0
		.amdhsa_system_vgpr_workitem_id 0
		.amdhsa_next_free_vgpr 23
		.amdhsa_next_free_sgpr 26
		.amdhsa_reserve_vcc 1
		.amdhsa_reserve_flat_scratch 0
		.amdhsa_float_round_mode_32 0
		.amdhsa_float_round_mode_16_64 0
		.amdhsa_float_denorm_mode_32 3
		.amdhsa_float_denorm_mode_16_64 3
		.amdhsa_dx10_clamp 1
		.amdhsa_ieee_mode 1
		.amdhsa_fp16_overflow 0
		.amdhsa_exception_fp_ieee_invalid_op 0
		.amdhsa_exception_fp_denorm_src 0
		.amdhsa_exception_fp_ieee_div_zero 0
		.amdhsa_exception_fp_ieee_overflow 0
		.amdhsa_exception_fp_ieee_underflow 0
		.amdhsa_exception_fp_ieee_inexact 0
		.amdhsa_exception_int_div_zero 0
	.end_amdhsa_kernel
	.section	.text._ZN2at6native12_GLOBAL__N_128layer_norm_grad_input_kernelIffLb0EEEvPKT_S5_PKT0_S8_S5_PS3_i,"axG",@progbits,_ZN2at6native12_GLOBAL__N_128layer_norm_grad_input_kernelIffLb0EEEvPKT_S5_PKT0_S8_S5_PS3_i,comdat
.Lfunc_end48:
	.size	_ZN2at6native12_GLOBAL__N_128layer_norm_grad_input_kernelIffLb0EEEvPKT_S5_PKT0_S8_S5_PS3_i, .Lfunc_end48-_ZN2at6native12_GLOBAL__N_128layer_norm_grad_input_kernelIffLb0EEEvPKT_S5_PKT0_S8_S5_PS3_i
                                        ; -- End function
	.set _ZN2at6native12_GLOBAL__N_128layer_norm_grad_input_kernelIffLb0EEEvPKT_S5_PKT0_S8_S5_PS3_i.num_vgpr, 23
	.set _ZN2at6native12_GLOBAL__N_128layer_norm_grad_input_kernelIffLb0EEEvPKT_S5_PKT0_S8_S5_PS3_i.num_agpr, 0
	.set _ZN2at6native12_GLOBAL__N_128layer_norm_grad_input_kernelIffLb0EEEvPKT_S5_PKT0_S8_S5_PS3_i.numbered_sgpr, 26
	.set _ZN2at6native12_GLOBAL__N_128layer_norm_grad_input_kernelIffLb0EEEvPKT_S5_PKT0_S8_S5_PS3_i.num_named_barrier, 0
	.set _ZN2at6native12_GLOBAL__N_128layer_norm_grad_input_kernelIffLb0EEEvPKT_S5_PKT0_S8_S5_PS3_i.private_seg_size, 0
	.set _ZN2at6native12_GLOBAL__N_128layer_norm_grad_input_kernelIffLb0EEEvPKT_S5_PKT0_S8_S5_PS3_i.uses_vcc, 1
	.set _ZN2at6native12_GLOBAL__N_128layer_norm_grad_input_kernelIffLb0EEEvPKT_S5_PKT0_S8_S5_PS3_i.uses_flat_scratch, 0
	.set _ZN2at6native12_GLOBAL__N_128layer_norm_grad_input_kernelIffLb0EEEvPKT_S5_PKT0_S8_S5_PS3_i.has_dyn_sized_stack, 0
	.set _ZN2at6native12_GLOBAL__N_128layer_norm_grad_input_kernelIffLb0EEEvPKT_S5_PKT0_S8_S5_PS3_i.has_recursion, 0
	.set _ZN2at6native12_GLOBAL__N_128layer_norm_grad_input_kernelIffLb0EEEvPKT_S5_PKT0_S8_S5_PS3_i.has_indirect_call, 0
	.section	.AMDGPU.csdata,"",@progbits
; Kernel info:
; codeLenInByte = 1920
; TotalNumSgprs: 30
; NumVgprs: 23
; ScratchSize: 0
; MemoryBound: 0
; FloatMode: 240
; IeeeMode: 1
; LDSByteSize: 0 bytes/workgroup (compile time only)
; SGPRBlocks: 3
; VGPRBlocks: 5
; NumSGPRsForWavesPerEU: 30
; NumVGPRsForWavesPerEU: 23
; Occupancy: 10
; WaveLimiterHint : 0
; COMPUTE_PGM_RSRC2:SCRATCH_EN: 0
; COMPUTE_PGM_RSRC2:USER_SGPR: 6
; COMPUTE_PGM_RSRC2:TRAP_HANDLER: 0
; COMPUTE_PGM_RSRC2:TGID_X_EN: 1
; COMPUTE_PGM_RSRC2:TGID_Y_EN: 0
; COMPUTE_PGM_RSRC2:TGID_Z_EN: 0
; COMPUTE_PGM_RSRC2:TIDIG_COMP_CNT: 0
	.section	.text._ZN2at6native12_GLOBAL__N_133GammaBetaBackwardSimpleCUDAKernelIffLb0EEEvllPKT_S5_PKT0_S8_PS3_S9_,"axG",@progbits,_ZN2at6native12_GLOBAL__N_133GammaBetaBackwardSimpleCUDAKernelIffLb0EEEvllPKT_S5_PKT0_S8_PS3_S9_,comdat
	.globl	_ZN2at6native12_GLOBAL__N_133GammaBetaBackwardSimpleCUDAKernelIffLb0EEEvllPKT_S5_PKT0_S8_PS3_S9_ ; -- Begin function _ZN2at6native12_GLOBAL__N_133GammaBetaBackwardSimpleCUDAKernelIffLb0EEEvllPKT_S5_PKT0_S8_PS3_S9_
	.p2align	8
	.type	_ZN2at6native12_GLOBAL__N_133GammaBetaBackwardSimpleCUDAKernelIffLb0EEEvllPKT_S5_PKT0_S8_PS3_S9_,@function
_ZN2at6native12_GLOBAL__N_133GammaBetaBackwardSimpleCUDAKernelIffLb0EEEvllPKT_S5_PKT0_S8_PS3_S9_: ; @_ZN2at6native12_GLOBAL__N_133GammaBetaBackwardSimpleCUDAKernelIffLb0EEEvllPKT_S5_PKT0_S8_PS3_S9_
; %bb.0:
	s_load_dword s0, s[4:5], 0x4c
	v_mov_b32_e32 v1, 0
	s_load_dwordx16 s[8:23], s[4:5], 0x0
	v_mov_b32_e32 v2, s6
	s_waitcnt lgkmcnt(0)
	s_and_b32 s0, s0, 0xffff
	v_mad_u64_u32 v[2:3], s[0:1], s0, v2, v[0:1]
	v_cmp_gt_i64_e32 vcc, s[10:11], v[2:3]
	s_and_saveexec_b64 s[0:1], vcc
	s_cbranch_execz .LBB49_13
; %bb.1:
	v_cmp_lt_i64_e64 s[0:1], s[8:9], 1
	v_lshlrev_b64 v[2:3], 2, v[2:3]
	s_and_b64 vcc, exec, s[0:1]
	v_mov_b32_e32 v0, 0
	s_cbranch_vccnz .LBB49_9
; %bb.2:
	s_cmp_lg_u64 s[20:21], 0
	s_cselect_b64 s[0:1], -1, 0
	s_cmp_lg_u64 s[22:23], 0
	s_cselect_b64 s[2:3], -1, 0
	v_cndmask_b32_e64 v0, 0, 1, s[0:1]
	s_lshl_b64 s[4:5], s[10:11], 2
	v_cmp_ne_u32_e64 s[0:1], 1, v0
	v_cndmask_b32_e64 v0, 0, 1, s[2:3]
	v_mov_b32_e32 v5, v3
	v_mov_b32_e32 v1, 0
	v_cmp_ne_u32_e64 s[2:3], 1, v0
	v_mov_b32_e32 v6, s5
	v_mov_b32_e32 v4, v2
	;; [unrolled: 1-line block ×3, first 2 shown]
	s_branch .LBB49_5
.LBB49_3:                               ;   in Loop: Header=BB49_5 Depth=1
	v_mov_b32_e32 v9, s13
	v_add_co_u32_e32 v8, vcc, s12, v4
	v_addc_co_u32_e32 v9, vcc, v9, v5, vcc
	global_load_dword v8, v[8:9], off
.LBB49_4:                               ;   in Loop: Header=BB49_5 Depth=1
	s_add_u32 s8, s8, -1
	s_addc_u32 s9, s9, -1
	s_add_u32 s18, s18, 4
	s_addc_u32 s19, s19, 0
	s_add_u32 s16, s16, 4
	s_addc_u32 s17, s17, 0
	v_add_co_u32_e32 v4, vcc, s4, v4
	v_add_f32_e32 v1, v1, v7
	s_waitcnt vmcnt(0)
	v_add_f32_e32 v0, v0, v8
	s_cmp_eq_u64 s[8:9], 0
	v_addc_co_u32_e32 v5, vcc, v5, v6, vcc
	s_cbranch_scc1 .LBB49_9
.LBB49_5:                               ; =>This Inner Loop Header: Depth=1
	s_and_b64 vcc, exec, s[0:1]
	v_mov_b32_e32 v7, 0
	s_cbranch_vccnz .LBB49_7
; %bb.6:                                ;   in Loop: Header=BB49_5 Depth=1
	v_mov_b32_e32 v8, s13
	v_add_co_u32_e32 v7, vcc, s12, v4
	v_addc_co_u32_e32 v8, vcc, v8, v5, vcc
	v_mov_b32_e32 v10, s15
	v_add_co_u32_e32 v9, vcc, s14, v4
	v_addc_co_u32_e32 v10, vcc, v10, v5, vcc
	global_load_dword v11, v[9:10], off
	global_load_dword v12, v[7:8], off
	s_load_dword s5, s[16:17], 0x0
	s_load_dword s6, s[18:19], 0x0
	s_waitcnt vmcnt(1) lgkmcnt(0)
	v_subrev_f32_e32 v7, s5, v11
	s_waitcnt vmcnt(0)
	v_mul_f32_e32 v7, v12, v7
	v_mul_f32_e32 v7, s6, v7
.LBB49_7:                               ;   in Loop: Header=BB49_5 Depth=1
	s_and_b64 vcc, exec, s[2:3]
	s_cbranch_vccz .LBB49_3
; %bb.8:                                ;   in Loop: Header=BB49_5 Depth=1
	v_mov_b32_e32 v8, 0
	s_branch .LBB49_4
.LBB49_9:
	s_cmp_lg_u64 s[20:21], 0
	s_cbranch_scc0 .LBB49_11
; %bb.10:
	v_mov_b32_e32 v5, s21
	v_add_co_u32_e32 v4, vcc, s20, v2
	v_addc_co_u32_e32 v5, vcc, v5, v3, vcc
	global_store_dword v[4:5], v1, off
.LBB49_11:
	s_cmp_eq_u64 s[22:23], 0
	s_cbranch_scc1 .LBB49_13
; %bb.12:
	v_mov_b32_e32 v4, s23
	v_add_co_u32_e32 v1, vcc, s22, v2
	v_addc_co_u32_e32 v2, vcc, v4, v3, vcc
	global_store_dword v[1:2], v0, off
.LBB49_13:
	s_endpgm
	.section	.rodata,"a",@progbits
	.p2align	6, 0x0
	.amdhsa_kernel _ZN2at6native12_GLOBAL__N_133GammaBetaBackwardSimpleCUDAKernelIffLb0EEEvllPKT_S5_PKT0_S8_PS3_S9_
		.amdhsa_group_segment_fixed_size 0
		.amdhsa_private_segment_fixed_size 0
		.amdhsa_kernarg_size 320
		.amdhsa_user_sgpr_count 6
		.amdhsa_user_sgpr_private_segment_buffer 1
		.amdhsa_user_sgpr_dispatch_ptr 0
		.amdhsa_user_sgpr_queue_ptr 0
		.amdhsa_user_sgpr_kernarg_segment_ptr 1
		.amdhsa_user_sgpr_dispatch_id 0
		.amdhsa_user_sgpr_flat_scratch_init 0
		.amdhsa_user_sgpr_private_segment_size 0
		.amdhsa_uses_dynamic_stack 0
		.amdhsa_system_sgpr_private_segment_wavefront_offset 0
		.amdhsa_system_sgpr_workgroup_id_x 1
		.amdhsa_system_sgpr_workgroup_id_y 0
		.amdhsa_system_sgpr_workgroup_id_z 0
		.amdhsa_system_sgpr_workgroup_info 0
		.amdhsa_system_vgpr_workitem_id 0
		.amdhsa_next_free_vgpr 13
		.amdhsa_next_free_sgpr 24
		.amdhsa_reserve_vcc 1
		.amdhsa_reserve_flat_scratch 0
		.amdhsa_float_round_mode_32 0
		.amdhsa_float_round_mode_16_64 0
		.amdhsa_float_denorm_mode_32 3
		.amdhsa_float_denorm_mode_16_64 3
		.amdhsa_dx10_clamp 1
		.amdhsa_ieee_mode 1
		.amdhsa_fp16_overflow 0
		.amdhsa_exception_fp_ieee_invalid_op 0
		.amdhsa_exception_fp_denorm_src 0
		.amdhsa_exception_fp_ieee_div_zero 0
		.amdhsa_exception_fp_ieee_overflow 0
		.amdhsa_exception_fp_ieee_underflow 0
		.amdhsa_exception_fp_ieee_inexact 0
		.amdhsa_exception_int_div_zero 0
	.end_amdhsa_kernel
	.section	.text._ZN2at6native12_GLOBAL__N_133GammaBetaBackwardSimpleCUDAKernelIffLb0EEEvllPKT_S5_PKT0_S8_PS3_S9_,"axG",@progbits,_ZN2at6native12_GLOBAL__N_133GammaBetaBackwardSimpleCUDAKernelIffLb0EEEvllPKT_S5_PKT0_S8_PS3_S9_,comdat
.Lfunc_end49:
	.size	_ZN2at6native12_GLOBAL__N_133GammaBetaBackwardSimpleCUDAKernelIffLb0EEEvllPKT_S5_PKT0_S8_PS3_S9_, .Lfunc_end49-_ZN2at6native12_GLOBAL__N_133GammaBetaBackwardSimpleCUDAKernelIffLb0EEEvllPKT_S5_PKT0_S8_PS3_S9_
                                        ; -- End function
	.set _ZN2at6native12_GLOBAL__N_133GammaBetaBackwardSimpleCUDAKernelIffLb0EEEvllPKT_S5_PKT0_S8_PS3_S9_.num_vgpr, 13
	.set _ZN2at6native12_GLOBAL__N_133GammaBetaBackwardSimpleCUDAKernelIffLb0EEEvllPKT_S5_PKT0_S8_PS3_S9_.num_agpr, 0
	.set _ZN2at6native12_GLOBAL__N_133GammaBetaBackwardSimpleCUDAKernelIffLb0EEEvllPKT_S5_PKT0_S8_PS3_S9_.numbered_sgpr, 24
	.set _ZN2at6native12_GLOBAL__N_133GammaBetaBackwardSimpleCUDAKernelIffLb0EEEvllPKT_S5_PKT0_S8_PS3_S9_.num_named_barrier, 0
	.set _ZN2at6native12_GLOBAL__N_133GammaBetaBackwardSimpleCUDAKernelIffLb0EEEvllPKT_S5_PKT0_S8_PS3_S9_.private_seg_size, 0
	.set _ZN2at6native12_GLOBAL__N_133GammaBetaBackwardSimpleCUDAKernelIffLb0EEEvllPKT_S5_PKT0_S8_PS3_S9_.uses_vcc, 1
	.set _ZN2at6native12_GLOBAL__N_133GammaBetaBackwardSimpleCUDAKernelIffLb0EEEvllPKT_S5_PKT0_S8_PS3_S9_.uses_flat_scratch, 0
	.set _ZN2at6native12_GLOBAL__N_133GammaBetaBackwardSimpleCUDAKernelIffLb0EEEvllPKT_S5_PKT0_S8_PS3_S9_.has_dyn_sized_stack, 0
	.set _ZN2at6native12_GLOBAL__N_133GammaBetaBackwardSimpleCUDAKernelIffLb0EEEvllPKT_S5_PKT0_S8_PS3_S9_.has_recursion, 0
	.set _ZN2at6native12_GLOBAL__N_133GammaBetaBackwardSimpleCUDAKernelIffLb0EEEvllPKT_S5_PKT0_S8_PS3_S9_.has_indirect_call, 0
	.section	.AMDGPU.csdata,"",@progbits
; Kernel info:
; codeLenInByte = 396
; TotalNumSgprs: 28
; NumVgprs: 13
; ScratchSize: 0
; MemoryBound: 0
; FloatMode: 240
; IeeeMode: 1
; LDSByteSize: 0 bytes/workgroup (compile time only)
; SGPRBlocks: 3
; VGPRBlocks: 3
; NumSGPRsForWavesPerEU: 28
; NumVGPRsForWavesPerEU: 13
; Occupancy: 10
; WaveLimiterHint : 0
; COMPUTE_PGM_RSRC2:SCRATCH_EN: 0
; COMPUTE_PGM_RSRC2:USER_SGPR: 6
; COMPUTE_PGM_RSRC2:TRAP_HANDLER: 0
; COMPUTE_PGM_RSRC2:TGID_X_EN: 1
; COMPUTE_PGM_RSRC2:TGID_Y_EN: 0
; COMPUTE_PGM_RSRC2:TGID_Z_EN: 0
; COMPUTE_PGM_RSRC2:TIDIG_COMP_CNT: 0
	.section	.text._ZN2at6native12_GLOBAL__N_135GammaBetaBackwardCUDAKernelTemplateIffLj64ELj1ELj32ELb1ELb1ELb0EEEvllPKT_S5_PKT0_S8_PS3_S9_,"axG",@progbits,_ZN2at6native12_GLOBAL__N_135GammaBetaBackwardCUDAKernelTemplateIffLj64ELj1ELj32ELb1ELb1ELb0EEEvllPKT_S5_PKT0_S8_PS3_S9_,comdat
	.globl	_ZN2at6native12_GLOBAL__N_135GammaBetaBackwardCUDAKernelTemplateIffLj64ELj1ELj32ELb1ELb1ELb0EEEvllPKT_S5_PKT0_S8_PS3_S9_ ; -- Begin function _ZN2at6native12_GLOBAL__N_135GammaBetaBackwardCUDAKernelTemplateIffLj64ELj1ELj32ELb1ELb1ELb0EEEvllPKT_S5_PKT0_S8_PS3_S9_
	.p2align	8
	.type	_ZN2at6native12_GLOBAL__N_135GammaBetaBackwardCUDAKernelTemplateIffLj64ELj1ELj32ELb1ELb1ELb0EEEvllPKT_S5_PKT0_S8_PS3_S9_,@function
_ZN2at6native12_GLOBAL__N_135GammaBetaBackwardCUDAKernelTemplateIffLj64ELj1ELj32ELb1ELb1ELb0EEEvllPKT_S5_PKT0_S8_PS3_S9_: ; @_ZN2at6native12_GLOBAL__N_135GammaBetaBackwardCUDAKernelTemplateIffLj64ELj1ELj32ELb1ELb1ELb0EEEvllPKT_S5_PKT0_S8_PS3_S9_
; %bb.0:
	s_load_dwordx4 s[16:19], s[4:5], 0x0
	s_lshl_b32 s24, s7, 5
	s_mov_b32 s25, 0
	v_mov_b32_e32 v2, s24
	v_mov_b32_e32 v3, s25
	s_waitcnt lgkmcnt(0)
	v_cmp_gt_i64_e32 vcc, s[16:17], v[2:3]
	s_mov_b32 s2, s7
	s_cbranch_vccnz .LBB50_2
; %bb.1:
	s_add_u32 s26, s4, 64
	s_addc_u32 s27, s5, 0
	s_mov_b64 s[0:1], 0
	s_branch .LBB50_3
.LBB50_2:
	s_mov_b64 s[0:1], -1
                                        ; implicit-def: $sgpr26_sgpr27
.LBB50_3:
	s_load_dwordx4 s[20:23], s[4:5], 0x30
	v_mov_b32_e32 v15, 0
	s_andn2_b64 vcc, exec, s[0:1]
	v_mov_b32_e32 v3, 0
	s_cbranch_vccnz .LBB50_10
; %bb.4:
	v_lshlrev_b32_e32 v4, 5, v1
	v_mbcnt_lo_u32_b32 v5, -1, 0
	s_add_u32 s26, s4, 64
	v_mbcnt_hi_u32_b32 v5, -1, v5
	v_add_co_u32_e32 v20, vcc, s24, v4
	s_load_dword s0, s[4:5], 0x4c
	s_load_dword s3, s[4:5], 0x44
	s_load_dwordx8 s[8:15], s[4:5], 0x10
	s_addc_u32 s27, s5, 0
	v_lshlrev_b32_e32 v5, 2, v5
	v_addc_co_u32_e64 v21, s[4:5], 0, 0, vcc
	v_and_b32_e32 v8, 0x100, v5
	v_mul_lo_u32 v6, s19, v20
	v_mul_lo_u32 v7, s18, v21
	v_mad_u64_u32 v[4:5], s[4:5], s18, v20, 0
	s_waitcnt lgkmcnt(0)
	s_and_b32 s0, s0, 0xffff
	v_mad_u32_u24 v2, v1, s0, v0
	v_and_b32_e32 v15, 63, v2
	v_mov_b32_e32 v3, 0
	v_lshl_or_b32 v2, s6, 6, v0
	v_add3_u32 v5, v5, v7, v6
	v_lshlrev_b64 v[4:5], 2, v[4:5]
	v_lshlrev_b64 v[6:7], 2, v[2:3]
	s_lshl_b32 s28, s3, 5
	v_add_co_u32_e32 v2, vcc, v4, v6
	v_addc_co_u32_e32 v16, vcc, v5, v7, vcc
	v_add_co_u32_e32 v4, vcc, v20, v15
	v_addc_co_u32_e32 v5, vcc, 0, v21, vcc
	s_mul_i32 s3, s19, s28
	s_mul_hi_u32 s4, s18, s28
	s_mov_b32 s29, 0
	s_add_i32 s5, s4, s3
	s_mul_i32 s4, s18, s28
	v_lshlrev_b64 v[6:7], 2, v[4:5]
	v_cmp_gt_u32_e64 s[0:1], 32, v15
	v_or_b32_e32 v9, 4, v8
	v_or_b32_e32 v10, 8, v8
	;; [unrolled: 1-line block ×10, first 2 shown]
	s_lshl_b64 s[30:31], s[28:29], 2
	s_lshl_b64 s[34:35], s[4:5], 2
	;; [unrolled: 1-line block ×3, first 2 shown]
	v_or_b32_e32 v21, 44, v8
	v_or_b32_e32 v22, 48, v8
	v_or_b32_e32 v23, 52, v8
	v_or_b32_e32 v24, 56, v8
	v_or_b32_e32 v25, 60, v8
	v_or_b32_e32 v26, 64, v8
	v_or_b32_e32 v27, 0x44, v8
	v_or_b32_e32 v28, 0x48, v8
	v_or_b32_e32 v29, 0x4c, v8
	v_or_b32_e32 v30, 0x50, v8
	v_or_b32_e32 v31, 0x54, v8
	v_or_b32_e32 v32, 0x58, v8
	v_or_b32_e32 v33, 0x5c, v8
	v_or_b32_e32 v34, 0x60, v8
	v_or_b32_e32 v35, 0x64, v8
	v_or_b32_e32 v36, 0x68, v8
	v_or_b32_e32 v37, 0x6c, v8
	v_or_b32_e32 v38, 0x70, v8
	v_or_b32_e32 v39, 0x74, v8
	v_or_b32_e32 v40, 0x78, v8
	v_or_b32_e32 v41, 0x7c, v8
	v_mov_b32_e32 v15, v3
	s_branch .LBB50_7
.LBB50_5:                               ;   in Loop: Header=BB50_7 Depth=1
	s_or_b64 exec, exec, s[38:39]
.LBB50_6:                               ;   in Loop: Header=BB50_7 Depth=1
	s_or_b64 exec, exec, s[4:5]
	v_mov_b32_e32 v45, s11
	v_add_co_u32_e32 v46, vcc, s10, v2
	v_addc_co_u32_e32 v47, vcc, v45, v16, vcc
	v_mov_b32_e32 v44, s9
	v_add_co_u32_e32 v48, vcc, s8, v2
	v_addc_co_u32_e32 v49, vcc, v44, v16, vcc
	global_load_dword v57, v[46:47], off
	v_mov_b32_e32 v45, s37
	v_add_co_u32_e32 v46, vcc, s36, v46
	v_addc_co_u32_e32 v47, vcc, v47, v45, vcc
	global_load_dword v44, v[48:49], off
	v_add_co_u32_e32 v48, vcc, s36, v48
	v_addc_co_u32_e32 v49, vcc, v49, v45, vcc
	v_add_co_u32_e32 v50, vcc, s36, v46
	v_addc_co_u32_e32 v51, vcc, v47, v45, vcc
	;; [unrolled: 2-line block ×3, first 2 shown]
	v_add_co_u32_e32 v54, vcc, s36, v50
	global_load_dword v58, v[46:47], off
	v_addc_co_u32_e32 v55, vcc, v51, v45, vcc
	global_load_dword v46, v[48:49], off
	v_add_co_u32_e32 v49, vcc, s36, v52
	global_load_dword v59, v[50:51], off
	global_load_dword v47, v[52:53], off
	global_load_dword v60, v[54:55], off
	v_addc_co_u32_e32 v50, vcc, v53, v45, vcc
	global_load_dword v48, v[49:50], off
	v_add_co_u32_e32 v51, vcc, s36, v54
	v_addc_co_u32_e32 v52, vcc, v55, v45, vcc
	v_add_co_u32_e32 v49, vcc, s36, v49
	v_addc_co_u32_e32 v50, vcc, v50, v45, vcc
	;; [unrolled: 2-line block ×3, first 2 shown]
	global_load_dword v70, v[51:52], off
	global_load_dword v71, v[53:54], off
	v_add_co_u32_e32 v51, vcc, s36, v49
	global_load_dword v49, v[49:50], off
	s_waitcnt vmcnt(12)
	ds_bpermute_b32 v61, v8, v43
	ds_bpermute_b32 v63, v9, v43
	s_waitcnt vmcnt(11)
	ds_bpermute_b32 v62, v8, v42
	ds_bpermute_b32 v65, v10, v43
	ds_bpermute_b32 v64, v9, v42
	ds_bpermute_b32 v67, v11, v43
	ds_bpermute_b32 v66, v10, v42
	v_addc_co_u32_e32 v52, vcc, v50, v45, vcc
	v_add_co_u32_e32 v55, vcc, s36, v53
	v_addc_co_u32_e32 v56, vcc, v54, v45, vcc
	ds_bpermute_b32 v69, v12, v43
	ds_bpermute_b32 v68, v11, v42
	s_add_u32 s24, s24, s28
	s_addc_u32 s25, s25, 0
	v_add_co_u32_e64 v2, s[4:5], s34, v2
	s_waitcnt vmcnt(10) lgkmcnt(8)
	v_sub_f32_e32 v50, v57, v61
	s_waitcnt vmcnt(9)
	v_mul_f32_e32 v50, v44, v50
	s_waitcnt lgkmcnt(6)
	v_fmac_f32_e32 v3, v50, v62
	v_add_f32_e32 v15, v15, v44
	v_mov_b32_e32 v44, s35
	v_addc_co_u32_e64 v16, s[4:5], v16, v44, s[4:5]
	s_waitcnt vmcnt(8)
	v_sub_f32_e32 v53, v58, v63
	s_waitcnt vmcnt(7)
	v_mul_f32_e32 v50, v46, v53
	s_waitcnt vmcnt(6) lgkmcnt(5)
	v_sub_f32_e32 v53, v59, v65
	s_waitcnt lgkmcnt(4)
	v_fmac_f32_e32 v3, v50, v64
	s_waitcnt vmcnt(5)
	v_mul_f32_e32 v50, v47, v53
	s_waitcnt vmcnt(4) lgkmcnt(3)
	v_sub_f32_e32 v53, v60, v67
	s_waitcnt lgkmcnt(2)
	v_fmac_f32_e32 v3, v50, v66
	s_waitcnt vmcnt(3)
	v_mul_f32_e32 v59, v48, v53
	v_add_co_u32_e32 v53, vcc, s36, v51
	v_addc_co_u32_e32 v54, vcc, v52, v45, vcc
	global_load_dword v50, v[51:52], off
	v_add_co_u32_e32 v57, vcc, s36, v55
	v_addc_co_u32_e32 v58, vcc, v56, v45, vcc
	global_load_dword v60, v[55:56], off
	global_load_dword v61, v[57:58], off
	v_add_co_u32_e32 v55, vcc, s36, v53
	v_addc_co_u32_e32 v56, vcc, v54, v45, vcc
	global_load_dword v51, v[53:54], off
	v_add_co_u32_e32 v53, vcc, s36, v57
	v_addc_co_u32_e32 v54, vcc, v58, v45, vcc
	v_add_co_u32_e32 v57, vcc, s36, v55
	global_load_dword v52, v[55:56], off
	v_addc_co_u32_e32 v58, vcc, v56, v45, vcc
	global_load_dword v63, v[57:58], off
	v_add_co_u32_e32 v55, vcc, s36, v53
	v_addc_co_u32_e32 v56, vcc, v54, v45, vcc
	global_load_dword v62, v[53:54], off
	v_add_co_u32_e32 v53, vcc, s36, v57
	v_addc_co_u32_e32 v54, vcc, v58, v45, vcc
	v_add_co_u32_e32 v57, vcc, s36, v55
	global_load_dword v64, v[55:56], off
	v_addc_co_u32_e32 v58, vcc, v56, v45, vcc
	global_load_dword v65, v[53:54], off
	v_add_co_u32_e32 v55, vcc, s36, v53
	v_addc_co_u32_e32 v56, vcc, v54, v45, vcc
	v_add_co_u32_e32 v53, vcc, s36, v57
	v_addc_co_u32_e32 v54, vcc, v58, v45, vcc
	global_load_dword v66, v[57:58], off
	v_add_co_u32_e32 v57, vcc, s36, v55
	global_load_dword v67, v[55:56], off
	v_addc_co_u32_e32 v58, vcc, v56, v45, vcc
	global_load_dword v72, v[53:54], off
	v_add_co_u32_e32 v55, vcc, s36, v53
	global_load_dword v73, v[57:58], off
	v_addc_co_u32_e32 v56, vcc, v54, v45, vcc
	v_add_co_u32_e32 v53, vcc, s36, v57
	v_addc_co_u32_e32 v54, vcc, v58, v45, vcc
	v_add_co_u32_e32 v57, vcc, s36, v55
	v_addc_co_u32_e32 v58, vcc, v56, v45, vcc
	global_load_dword v74, v[55:56], off
	global_load_dword v75, v[53:54], off
	v_add_co_u32_e32 v53, vcc, s36, v53
	v_addc_co_u32_e32 v54, vcc, v54, v45, vcc
	global_load_dword v76, v[57:58], off
	global_load_dword v77, v[53:54], off
	s_waitcnt vmcnt(19) lgkmcnt(1)
	v_sub_f32_e32 v55, v70, v69
	s_waitcnt lgkmcnt(0)
	v_fmac_f32_e32 v3, v59, v68
	s_waitcnt vmcnt(17)
	v_mul_f32_e32 v59, v49, v55
	v_add_co_u32_e32 v55, vcc, s36, v57
	v_addc_co_u32_e32 v56, vcc, v58, v45, vcc
	v_add_co_u32_e32 v53, vcc, s36, v53
	v_addc_co_u32_e32 v54, vcc, v54, v45, vcc
	;; [unrolled: 2-line block ×3, first 2 shown]
	ds_bpermute_b32 v68, v12, v42
	global_load_dword v70, v[55:56], off
	v_add_co_u32_e32 v55, vcc, s36, v53
	ds_bpermute_b32 v69, v13, v43
	v_addc_co_u32_e32 v56, vcc, v54, v45, vcc
	global_load_dword v78, v[53:54], off
	v_add_co_u32_e32 v53, vcc, s36, v57
	v_addc_co_u32_e32 v54, vcc, v58, v45, vcc
	global_load_dword v79, v[57:58], off
	global_load_dword v80, v[55:56], off
	ds_bpermute_b32 v58, v13, v42
	s_waitcnt lgkmcnt(2)
	v_fmac_f32_e32 v3, v59, v68
	ds_bpermute_b32 v68, v14, v43
	s_waitcnt lgkmcnt(2)
	v_sub_f32_e32 v59, v71, v69
	s_waitcnt vmcnt(20)
	v_mul_f32_e32 v59, v50, v59
	v_add_co_u32_e32 v55, vcc, s36, v55
	s_waitcnt lgkmcnt(1)
	v_fmac_f32_e32 v3, v59, v58
	ds_bpermute_b32 v58, v14, v42
	ds_bpermute_b32 v59, v17, v43
	v_addc_co_u32_e32 v56, vcc, v56, v45, vcc
	global_load_dword v57, v[53:54], off
	global_load_dword v81, v[55:56], off
	s_waitcnt vmcnt(21) lgkmcnt(2)
	v_sub_f32_e32 v60, v60, v68
	ds_bpermute_b32 v68, v17, v42
	s_waitcnt vmcnt(19)
	v_mul_f32_e32 v60, v51, v60
	s_waitcnt lgkmcnt(2)
	v_fmac_f32_e32 v3, v60, v58
	s_waitcnt lgkmcnt(1)
	v_sub_f32_e32 v58, v61, v59
	ds_bpermute_b32 v59, v18, v43
	s_waitcnt vmcnt(18)
	v_mul_f32_e32 v58, v52, v58
	s_waitcnt lgkmcnt(1)
	v_fmac_f32_e32 v3, v58, v68
	ds_bpermute_b32 v58, v18, v42
	ds_bpermute_b32 v60, v19, v43
	;; [unrolled: 1-line block ×3, first 2 shown]
	s_waitcnt vmcnt(16) lgkmcnt(3)
	v_sub_f32_e32 v59, v62, v59
	v_mul_f32_e32 v59, v63, v59
	s_waitcnt lgkmcnt(2)
	v_fmac_f32_e32 v3, v59, v58
	s_waitcnt vmcnt(15) lgkmcnt(1)
	v_sub_f32_e32 v58, v64, v60
	ds_bpermute_b32 v59, v20, v43
	s_waitcnt vmcnt(14)
	v_mul_f32_e32 v58, v65, v58
	s_waitcnt lgkmcnt(1)
	v_fmac_f32_e32 v3, v58, v61
	ds_bpermute_b32 v58, v20, v42
	ds_bpermute_b32 v60, v21, v43
	;; [unrolled: 1-line block ×3, first 2 shown]
	s_waitcnt vmcnt(13) lgkmcnt(3)
	v_sub_f32_e32 v59, v66, v59
	s_waitcnt vmcnt(12)
	v_mul_f32_e32 v59, v67, v59
	s_waitcnt lgkmcnt(2)
	v_fmac_f32_e32 v3, v59, v58
	s_waitcnt vmcnt(11) lgkmcnt(1)
	v_sub_f32_e32 v58, v72, v60
	ds_bpermute_b32 v59, v22, v43
	s_waitcnt vmcnt(10)
	v_mul_f32_e32 v58, v73, v58
	s_waitcnt lgkmcnt(1)
	v_fmac_f32_e32 v3, v58, v61
	ds_bpermute_b32 v58, v22, v42
	ds_bpermute_b32 v60, v23, v43
	ds_bpermute_b32 v61, v23, v42
	v_add_co_u32_e32 v53, vcc, s36, v53
	s_waitcnt vmcnt(9) lgkmcnt(3)
	v_sub_f32_e32 v59, v74, v59
	s_waitcnt vmcnt(8)
	v_mul_f32_e32 v59, v75, v59
	v_addc_co_u32_e32 v54, vcc, v54, v45, vcc
	s_waitcnt lgkmcnt(2)
	v_fmac_f32_e32 v3, v59, v58
	s_waitcnt vmcnt(7) lgkmcnt(1)
	v_sub_f32_e32 v58, v76, v60
	v_add_co_u32_e32 v55, vcc, s36, v55
	s_waitcnt vmcnt(6)
	v_mul_f32_e32 v58, v77, v58
	global_load_dword v60, v[53:54], off
	v_addc_co_u32_e32 v56, vcc, v56, v45, vcc
	s_waitcnt lgkmcnt(0)
	v_fmac_f32_e32 v3, v58, v61
	global_load_dword v61, v[55:56], off
	v_add_co_u32_e32 v53, vcc, s36, v53
	v_addc_co_u32_e32 v54, vcc, v54, v45, vcc
	v_add_co_u32_e32 v55, vcc, s36, v55
	v_addc_co_u32_e32 v56, vcc, v56, v45, vcc
	global_load_dword v62, v[53:54], off
	global_load_dword v64, v[55:56], off
	ds_bpermute_b32 v58, v24, v43
	ds_bpermute_b32 v59, v24, v42
	;; [unrolled: 1-line block ×4, first 2 shown]
	v_add_co_u32_e32 v53, vcc, s36, v53
	s_waitcnt vmcnt(9) lgkmcnt(3)
	v_sub_f32_e32 v58, v70, v58
	s_waitcnt vmcnt(8)
	v_mul_f32_e32 v58, v78, v58
	s_waitcnt lgkmcnt(2)
	v_fmac_f32_e32 v3, v58, v59
	ds_bpermute_b32 v59, v26, v43
	ds_bpermute_b32 v58, v25, v42
	s_waitcnt vmcnt(7) lgkmcnt(3)
	v_sub_f32_e32 v66, v79, v66
	v_addc_co_u32_e32 v54, vcc, v54, v45, vcc
	s_waitcnt vmcnt(6)
	v_mul_f32_e32 v66, v80, v66
	v_add_co_u32_e32 v55, vcc, s36, v55
	s_waitcnt lgkmcnt(0)
	v_fmac_f32_e32 v3, v66, v58
	v_addc_co_u32_e32 v56, vcc, v56, v45, vcc
	global_load_dword v66, v[53:54], off
	v_add_f32_e32 v15, v15, v46
	s_waitcnt vmcnt(6)
	v_sub_f32_e32 v57, v57, v59
	s_waitcnt vmcnt(5)
	v_mul_f32_e32 v57, v81, v57
	v_fmac_f32_e32 v3, v57, v68
	global_load_dword v68, v[55:56], off
	v_add_co_u32_e32 v57, vcc, s36, v53
	v_addc_co_u32_e32 v58, vcc, v54, v45, vcc
	v_add_co_u32_e32 v53, vcc, s36, v55
	v_addc_co_u32_e32 v54, vcc, v56, v45, vcc
	global_load_dword v69, v[57:58], off
	global_load_dword v70, v[53:54], off
	v_add_co_u32_e32 v55, vcc, s36, v57
	v_addc_co_u32_e32 v56, vcc, v58, v45, vcc
	v_add_co_u32_e32 v57, vcc, s36, v53
	v_addc_co_u32_e32 v58, vcc, v54, v45, vcc
	global_load_dword v71, v[55:56], off
	v_add_co_u32_e32 v53, vcc, s36, v55
	global_load_dword v72, v[57:58], off
	v_addc_co_u32_e32 v54, vcc, v56, v45, vcc
	v_add_co_u32_e32 v55, vcc, s36, v57
	v_addc_co_u32_e32 v56, vcc, v58, v45, vcc
	v_add_co_u32_e32 v57, vcc, s36, v53
	v_addc_co_u32_e32 v58, vcc, v54, v45, vcc
	global_load_dword v74, v[53:54], off
	global_load_dword v76, v[55:56], off
	v_add_co_u32_e32 v53, vcc, s36, v55
	v_addc_co_u32_e32 v54, vcc, v56, v45, vcc
	global_load_dword v79, v[57:58], off
	global_load_dword v82, v[53:54], off
	ds_bpermute_b32 v59, v27, v43
	ds_bpermute_b32 v56, v27, v42
	v_add_f32_e32 v15, v15, v47
	v_add_f32_e32 v15, v15, v48
	;; [unrolled: 1-line block ×3, first 2 shown]
	s_waitcnt vmcnt(13) lgkmcnt(1)
	v_sub_f32_e32 v55, v60, v59
	s_waitcnt vmcnt(12)
	v_mul_f32_e32 v55, v61, v55
	s_waitcnt lgkmcnt(0)
	v_fmac_f32_e32 v3, v55, v56
	ds_bpermute_b32 v55, v28, v43
	ds_bpermute_b32 v56, v28, v42
	;; [unrolled: 1-line block ×3, first 2 shown]
	v_add_f32_e32 v15, v15, v50
	v_add_f32_e32 v15, v15, v51
	;; [unrolled: 1-line block ×3, first 2 shown]
	s_waitcnt vmcnt(11) lgkmcnt(2)
	v_sub_f32_e32 v55, v62, v55
	s_waitcnt vmcnt(10)
	v_mul_f32_e32 v55, v64, v55
	s_waitcnt lgkmcnt(1)
	v_fmac_f32_e32 v3, v55, v56
	v_add_co_u32_e32 v55, vcc, s36, v57
	v_addc_co_u32_e32 v56, vcc, v58, v45, vcc
	v_add_co_u32_e32 v53, vcc, s36, v53
	v_addc_co_u32_e32 v54, vcc, v54, v45, vcc
	global_load_dword v57, v[55:56], off
	global_load_dword v59, v[53:54], off
	ds_bpermute_b32 v58, v29, v43
	ds_bpermute_b32 v62, v31, v43
	v_add_co_u32_e32 v55, vcc, s36, v55
	v_addc_co_u32_e32 v56, vcc, v56, v45, vcc
	v_add_co_u32_e32 v53, vcc, s36, v53
	v_addc_co_u32_e32 v54, vcc, v54, v45, vcc
	s_waitcnt vmcnt(11) lgkmcnt(1)
	v_sub_f32_e32 v58, v66, v58
	ds_bpermute_b32 v66, v33, v42
	v_add_f32_e32 v15, v15, v63
	v_add_f32_e32 v15, v15, v65
	;; [unrolled: 1-line block ×3, first 2 shown]
	s_waitcnt vmcnt(10)
	v_mul_f32_e32 v58, v68, v58
	v_fmac_f32_e32 v3, v58, v60
	ds_bpermute_b32 v58, v30, v43
	ds_bpermute_b32 v60, v30, v42
	v_add_f32_e32 v15, v15, v73
	v_add_f32_e32 v15, v15, v75
	;; [unrolled: 1-line block ×5, first 2 shown]
	s_waitcnt vmcnt(9) lgkmcnt(1)
	v_sub_f32_e32 v58, v69, v58
	s_waitcnt vmcnt(8)
	v_mul_f32_e32 v58, v70, v58
	s_waitcnt lgkmcnt(0)
	v_fmac_f32_e32 v3, v58, v60
	ds_bpermute_b32 v58, v31, v42
	v_add_f32_e32 v15, v15, v81
	v_add_f32_e32 v15, v15, v61
	;; [unrolled: 1-line block ×5, first 2 shown]
	s_waitcnt vmcnt(7)
	v_sub_f32_e32 v60, v71, v62
	ds_bpermute_b32 v62, v32, v43
	s_waitcnt vmcnt(6)
	v_mul_f32_e32 v60, v72, v60
	s_waitcnt lgkmcnt(1)
	v_fmac_f32_e32 v3, v60, v58
	ds_bpermute_b32 v58, v32, v42
	ds_bpermute_b32 v60, v33, v43
	v_add_f32_e32 v15, v15, v72
	s_waitcnt vmcnt(5) lgkmcnt(2)
	v_sub_f32_e32 v62, v74, v62
	s_waitcnt vmcnt(4)
	v_mul_f32_e32 v62, v76, v62
	s_waitcnt lgkmcnt(1)
	v_fmac_f32_e32 v3, v62, v58
	ds_bpermute_b32 v62, v34, v42
	v_add_f32_e32 v15, v15, v76
	s_waitcnt vmcnt(3) lgkmcnt(1)
	v_sub_f32_e32 v58, v79, v60
	s_waitcnt vmcnt(2)
	v_mul_f32_e32 v58, v82, v58
	v_fmac_f32_e32 v3, v58, v66
	global_load_dword v58, v[55:56], off
	global_load_dword v66, v[53:54], off
	v_add_co_u32_e32 v55, vcc, s36, v55
	v_addc_co_u32_e32 v56, vcc, v56, v45, vcc
	v_add_co_u32_e32 v53, vcc, s36, v53
	ds_bpermute_b32 v60, v34, v43
	v_addc_co_u32_e32 v54, vcc, v54, v45, vcc
	global_load_dword v69, v[55:56], off
	global_load_dword v71, v[53:54], off
	v_add_co_u32_e32 v55, vcc, s36, v55
	v_addc_co_u32_e32 v56, vcc, v56, v45, vcc
	v_add_co_u32_e32 v53, vcc, s36, v53
	v_addc_co_u32_e32 v54, vcc, v54, v45, vcc
	v_add_f32_e32 v15, v15, v82
	s_waitcnt vmcnt(5) lgkmcnt(0)
	v_sub_f32_e32 v57, v57, v60
	s_waitcnt vmcnt(4)
	v_mul_f32_e32 v57, v59, v57
	v_fmac_f32_e32 v3, v57, v62
	global_load_dword v57, v[55:56], off
	global_load_dword v60, v[53:54], off
	ds_bpermute_b32 v62, v35, v43
	v_add_co_u32_e32 v55, vcc, s36, v55
	v_addc_co_u32_e32 v56, vcc, v56, v45, vcc
	v_add_co_u32_e32 v53, vcc, s36, v53
	v_addc_co_u32_e32 v54, vcc, v54, v45, vcc
	v_add_f32_e32 v15, v15, v59
	s_waitcnt vmcnt(5) lgkmcnt(0)
	v_sub_f32_e32 v58, v58, v62
	ds_bpermute_b32 v62, v35, v42
	s_waitcnt vmcnt(4)
	v_mul_f32_e32 v58, v66, v58
	v_add_f32_e32 v15, v15, v66
	s_waitcnt lgkmcnt(0)
	v_fmac_f32_e32 v3, v58, v62
	ds_bpermute_b32 v58, v36, v43
	ds_bpermute_b32 v62, v36, v42
	s_waitcnt vmcnt(2)
	v_add_f32_e32 v15, v15, v71
	s_waitcnt lgkmcnt(1)
	v_sub_f32_e32 v58, v69, v58
	v_mul_f32_e32 v58, v71, v58
	s_waitcnt lgkmcnt(0)
	v_fmac_f32_e32 v3, v58, v62
	ds_bpermute_b32 v58, v37, v43
	ds_bpermute_b32 v62, v37, v42
	global_load_dword v69, v[53:54], off
	s_waitcnt vmcnt(2) lgkmcnt(1)
	v_sub_f32_e32 v57, v57, v58
	s_waitcnt vmcnt(1)
	v_mul_f32_e32 v57, v60, v57
	s_waitcnt lgkmcnt(0)
	v_fmac_f32_e32 v3, v57, v62
	global_load_dword v62, v[55:56], off
	v_add_co_u32_e32 v57, vcc, s36, v55
	v_addc_co_u32_e32 v58, vcc, v56, v45, vcc
	v_add_co_u32_e32 v55, vcc, s36, v53
	v_addc_co_u32_e32 v56, vcc, v54, v45, vcc
	v_add_co_u32_e32 v53, vcc, s36, v57
	global_load_dword v74, v[57:58], off
	v_addc_co_u32_e32 v54, vcc, v58, v45, vcc
	global_load_dword v79, v[55:56], off
	v_add_co_u32_e32 v57, vcc, s36, v55
	v_addc_co_u32_e32 v58, vcc, v56, v45, vcc
	v_add_co_u32_e32 v55, vcc, s36, v53
	v_addc_co_u32_e32 v56, vcc, v54, v45, vcc
	global_load_dword v83, v[53:54], off
	v_add_co_u32_e32 v53, vcc, s36, v57
	v_addc_co_u32_e32 v54, vcc, v58, v45, vcc
	global_load_dword v45, v[57:58], off
	s_nop 0
	global_load_dword v57, v[55:56], off
	global_load_dword v58, v[53:54], off
	ds_bpermute_b32 v53, v38, v43
	ds_bpermute_b32 v54, v38, v42
	;; [unrolled: 1-line block ×3, first 2 shown]
	v_add_co_u32_e32 v6, vcc, s30, v6
	v_add_f32_e32 v15, v15, v60
	s_waitcnt vmcnt(7)
	v_add_f32_e32 v15, v15, v69
	s_waitcnt vmcnt(6) lgkmcnt(2)
	v_sub_f32_e32 v53, v62, v53
	v_mul_f32_e32 v53, v69, v53
	s_waitcnt lgkmcnt(1)
	v_fmac_f32_e32 v3, v53, v54
	ds_bpermute_b32 v53, v39, v43
	ds_bpermute_b32 v54, v39, v42
	;; [unrolled: 1-line block ×3, first 2 shown]
	s_waitcnt vmcnt(5) lgkmcnt(2)
	v_sub_f32_e32 v53, v74, v53
	s_waitcnt vmcnt(4)
	v_mul_f32_e32 v53, v79, v53
	s_waitcnt lgkmcnt(1)
	v_fmac_f32_e32 v3, v53, v54
	ds_bpermute_b32 v53, v40, v42
	ds_bpermute_b32 v42, v41, v42
	v_add_f32_e32 v15, v15, v79
	s_waitcnt vmcnt(3)
	v_sub_f32_e32 v54, v83, v55
	s_waitcnt vmcnt(2)
	v_mul_f32_e32 v54, v45, v54
	s_waitcnt vmcnt(1) lgkmcnt(2)
	v_sub_f32_e32 v43, v57, v43
	s_waitcnt lgkmcnt(1)
	v_fmac_f32_e32 v3, v54, v53
	s_waitcnt vmcnt(0)
	v_mul_f32_e32 v43, v58, v43
	s_waitcnt lgkmcnt(0)
	v_fmac_f32_e32 v3, v43, v42
	v_mov_b32_e32 v42, s31
	v_addc_co_u32_e32 v7, vcc, v7, v42, vcc
	v_add_co_u32_e32 v4, vcc, s28, v4
	v_mov_b32_e32 v43, s17
	v_addc_co_u32_e32 v5, vcc, 0, v5, vcc
	v_mov_b32_e32 v42, s16
	v_cmp_lt_i64_e32 vcc, s[24:25], v[42:43]
	v_add_f32_e32 v15, v15, v45
	v_add_f32_e32 v15, v15, v58
	s_cbranch_vccz .LBB50_10
.LBB50_7:                               ; =>This Inner Loop Header: Depth=1
	v_mov_b32_e32 v42, 0
	v_mov_b32_e32 v43, 0
	s_and_saveexec_b64 s[4:5], s[0:1]
	s_cbranch_execz .LBB50_6
; %bb.8:                                ;   in Loop: Header=BB50_7 Depth=1
	v_cmp_gt_i64_e32 vcc, s[16:17], v[4:5]
	v_mov_b32_e32 v43, 0
	v_mov_b32_e32 v42, 0
	s_and_saveexec_b64 s[38:39], vcc
	s_cbranch_execz .LBB50_5
; %bb.9:                                ;   in Loop: Header=BB50_7 Depth=1
	v_mov_b32_e32 v42, s15
	v_add_co_u32_e32 v44, vcc, s14, v6
	v_addc_co_u32_e32 v45, vcc, v42, v7, vcc
	v_mov_b32_e32 v42, s13
	v_add_co_u32_e32 v46, vcc, s12, v6
	v_addc_co_u32_e32 v47, vcc, v42, v7, vcc
	global_load_dword v43, v[46:47], off
	global_load_dword v42, v[44:45], off
	s_branch .LBB50_5
.LBB50_10:
	s_load_dword s0, s[26:27], 0xc
	v_mov_b32_e32 v2, 0
	v_mov_b32_e32 v4, s2
	s_mov_b32 s7, 0
	s_waitcnt lgkmcnt(0)
	s_lshr_b32 s0, s0, 16
	v_mad_u64_u32 v[4:5], s[0:1], s0, v4, v[1:2]
	s_lshl_b64 s[0:1], s[6:7], 6
	v_or_b32_e32 v0, s0, v0
	v_mul_lo_u32 v2, v5, s18
	v_mul_lo_u32 v5, v4, s19
	v_mov_b32_e32 v1, s1
	v_lshlrev_b64 v[0:1], 2, v[0:1]
	s_cmp_eq_u64 s[20:21], 0
	s_cbranch_scc1 .LBB50_12
; %bb.11:
	v_mad_u64_u32 v[6:7], s[0:1], v4, s18, 0
	v_mov_b32_e32 v8, s21
	v_add3_u32 v7, v7, v5, v2
	v_lshlrev_b64 v[6:7], 2, v[6:7]
	v_add_co_u32_e32 v6, vcc, s20, v6
	v_addc_co_u32_e32 v7, vcc, v8, v7, vcc
	v_add_co_u32_e32 v6, vcc, v6, v0
	v_addc_co_u32_e32 v7, vcc, v7, v1, vcc
	global_store_dword v[6:7], v3, off
.LBB50_12:
	s_cmp_eq_u64 s[22:23], 0
	s_cbranch_scc1 .LBB50_14
; %bb.13:
	v_mad_u64_u32 v[3:4], s[0:1], v4, s18, 0
	v_mov_b32_e32 v6, s23
	v_add3_u32 v4, v4, v5, v2
	v_lshlrev_b64 v[2:3], 2, v[3:4]
	v_add_co_u32_e32 v2, vcc, s22, v2
	v_addc_co_u32_e32 v3, vcc, v6, v3, vcc
	v_add_co_u32_e32 v0, vcc, v2, v0
	v_addc_co_u32_e32 v1, vcc, v3, v1, vcc
	global_store_dword v[0:1], v15, off
.LBB50_14:
	s_endpgm
	.section	.rodata,"a",@progbits
	.p2align	6, 0x0
	.amdhsa_kernel _ZN2at6native12_GLOBAL__N_135GammaBetaBackwardCUDAKernelTemplateIffLj64ELj1ELj32ELb1ELb1ELb0EEEvllPKT_S5_PKT0_S8_PS3_S9_
		.amdhsa_group_segment_fixed_size 0
		.amdhsa_private_segment_fixed_size 0
		.amdhsa_kernarg_size 320
		.amdhsa_user_sgpr_count 6
		.amdhsa_user_sgpr_private_segment_buffer 1
		.amdhsa_user_sgpr_dispatch_ptr 0
		.amdhsa_user_sgpr_queue_ptr 0
		.amdhsa_user_sgpr_kernarg_segment_ptr 1
		.amdhsa_user_sgpr_dispatch_id 0
		.amdhsa_user_sgpr_flat_scratch_init 0
		.amdhsa_user_sgpr_private_segment_size 0
		.amdhsa_uses_dynamic_stack 0
		.amdhsa_system_sgpr_private_segment_wavefront_offset 0
		.amdhsa_system_sgpr_workgroup_id_x 1
		.amdhsa_system_sgpr_workgroup_id_y 1
		.amdhsa_system_sgpr_workgroup_id_z 0
		.amdhsa_system_sgpr_workgroup_info 0
		.amdhsa_system_vgpr_workitem_id 1
		.amdhsa_next_free_vgpr 84
		.amdhsa_next_free_sgpr 40
		.amdhsa_reserve_vcc 1
		.amdhsa_reserve_flat_scratch 0
		.amdhsa_float_round_mode_32 0
		.amdhsa_float_round_mode_16_64 0
		.amdhsa_float_denorm_mode_32 3
		.amdhsa_float_denorm_mode_16_64 3
		.amdhsa_dx10_clamp 1
		.amdhsa_ieee_mode 1
		.amdhsa_fp16_overflow 0
		.amdhsa_exception_fp_ieee_invalid_op 0
		.amdhsa_exception_fp_denorm_src 0
		.amdhsa_exception_fp_ieee_div_zero 0
		.amdhsa_exception_fp_ieee_overflow 0
		.amdhsa_exception_fp_ieee_underflow 0
		.amdhsa_exception_fp_ieee_inexact 0
		.amdhsa_exception_int_div_zero 0
	.end_amdhsa_kernel
	.section	.text._ZN2at6native12_GLOBAL__N_135GammaBetaBackwardCUDAKernelTemplateIffLj64ELj1ELj32ELb1ELb1ELb0EEEvllPKT_S5_PKT0_S8_PS3_S9_,"axG",@progbits,_ZN2at6native12_GLOBAL__N_135GammaBetaBackwardCUDAKernelTemplateIffLj64ELj1ELj32ELb1ELb1ELb0EEEvllPKT_S5_PKT0_S8_PS3_S9_,comdat
.Lfunc_end50:
	.size	_ZN2at6native12_GLOBAL__N_135GammaBetaBackwardCUDAKernelTemplateIffLj64ELj1ELj32ELb1ELb1ELb0EEEvllPKT_S5_PKT0_S8_PS3_S9_, .Lfunc_end50-_ZN2at6native12_GLOBAL__N_135GammaBetaBackwardCUDAKernelTemplateIffLj64ELj1ELj32ELb1ELb1ELb0EEEvllPKT_S5_PKT0_S8_PS3_S9_
                                        ; -- End function
	.set _ZN2at6native12_GLOBAL__N_135GammaBetaBackwardCUDAKernelTemplateIffLj64ELj1ELj32ELb1ELb1ELb0EEEvllPKT_S5_PKT0_S8_PS3_S9_.num_vgpr, 84
	.set _ZN2at6native12_GLOBAL__N_135GammaBetaBackwardCUDAKernelTemplateIffLj64ELj1ELj32ELb1ELb1ELb0EEEvllPKT_S5_PKT0_S8_PS3_S9_.num_agpr, 0
	.set _ZN2at6native12_GLOBAL__N_135GammaBetaBackwardCUDAKernelTemplateIffLj64ELj1ELj32ELb1ELb1ELb0EEEvllPKT_S5_PKT0_S8_PS3_S9_.numbered_sgpr, 40
	.set _ZN2at6native12_GLOBAL__N_135GammaBetaBackwardCUDAKernelTemplateIffLj64ELj1ELj32ELb1ELb1ELb0EEEvllPKT_S5_PKT0_S8_PS3_S9_.num_named_barrier, 0
	.set _ZN2at6native12_GLOBAL__N_135GammaBetaBackwardCUDAKernelTemplateIffLj64ELj1ELj32ELb1ELb1ELb0EEEvllPKT_S5_PKT0_S8_PS3_S9_.private_seg_size, 0
	.set _ZN2at6native12_GLOBAL__N_135GammaBetaBackwardCUDAKernelTemplateIffLj64ELj1ELj32ELb1ELb1ELb0EEEvllPKT_S5_PKT0_S8_PS3_S9_.uses_vcc, 1
	.set _ZN2at6native12_GLOBAL__N_135GammaBetaBackwardCUDAKernelTemplateIffLj64ELj1ELj32ELb1ELb1ELb0EEEvllPKT_S5_PKT0_S8_PS3_S9_.uses_flat_scratch, 0
	.set _ZN2at6native12_GLOBAL__N_135GammaBetaBackwardCUDAKernelTemplateIffLj64ELj1ELj32ELb1ELb1ELb0EEEvllPKT_S5_PKT0_S8_PS3_S9_.has_dyn_sized_stack, 0
	.set _ZN2at6native12_GLOBAL__N_135GammaBetaBackwardCUDAKernelTemplateIffLj64ELj1ELj32ELb1ELb1ELb0EEEvllPKT_S5_PKT0_S8_PS3_S9_.has_recursion, 0
	.set _ZN2at6native12_GLOBAL__N_135GammaBetaBackwardCUDAKernelTemplateIffLj64ELj1ELj32ELb1ELb1ELb0EEEvllPKT_S5_PKT0_S8_PS3_S9_.has_indirect_call, 0
	.section	.AMDGPU.csdata,"",@progbits
; Kernel info:
; codeLenInByte = 3288
; TotalNumSgprs: 44
; NumVgprs: 84
; ScratchSize: 0
; MemoryBound: 0
; FloatMode: 240
; IeeeMode: 1
; LDSByteSize: 0 bytes/workgroup (compile time only)
; SGPRBlocks: 5
; VGPRBlocks: 20
; NumSGPRsForWavesPerEU: 44
; NumVGPRsForWavesPerEU: 84
; Occupancy: 3
; WaveLimiterHint : 0
; COMPUTE_PGM_RSRC2:SCRATCH_EN: 0
; COMPUTE_PGM_RSRC2:USER_SGPR: 6
; COMPUTE_PGM_RSRC2:TRAP_HANDLER: 0
; COMPUTE_PGM_RSRC2:TGID_X_EN: 1
; COMPUTE_PGM_RSRC2:TGID_Y_EN: 1
; COMPUTE_PGM_RSRC2:TGID_Z_EN: 0
; COMPUTE_PGM_RSRC2:TIDIG_COMP_CNT: 1
	.section	.text._ZN2at6native12_GLOBAL__N_135GammaBetaBackwardCUDAKernelTemplateIffLj64ELj1ELj32ELb1ELb0ELb0EEEvllPKT_S5_PKT0_S8_PS3_S9_,"axG",@progbits,_ZN2at6native12_GLOBAL__N_135GammaBetaBackwardCUDAKernelTemplateIffLj64ELj1ELj32ELb1ELb0ELb0EEEvllPKT_S5_PKT0_S8_PS3_S9_,comdat
	.globl	_ZN2at6native12_GLOBAL__N_135GammaBetaBackwardCUDAKernelTemplateIffLj64ELj1ELj32ELb1ELb0ELb0EEEvllPKT_S5_PKT0_S8_PS3_S9_ ; -- Begin function _ZN2at6native12_GLOBAL__N_135GammaBetaBackwardCUDAKernelTemplateIffLj64ELj1ELj32ELb1ELb0ELb0EEEvllPKT_S5_PKT0_S8_PS3_S9_
	.p2align	8
	.type	_ZN2at6native12_GLOBAL__N_135GammaBetaBackwardCUDAKernelTemplateIffLj64ELj1ELj32ELb1ELb0ELb0EEEvllPKT_S5_PKT0_S8_PS3_S9_,@function
_ZN2at6native12_GLOBAL__N_135GammaBetaBackwardCUDAKernelTemplateIffLj64ELj1ELj32ELb1ELb0ELb0EEEvllPKT_S5_PKT0_S8_PS3_S9_: ; @_ZN2at6native12_GLOBAL__N_135GammaBetaBackwardCUDAKernelTemplateIffLj64ELj1ELj32ELb1ELb0ELb0EEEvllPKT_S5_PKT0_S8_PS3_S9_
; %bb.0:
	s_mov_b64 s[42:43], s[2:3]
	s_mov_b64 s[40:41], s[0:1]
	s_add_u32 s40, s40, s8
	s_mov_b32 s8, s7
	s_load_dwordx8 s[12:19], s[4:5], 0x0
	s_load_dwordx4 s[20:23], s[4:5], 0x20
	s_addc_u32 s41, s41, 0
	s_lshl_b32 s24, s8, 5
	s_lshl_b32 s7, s6, 6
	s_mov_b32 s25, 0
	v_mov_b32_e32 v4, s24
	s_or_b32 s0, s7, 63
	v_mov_b32_e32 v5, s25
	v_mov_b32_e32 v2, s0
	;; [unrolled: 1-line block ×3, first 2 shown]
	s_waitcnt lgkmcnt(0)
	v_cmp_gt_i64_e64 s[0:1], s[12:13], v[4:5]
	v_cmp_le_i64_e32 vcc, s[14:15], v[2:3]
	v_cndmask_b32_e64 v2, 0, 1, s[0:1]
	v_cmp_ne_u32_e64 s[0:1], 1, v2
	s_cbranch_vccz .LBB51_145
; %bb.1:
	s_and_b64 vcc, exec, s[0:1]
	v_mov_b32_e32 v142, 0
	s_cbranch_vccnz .LBB51_146
; %bb.2:
	v_lshlrev_b32_e32 v210, 5, v1
	v_add_co_u32_e32 v9, vcc, s24, v210
	v_addc_co_u32_e64 v10, s[2:3], 0, 0, vcc
	v_mul_lo_u32 v12, s15, v9
	v_mul_lo_u32 v11, s14, v10
	v_mad_u64_u32 v[7:8], s[2:3], s14, v9, 0
	s_load_dword s9, s[4:5], 0x44
	v_add_u32_e32 v3, s7, v0
	v_add3_u32 v8, v8, v11, v12
	v_lshlrev_b64 v[12:13], 2, v[7:8]
	v_mov_b32_e32 v4, 0
	s_add_u32 s26, s4, 64
	v_cmp_gt_i64_e64 s[2:3], s[14:15], v[3:4]
	v_lshlrev_b64 v[5:6], 2, v[3:4]
	v_mov_b32_e32 v3, s17
	v_add_co_u32_e32 v209, vcc, s16, v12
	s_addc_u32 s27, s5, 0
	s_waitcnt lgkmcnt(0)
	s_lshl_b32 s9, s9, 5
	v_addc_co_u32_e32 v11, vcc, v3, v13, vcc
	s_mul_i32 s10, s15, s9
	s_mul_hi_u32 s11, s14, s9
	v_add_co_u32_e32 v14, vcc, 31, v9
	s_add_i32 s11, s11, s10
	s_mul_i32 s10, s14, s9
	v_addc_co_u32_e32 v15, vcc, 0, v10, vcc
	s_lshl_b64 s[28:29], s[10:11], 2
	v_mul_lo_u32 v16, s15, v14
	v_mul_lo_u32 v17, s14, v15
	v_mad_u64_u32 v[14:15], s[10:11], s14, v14, 0
	v_mov_b32_e32 v3, s19
	v_add_co_u32_e32 v12, vcc, s18, v12
	v_add3_u32 v15, v15, v17, v16
	v_lshlrev_b64 v[16:17], 2, v[14:15]
	v_addc_co_u32_e32 v13, vcc, v3, v13, vcc
	v_mov_b32_e32 v3, s17
	v_add_co_u32_e32 v14, vcc, s16, v16
	v_addc_co_u32_e32 v15, vcc, v3, v17, vcc
	v_add_co_u32_e32 v18, vcc, 30, v9
	v_addc_co_u32_e32 v19, vcc, 0, v10, vcc
	v_mul_lo_u32 v20, s15, v18
	v_mul_lo_u32 v21, s14, v19
	v_mad_u64_u32 v[18:19], s[10:11], s14, v18, 0
	v_mov_b32_e32 v3, s19
	v_add_co_u32_e32 v16, vcc, s18, v16
	v_add3_u32 v19, v19, v21, v20
	v_lshlrev_b64 v[20:21], 2, v[18:19]
	v_addc_co_u32_e32 v17, vcc, v3, v17, vcc
	v_mov_b32_e32 v3, s17
	v_add_co_u32_e32 v18, vcc, s16, v20
	v_addc_co_u32_e32 v19, vcc, v3, v21, vcc
	v_add_co_u32_e32 v22, vcc, 29, v9
	v_addc_co_u32_e32 v23, vcc, 0, v10, vcc
	;; [unrolled: 13-line block ×29, first 2 shown]
	v_mul_lo_u32 v130, s15, v9
	v_mul_lo_u32 v131, s14, v10
	v_mad_u64_u32 v[9:10], s[10:11], s14, v9, 0
	v_mov_b32_e32 v3, s19
	v_add_co_u32_e32 v128, vcc, s18, v128
	v_add3_u32 v10, v10, v131, v130
	v_lshlrev_b64 v[9:10], 2, v[9:10]
	v_addc_co_u32_e32 v129, vcc, v3, v129, vcc
	v_mov_b32_e32 v3, s17
	v_add_co_u32_e32 v130, vcc, s16, v9
	v_addc_co_u32_e32 v131, vcc, v3, v10, vcc
	v_mov_b32_e32 v3, s19
	v_add_co_u32_e32 v132, vcc, s18, v9
	v_addc_co_u32_e32 v133, vcc, v3, v10, vcc
	v_mov_b32_e32 v3, s15
	v_add_co_u32_e32 v7, vcc, s14, v7
	v_addc_co_u32_e32 v8, vcc, v8, v3, vcc
	v_lshlrev_b64 v[7:8], 2, v[7:8]
	v_mov_b32_e32 v3, s17
	v_add_co_u32_e32 v134, vcc, s16, v7
	v_addc_co_u32_e32 v135, vcc, v3, v8, vcc
	v_mov_b32_e32 v3, s19
	v_add_co_u32_e32 v136, vcc, s18, v7
	v_addc_co_u32_e32 v137, vcc, v3, v8, vcc
	v_mbcnt_lo_u32_b32 v3, -1, 0
	v_mbcnt_hi_u32_b32 v3, -1, v3
	v_lshlrev_b32_e32 v3, 2, v3
	v_mov_b32_e32 v2, v4
	s_mov_b64 s[30:31], 31
	v_and_b32_e32 v138, 0x100, v3
	v_mov_b32_e32 v139, 0
	v_mov_b32_e32 v3, 0
	s_mov_b64 s[34:35], s[24:25]
.LBB51_3:                               ; =>This Inner Loop Header: Depth=1
	s_add_u32 s10, s24, s30
	v_mov_b32_e32 v7, s12
	s_addc_u32 s11, 0, s31
	v_mov_b32_e32 v8, s13
	v_cmp_ge_i64_e32 vcc, s[10:11], v[7:8]
	v_add_co_u32_e64 v7, s[10:11], s24, v210
	v_addc_co_u32_e64 v8, s[10:11], 0, v2, s[10:11]
	s_mov_b64 s[10:11], -1
	s_and_b64 vcc, exec, vcc
                                        ; implicit-def: $vgpr9
                                        ; implicit-def: $vgpr159
                                        ; implicit-def: $vgpr165
                                        ; implicit-def: $vgpr10
                                        ; implicit-def: $vgpr140
                                        ; implicit-def: $vgpr142
	s_cbranch_vccz .LBB51_73
; %bb.4:                                ;   in Loop: Header=BB51_3 Depth=1
	s_load_dword s10, s[26:27], 0xc
	v_mov_b32_e32 v142, 0
	v_mov_b32_e32 v140, 0
	v_mov_b32_e32 v141, 0
	s_waitcnt lgkmcnt(0)
	s_and_b32 s10, s10, 0xffff
	v_mad_u32_u24 v9, v1, s10, v0
	v_and_b32_e32 v9, 63, v9
	v_cmp_gt_u32_e32 vcc, 32, v9
	s_and_saveexec_b64 s[10:11], vcc
	s_cbranch_execz .LBB51_8
; %bb.5:                                ;   in Loop: Header=BB51_3 Depth=1
	v_add_co_u32_e32 v9, vcc, v7, v9
	v_addc_co_u32_e32 v10, vcc, 0, v8, vcc
	v_cmp_gt_i64_e32 vcc, s[12:13], v[9:10]
	v_mov_b32_e32 v141, 0
	v_mov_b32_e32 v140, 0
	s_and_saveexec_b64 s[36:37], vcc
	s_cbranch_execz .LBB51_7
; %bb.6:                                ;   in Loop: Header=BB51_3 Depth=1
	v_lshlrev_b64 v[9:10], 2, v[9:10]
	v_mov_b32_e32 v140, s23
	v_add_co_u32_e32 v143, vcc, s22, v9
	v_addc_co_u32_e32 v144, vcc, v140, v10, vcc
	v_mov_b32_e32 v140, s21
	v_add_co_u32_e32 v9, vcc, s20, v9
	v_addc_co_u32_e32 v10, vcc, v140, v10, vcc
	global_load_dword v141, v[9:10], off
	global_load_dword v140, v[143:144], off
.LBB51_7:                               ;   in Loop: Header=BB51_3 Depth=1
	s_or_b64 exec, exec, s[36:37]
.LBB51_8:                               ;   in Loop: Header=BB51_3 Depth=1
	s_or_b64 exec, exec, s[10:11]
	v_cmp_gt_i64_e32 vcc, s[12:13], v[7:8]
	v_mov_b32_e32 v9, 0
	s_and_b64 s[36:37], s[2:3], vcc
	s_and_saveexec_b64 s[10:11], s[36:37]
	s_cbranch_execz .LBB51_10
; %bb.9:                                ;   in Loop: Header=BB51_3 Depth=1
	v_add_co_u32_e32 v9, vcc, v209, v5
	v_addc_co_u32_e32 v10, vcc, v11, v6, vcc
	global_load_dword v142, v[9:10], off
	v_add_co_u32_e32 v9, vcc, v12, v5
	v_addc_co_u32_e32 v10, vcc, v13, v6, vcc
	global_load_dword v9, v[9:10], off
.LBB51_10:                              ;   in Loop: Header=BB51_3 Depth=1
	s_or_b64 exec, exec, s[10:11]
	v_add_co_u32_e32 v143, vcc, 1, v7
	v_addc_co_u32_e32 v144, vcc, 0, v8, vcc
	v_cmp_gt_i64_e32 vcc, s[12:13], v[143:144]
	v_mov_b32_e32 v10, 0
	s_and_b64 s[36:37], s[2:3], vcc
	v_mov_b32_e32 v143, 0
	v_mov_b32_e32 v144, 0
	s_and_saveexec_b64 s[10:11], s[36:37]
	s_cbranch_execz .LBB51_12
; %bb.11:                               ;   in Loop: Header=BB51_3 Depth=1
	v_add_co_u32_e32 v143, vcc, v134, v5
	v_addc_co_u32_e32 v144, vcc, v135, v6, vcc
	global_load_dword v143, v[143:144], off
	v_add_co_u32_e32 v144, vcc, v136, v5
	v_addc_co_u32_e32 v145, vcc, v137, v6, vcc
	global_load_dword v144, v[144:145], off
.LBB51_12:                              ;   in Loop: Header=BB51_3 Depth=1
	s_or_b64 exec, exec, s[10:11]
	v_add_co_u32_e32 v145, vcc, 2, v7
	v_addc_co_u32_e32 v146, vcc, 0, v8, vcc
	v_cmp_gt_i64_e32 vcc, s[12:13], v[145:146]
	v_mov_b32_e32 v146, 0
	s_and_b64 s[36:37], s[2:3], vcc
	s_and_saveexec_b64 s[10:11], s[36:37]
	s_cbranch_execz .LBB51_14
; %bb.13:                               ;   in Loop: Header=BB51_3 Depth=1
	v_add_co_u32_e32 v145, vcc, v130, v5
	v_addc_co_u32_e32 v146, vcc, v131, v6, vcc
	global_load_dword v10, v[145:146], off
	v_add_co_u32_e32 v145, vcc, v132, v5
	v_addc_co_u32_e32 v146, vcc, v133, v6, vcc
	global_load_dword v146, v[145:146], off
.LBB51_14:                              ;   in Loop: Header=BB51_3 Depth=1
	s_or_b64 exec, exec, s[10:11]
	v_add_co_u32_e32 v147, vcc, 3, v7
	v_addc_co_u32_e32 v148, vcc, 0, v8, vcc
	v_cmp_gt_i64_e32 vcc, s[12:13], v[147:148]
	v_mov_b32_e32 v145, 0
	s_and_b64 s[36:37], s[2:3], vcc
	v_mov_b32_e32 v147, 0
	v_mov_b32_e32 v148, 0
	s_and_saveexec_b64 s[10:11], s[36:37]
	s_cbranch_execz .LBB51_16
; %bb.15:                               ;   in Loop: Header=BB51_3 Depth=1
	v_add_co_u32_e32 v147, vcc, v126, v5
	v_addc_co_u32_e32 v148, vcc, v127, v6, vcc
	global_load_dword v147, v[147:148], off
	v_add_co_u32_e32 v148, vcc, v128, v5
	v_addc_co_u32_e32 v149, vcc, v129, v6, vcc
	global_load_dword v148, v[148:149], off
.LBB51_16:                              ;   in Loop: Header=BB51_3 Depth=1
	s_or_b64 exec, exec, s[10:11]
	v_add_co_u32_e32 v149, vcc, 4, v7
	v_addc_co_u32_e32 v150, vcc, 0, v8, vcc
	v_cmp_gt_i64_e32 vcc, s[12:13], v[149:150]
	v_mov_b32_e32 v150, 0
	s_and_b64 s[36:37], s[2:3], vcc
	s_and_saveexec_b64 s[10:11], s[36:37]
	s_cbranch_execz .LBB51_18
; %bb.17:                               ;   in Loop: Header=BB51_3 Depth=1
	v_add_co_u32_e32 v149, vcc, v122, v5
	v_addc_co_u32_e32 v150, vcc, v123, v6, vcc
	global_load_dword v145, v[149:150], off
	v_add_co_u32_e32 v149, vcc, v124, v5
	v_addc_co_u32_e32 v150, vcc, v125, v6, vcc
	global_load_dword v150, v[149:150], off
.LBB51_18:                              ;   in Loop: Header=BB51_3 Depth=1
	;; [unrolled: 34-line block ×4, first 2 shown]
	s_or_b64 exec, exec, s[10:11]
	v_add_co_u32_e32 v159, vcc, 9, v7
	v_addc_co_u32_e32 v160, vcc, 0, v8, vcc
	v_cmp_gt_i64_e32 vcc, s[12:13], v[159:160]
	v_mov_b32_e32 v157, 0
	s_and_b64 s[36:37], s[2:3], vcc
	v_mov_b32_e32 v160, 0
	v_mov_b32_e32 v161, 0
	s_and_saveexec_b64 s[10:11], s[36:37]
	s_cbranch_execz .LBB51_28
; %bb.27:                               ;   in Loop: Header=BB51_3 Depth=1
	v_add_co_u32_e32 v159, vcc, v102, v5
	v_addc_co_u32_e32 v160, vcc, v103, v6, vcc
	v_add_co_u32_e32 v161, vcc, v104, v5
	v_addc_co_u32_e32 v162, vcc, v105, v6, vcc
	global_load_dword v160, v[159:160], off
	s_nop 0
	global_load_dword v161, v[161:162], off
.LBB51_28:                              ;   in Loop: Header=BB51_3 Depth=1
	s_or_b64 exec, exec, s[10:11]
	v_add_co_u32_e32 v162, vcc, 10, v7
	v_addc_co_u32_e32 v163, vcc, 0, v8, vcc
	v_cmp_gt_i64_e32 vcc, s[12:13], v[162:163]
	v_mov_b32_e32 v163, 0
	s_and_b64 s[36:37], s[2:3], vcc
	s_and_saveexec_b64 s[10:11], s[36:37]
	s_cbranch_execz .LBB51_30
; %bb.29:                               ;   in Loop: Header=BB51_3 Depth=1
	v_add_co_u32_e32 v162, vcc, v98, v5
	v_addc_co_u32_e32 v163, vcc, v99, v6, vcc
	global_load_dword v157, v[162:163], off
	v_add_co_u32_e32 v162, vcc, v100, v5
	v_addc_co_u32_e32 v163, vcc, v101, v6, vcc
	global_load_dword v163, v[162:163], off
.LBB51_30:                              ;   in Loop: Header=BB51_3 Depth=1
	s_or_b64 exec, exec, s[10:11]
	v_add_co_u32_e32 v164, vcc, 11, v7
	v_addc_co_u32_e32 v165, vcc, 0, v8, vcc
	v_cmp_gt_i64_e32 vcc, s[12:13], v[164:165]
	v_mov_b32_e32 v162, 0
	s_and_b64 s[36:37], s[2:3], vcc
	v_mov_b32_e32 v164, 0
	v_mov_b32_e32 v166, 0
	s_and_saveexec_b64 s[10:11], s[36:37]
	s_cbranch_execz .LBB51_32
; %bb.31:                               ;   in Loop: Header=BB51_3 Depth=1
	v_add_co_u32_e32 v164, vcc, v94, v5
	v_addc_co_u32_e32 v165, vcc, v95, v6, vcc
	global_load_dword v164, v[164:165], off
	v_add_co_u32_e32 v165, vcc, v96, v5
	v_addc_co_u32_e32 v166, vcc, v97, v6, vcc
	global_load_dword v166, v[165:166], off
.LBB51_32:                              ;   in Loop: Header=BB51_3 Depth=1
	s_or_b64 exec, exec, s[10:11]
	v_add_co_u32_e32 v167, vcc, 12, v7
	v_addc_co_u32_e32 v168, vcc, 0, v8, vcc
	v_cmp_gt_i64_e32 vcc, s[12:13], v[167:168]
	v_mov_b32_e32 v168, 0
	s_and_b64 s[36:37], s[2:3], vcc
	s_and_saveexec_b64 s[10:11], s[36:37]
	s_cbranch_execz .LBB51_34
; %bb.33:                               ;   in Loop: Header=BB51_3 Depth=1
	v_add_co_u32_e32 v167, vcc, v90, v5
	v_addc_co_u32_e32 v168, vcc, v91, v6, vcc
	global_load_dword v162, v[167:168], off
	v_add_co_u32_e32 v167, vcc, v92, v5
	v_addc_co_u32_e32 v168, vcc, v93, v6, vcc
	global_load_dword v168, v[167:168], off
.LBB51_34:                              ;   in Loop: Header=BB51_3 Depth=1
	s_or_b64 exec, exec, s[10:11]
	v_add_co_u32_e32 v169, vcc, 13, v7
	v_addc_co_u32_e32 v170, vcc, 0, v8, vcc
	v_cmp_gt_i64_e32 vcc, s[12:13], v[169:170]
	v_mov_b32_e32 v167, 0
	s_and_b64 s[36:37], s[2:3], vcc
	v_mov_b32_e32 v169, 0
	v_mov_b32_e32 v170, 0
	s_and_saveexec_b64 s[10:11], s[36:37]
	s_cbranch_execz .LBB51_36
; %bb.35:                               ;   in Loop: Header=BB51_3 Depth=1
	v_add_co_u32_e32 v169, vcc, v86, v5
	v_addc_co_u32_e32 v170, vcc, v87, v6, vcc
	global_load_dword v169, v[169:170], off
	v_add_co_u32_e32 v170, vcc, v88, v5
	v_addc_co_u32_e32 v171, vcc, v89, v6, vcc
	global_load_dword v170, v[170:171], off
.LBB51_36:                              ;   in Loop: Header=BB51_3 Depth=1
	s_or_b64 exec, exec, s[10:11]
	v_add_co_u32_e32 v171, vcc, 14, v7
	v_addc_co_u32_e32 v172, vcc, 0, v8, vcc
	v_cmp_gt_i64_e32 vcc, s[12:13], v[171:172]
	v_mov_b32_e32 v172, 0
	s_and_b64 s[36:37], s[2:3], vcc
	s_and_saveexec_b64 s[10:11], s[36:37]
	s_cbranch_execz .LBB51_38
; %bb.37:                               ;   in Loop: Header=BB51_3 Depth=1
	v_add_co_u32_e32 v171, vcc, v82, v5
	v_addc_co_u32_e32 v172, vcc, v83, v6, vcc
	global_load_dword v167, v[171:172], off
	v_add_co_u32_e32 v171, vcc, v84, v5
	v_addc_co_u32_e32 v172, vcc, v85, v6, vcc
	global_load_dword v172, v[171:172], off
.LBB51_38:                              ;   in Loop: Header=BB51_3 Depth=1
	s_or_b64 exec, exec, s[10:11]
	v_add_co_u32_e32 v173, vcc, 15, v7
	v_addc_co_u32_e32 v174, vcc, 0, v8, vcc
	v_cmp_gt_i64_e32 vcc, s[12:13], v[173:174]
	v_mov_b32_e32 v171, 0
	s_and_b64 s[36:37], s[2:3], vcc
	v_mov_b32_e32 v173, 0
	v_mov_b32_e32 v174, 0
	s_and_saveexec_b64 s[10:11], s[36:37]
	s_cbranch_execz .LBB51_40
; %bb.39:                               ;   in Loop: Header=BB51_3 Depth=1
	v_add_co_u32_e32 v173, vcc, v78, v5
	v_addc_co_u32_e32 v174, vcc, v79, v6, vcc
	global_load_dword v173, v[173:174], off
	v_add_co_u32_e32 v174, vcc, v80, v5
	v_addc_co_u32_e32 v175, vcc, v81, v6, vcc
	global_load_dword v174, v[174:175], off
.LBB51_40:                              ;   in Loop: Header=BB51_3 Depth=1
	s_or_b64 exec, exec, s[10:11]
	v_add_co_u32_e32 v175, vcc, 16, v7
	v_addc_co_u32_e32 v176, vcc, 0, v8, vcc
	v_cmp_gt_i64_e32 vcc, s[12:13], v[175:176]
	v_mov_b32_e32 v176, 0
	s_and_b64 s[36:37], s[2:3], vcc
	s_and_saveexec_b64 s[10:11], s[36:37]
	s_cbranch_execz .LBB51_42
; %bb.41:                               ;   in Loop: Header=BB51_3 Depth=1
	v_add_co_u32_e32 v175, vcc, v74, v5
	v_addc_co_u32_e32 v176, vcc, v75, v6, vcc
	global_load_dword v171, v[175:176], off
	v_add_co_u32_e32 v175, vcc, v76, v5
	v_addc_co_u32_e32 v176, vcc, v77, v6, vcc
	global_load_dword v176, v[175:176], off
.LBB51_42:                              ;   in Loop: Header=BB51_3 Depth=1
	s_or_b64 exec, exec, s[10:11]
	v_add_co_u32_e32 v177, vcc, 17, v7
	v_addc_co_u32_e32 v178, vcc, 0, v8, vcc
	v_cmp_gt_i64_e32 vcc, s[12:13], v[177:178]
	v_mov_b32_e32 v175, 0
	s_and_b64 s[36:37], s[2:3], vcc
	v_mov_b32_e32 v177, 0
	v_mov_b32_e32 v178, 0
	s_and_saveexec_b64 s[10:11], s[36:37]
	s_cbranch_execz .LBB51_44
; %bb.43:                               ;   in Loop: Header=BB51_3 Depth=1
	v_add_co_u32_e32 v177, vcc, v70, v5
	v_addc_co_u32_e32 v178, vcc, v71, v6, vcc
	global_load_dword v177, v[177:178], off
	v_add_co_u32_e32 v178, vcc, v72, v5
	v_addc_co_u32_e32 v179, vcc, v73, v6, vcc
	global_load_dword v178, v[178:179], off
.LBB51_44:                              ;   in Loop: Header=BB51_3 Depth=1
	s_or_b64 exec, exec, s[10:11]
	v_add_co_u32_e32 v179, vcc, 18, v7
	v_addc_co_u32_e32 v180, vcc, 0, v8, vcc
	v_cmp_gt_i64_e32 vcc, s[12:13], v[179:180]
	v_mov_b32_e32 v180, 0
	s_and_b64 s[36:37], s[2:3], vcc
	s_and_saveexec_b64 s[10:11], s[36:37]
	s_cbranch_execz .LBB51_46
; %bb.45:                               ;   in Loop: Header=BB51_3 Depth=1
	v_add_co_u32_e32 v179, vcc, v66, v5
	v_addc_co_u32_e32 v180, vcc, v67, v6, vcc
	global_load_dword v175, v[179:180], off
	v_add_co_u32_e32 v179, vcc, v68, v5
	v_addc_co_u32_e32 v180, vcc, v69, v6, vcc
	global_load_dword v180, v[179:180], off
.LBB51_46:                              ;   in Loop: Header=BB51_3 Depth=1
	s_or_b64 exec, exec, s[10:11]
	v_add_co_u32_e32 v181, vcc, 19, v7
	v_addc_co_u32_e32 v182, vcc, 0, v8, vcc
	v_cmp_gt_i64_e32 vcc, s[12:13], v[181:182]
	v_mov_b32_e32 v179, 0
	s_and_b64 s[36:37], s[2:3], vcc
	v_mov_b32_e32 v181, 0
	v_mov_b32_e32 v182, 0
	s_and_saveexec_b64 s[10:11], s[36:37]
	s_cbranch_execz .LBB51_48
; %bb.47:                               ;   in Loop: Header=BB51_3 Depth=1
	v_add_co_u32_e32 v181, vcc, v62, v5
	v_addc_co_u32_e32 v182, vcc, v63, v6, vcc
	global_load_dword v181, v[181:182], off
	v_add_co_u32_e32 v182, vcc, v64, v5
	v_addc_co_u32_e32 v183, vcc, v65, v6, vcc
	global_load_dword v182, v[182:183], off
.LBB51_48:                              ;   in Loop: Header=BB51_3 Depth=1
	s_or_b64 exec, exec, s[10:11]
	v_add_co_u32_e32 v183, vcc, 20, v7
	v_addc_co_u32_e32 v184, vcc, 0, v8, vcc
	v_cmp_gt_i64_e32 vcc, s[12:13], v[183:184]
	v_mov_b32_e32 v184, 0
	s_and_b64 s[36:37], s[2:3], vcc
	s_and_saveexec_b64 s[10:11], s[36:37]
	s_cbranch_execz .LBB51_50
; %bb.49:                               ;   in Loop: Header=BB51_3 Depth=1
	v_add_co_u32_e32 v183, vcc, v58, v5
	v_addc_co_u32_e32 v184, vcc, v59, v6, vcc
	global_load_dword v179, v[183:184], off
	v_add_co_u32_e32 v183, vcc, v60, v5
	v_addc_co_u32_e32 v184, vcc, v61, v6, vcc
	global_load_dword v184, v[183:184], off
.LBB51_50:                              ;   in Loop: Header=BB51_3 Depth=1
	s_or_b64 exec, exec, s[10:11]
	v_add_co_u32_e32 v185, vcc, 21, v7
	v_addc_co_u32_e32 v186, vcc, 0, v8, vcc
	v_cmp_gt_i64_e32 vcc, s[12:13], v[185:186]
	v_mov_b32_e32 v183, 0
	s_and_b64 s[36:37], s[2:3], vcc
	v_mov_b32_e32 v185, 0
	v_mov_b32_e32 v186, 0
	s_and_saveexec_b64 s[10:11], s[36:37]
	s_cbranch_execz .LBB51_52
; %bb.51:                               ;   in Loop: Header=BB51_3 Depth=1
	v_add_co_u32_e32 v185, vcc, v54, v5
	v_addc_co_u32_e32 v186, vcc, v55, v6, vcc
	global_load_dword v185, v[185:186], off
	v_add_co_u32_e32 v186, vcc, v56, v5
	v_addc_co_u32_e32 v187, vcc, v57, v6, vcc
	global_load_dword v186, v[186:187], off
.LBB51_52:                              ;   in Loop: Header=BB51_3 Depth=1
	s_or_b64 exec, exec, s[10:11]
	v_add_co_u32_e32 v187, vcc, 22, v7
	v_addc_co_u32_e32 v188, vcc, 0, v8, vcc
	v_cmp_gt_i64_e32 vcc, s[12:13], v[187:188]
	v_mov_b32_e32 v188, 0
	s_and_b64 s[36:37], s[2:3], vcc
	s_and_saveexec_b64 s[10:11], s[36:37]
	s_cbranch_execz .LBB51_54
; %bb.53:                               ;   in Loop: Header=BB51_3 Depth=1
	v_add_co_u32_e32 v187, vcc, v50, v5
	v_addc_co_u32_e32 v188, vcc, v51, v6, vcc
	global_load_dword v183, v[187:188], off
	v_add_co_u32_e32 v187, vcc, v52, v5
	v_addc_co_u32_e32 v188, vcc, v53, v6, vcc
	global_load_dword v188, v[187:188], off
.LBB51_54:                              ;   in Loop: Header=BB51_3 Depth=1
	s_or_b64 exec, exec, s[10:11]
	v_add_co_u32_e32 v189, vcc, 23, v7
	v_addc_co_u32_e32 v190, vcc, 0, v8, vcc
	v_cmp_gt_i64_e32 vcc, s[12:13], v[189:190]
	v_mov_b32_e32 v187, 0
	s_and_b64 s[36:37], s[2:3], vcc
	v_mov_b32_e32 v189, 0
	v_mov_b32_e32 v190, 0
	s_and_saveexec_b64 s[10:11], s[36:37]
	s_cbranch_execz .LBB51_56
; %bb.55:                               ;   in Loop: Header=BB51_3 Depth=1
	v_add_co_u32_e32 v189, vcc, v46, v5
	v_addc_co_u32_e32 v190, vcc, v47, v6, vcc
	global_load_dword v189, v[189:190], off
	v_add_co_u32_e32 v190, vcc, v48, v5
	v_addc_co_u32_e32 v191, vcc, v49, v6, vcc
	global_load_dword v190, v[190:191], off
.LBB51_56:                              ;   in Loop: Header=BB51_3 Depth=1
	s_or_b64 exec, exec, s[10:11]
	v_add_co_u32_e32 v191, vcc, 24, v7
	v_addc_co_u32_e32 v192, vcc, 0, v8, vcc
	v_cmp_gt_i64_e32 vcc, s[12:13], v[191:192]
	v_mov_b32_e32 v192, 0
	s_and_b64 s[36:37], s[2:3], vcc
	s_and_saveexec_b64 s[10:11], s[36:37]
	s_cbranch_execz .LBB51_58
; %bb.57:                               ;   in Loop: Header=BB51_3 Depth=1
	v_add_co_u32_e32 v191, vcc, v42, v5
	v_addc_co_u32_e32 v192, vcc, v43, v6, vcc
	global_load_dword v187, v[191:192], off
	v_add_co_u32_e32 v191, vcc, v44, v5
	v_addc_co_u32_e32 v192, vcc, v45, v6, vcc
	global_load_dword v192, v[191:192], off
.LBB51_58:                              ;   in Loop: Header=BB51_3 Depth=1
	s_or_b64 exec, exec, s[10:11]
	v_add_co_u32_e32 v193, vcc, 25, v7
	v_addc_co_u32_e32 v194, vcc, 0, v8, vcc
	v_cmp_gt_i64_e32 vcc, s[12:13], v[193:194]
	v_mov_b32_e32 v191, 0
	s_and_b64 s[36:37], s[2:3], vcc
	v_mov_b32_e32 v193, 0
	v_mov_b32_e32 v194, 0
	s_and_saveexec_b64 s[10:11], s[36:37]
	s_cbranch_execz .LBB51_60
; %bb.59:                               ;   in Loop: Header=BB51_3 Depth=1
	v_add_co_u32_e32 v193, vcc, v38, v5
	v_addc_co_u32_e32 v194, vcc, v39, v6, vcc
	global_load_dword v193, v[193:194], off
	v_add_co_u32_e32 v194, vcc, v40, v5
	v_addc_co_u32_e32 v195, vcc, v41, v6, vcc
	global_load_dword v194, v[194:195], off
.LBB51_60:                              ;   in Loop: Header=BB51_3 Depth=1
	s_or_b64 exec, exec, s[10:11]
	v_add_co_u32_e32 v195, vcc, 26, v7
	v_addc_co_u32_e32 v196, vcc, 0, v8, vcc
	v_cmp_gt_i64_e32 vcc, s[12:13], v[195:196]
	v_mov_b32_e32 v196, 0
	s_and_b64 s[36:37], s[2:3], vcc
	s_and_saveexec_b64 s[10:11], s[36:37]
	s_cbranch_execz .LBB51_62
; %bb.61:                               ;   in Loop: Header=BB51_3 Depth=1
	v_add_co_u32_e32 v195, vcc, v34, v5
	v_addc_co_u32_e32 v196, vcc, v35, v6, vcc
	global_load_dword v191, v[195:196], off
	v_add_co_u32_e32 v195, vcc, v36, v5
	v_addc_co_u32_e32 v196, vcc, v37, v6, vcc
	global_load_dword v196, v[195:196], off
.LBB51_62:                              ;   in Loop: Header=BB51_3 Depth=1
	s_or_b64 exec, exec, s[10:11]
	v_add_co_u32_e32 v197, vcc, 27, v7
	v_addc_co_u32_e32 v198, vcc, 0, v8, vcc
	v_cmp_gt_i64_e32 vcc, s[12:13], v[197:198]
	v_mov_b32_e32 v195, 0
	s_and_b64 s[36:37], s[2:3], vcc
	v_mov_b32_e32 v197, 0
	v_mov_b32_e32 v198, 0
	s_and_saveexec_b64 s[10:11], s[36:37]
	s_cbranch_execz .LBB51_64
; %bb.63:                               ;   in Loop: Header=BB51_3 Depth=1
	v_add_co_u32_e32 v197, vcc, v30, v5
	v_addc_co_u32_e32 v198, vcc, v31, v6, vcc
	global_load_dword v197, v[197:198], off
	v_add_co_u32_e32 v198, vcc, v32, v5
	v_addc_co_u32_e32 v199, vcc, v33, v6, vcc
	global_load_dword v198, v[198:199], off
.LBB51_64:                              ;   in Loop: Header=BB51_3 Depth=1
	s_or_b64 exec, exec, s[10:11]
	v_add_co_u32_e32 v199, vcc, 28, v7
	v_addc_co_u32_e32 v200, vcc, 0, v8, vcc
	v_cmp_gt_i64_e32 vcc, s[12:13], v[199:200]
	v_mov_b32_e32 v200, 0
	s_and_b64 s[36:37], s[2:3], vcc
	s_and_saveexec_b64 s[10:11], s[36:37]
	s_cbranch_execz .LBB51_66
; %bb.65:                               ;   in Loop: Header=BB51_3 Depth=1
	v_add_co_u32_e32 v199, vcc, v26, v5
	v_addc_co_u32_e32 v200, vcc, v27, v6, vcc
	global_load_dword v195, v[199:200], off
	v_add_co_u32_e32 v199, vcc, v28, v5
	v_addc_co_u32_e32 v200, vcc, v29, v6, vcc
	global_load_dword v200, v[199:200], off
.LBB51_66:                              ;   in Loop: Header=BB51_3 Depth=1
	s_or_b64 exec, exec, s[10:11]
	v_add_co_u32_e32 v201, vcc, 29, v7
	v_addc_co_u32_e32 v202, vcc, 0, v8, vcc
	v_cmp_gt_i64_e32 vcc, s[12:13], v[201:202]
	v_mov_b32_e32 v199, 0
	s_and_b64 s[36:37], s[2:3], vcc
	v_mov_b32_e32 v201, 0
	v_mov_b32_e32 v202, 0
	s_and_saveexec_b64 s[10:11], s[36:37]
	s_cbranch_execz .LBB51_68
; %bb.67:                               ;   in Loop: Header=BB51_3 Depth=1
	v_add_co_u32_e32 v201, vcc, v22, v5
	v_addc_co_u32_e32 v202, vcc, v23, v6, vcc
	global_load_dword v201, v[201:202], off
	v_add_co_u32_e32 v202, vcc, v24, v5
	v_addc_co_u32_e32 v203, vcc, v25, v6, vcc
	global_load_dword v202, v[202:203], off
.LBB51_68:                              ;   in Loop: Header=BB51_3 Depth=1
	s_or_b64 exec, exec, s[10:11]
	v_add_co_u32_e32 v203, vcc, 30, v7
	v_addc_co_u32_e32 v204, vcc, 0, v8, vcc
	v_cmp_gt_i64_e32 vcc, s[12:13], v[203:204]
	v_mov_b32_e32 v203, 0
	s_and_b64 s[36:37], s[2:3], vcc
	s_and_saveexec_b64 s[10:11], s[36:37]
	s_cbranch_execz .LBB51_70
; %bb.69:                               ;   in Loop: Header=BB51_3 Depth=1
	v_add_co_u32_e32 v203, vcc, v18, v5
	v_addc_co_u32_e32 v204, vcc, v19, v6, vcc
	global_load_dword v199, v[203:204], off
	v_add_co_u32_e32 v203, vcc, v20, v5
	v_addc_co_u32_e32 v204, vcc, v21, v6, vcc
	global_load_dword v203, v[203:204], off
.LBB51_70:                              ;   in Loop: Header=BB51_3 Depth=1
	s_or_b64 exec, exec, s[10:11]
	v_add_co_u32_e32 v204, vcc, 31, v7
	v_addc_co_u32_e32 v205, vcc, 0, v8, vcc
	v_cmp_gt_i64_e32 vcc, s[12:13], v[204:205]
	v_mov_b32_e32 v159, 0
	s_and_b64 s[36:37], s[2:3], vcc
	v_mov_b32_e32 v165, 0
	s_and_saveexec_b64 s[10:11], s[36:37]
	s_cbranch_execz .LBB51_72
; %bb.71:                               ;   in Loop: Header=BB51_3 Depth=1
	v_add_co_u32_e32 v204, vcc, v14, v5
	v_addc_co_u32_e32 v205, vcc, v15, v6, vcc
	global_load_dword v159, v[204:205], off
	v_add_co_u32_e32 v204, vcc, v16, v5
	v_addc_co_u32_e32 v205, vcc, v17, v6, vcc
	global_load_dword v165, v[204:205], off
.LBB51_72:                              ;   in Loop: Header=BB51_3 Depth=1
	s_or_b64 exec, exec, s[10:11]
	s_waitcnt vmcnt(1)
	ds_bpermute_b32 v204, v138, v141
	s_waitcnt vmcnt(0)
	ds_bpermute_b32 v205, v138, v140
	ds_bpermute_b32 v207, v138, v141 offset:4
	ds_bpermute_b32 v208, v138, v140 offset:4
	v_add_f32_e32 v206, v3, v142
	s_waitcnt lgkmcnt(3)
	v_sub_f32_e32 v9, v9, v204
	v_mul_f32_e32 v9, v142, v9
	s_waitcnt lgkmcnt(2)
	v_fma_f32 v142, v9, v205, v139
	s_waitcnt lgkmcnt(1)
	v_sub_f32_e32 v9, v144, v207
	ds_bpermute_b32 v144, v138, v141 offset:8
	v_mul_f32_e32 v9, v143, v9
	s_waitcnt lgkmcnt(1)
	v_fmac_f32_e32 v142, v9, v208
	ds_bpermute_b32 v9, v138, v140 offset:8
	v_add_f32_e32 v143, v206, v143
	s_waitcnt lgkmcnt(1)
	v_sub_f32_e32 v144, v146, v144
	ds_bpermute_b32 v146, v138, v141 offset:12
	v_mul_f32_e32 v144, v10, v144
	s_waitcnt lgkmcnt(1)
	v_fmac_f32_e32 v142, v144, v9
	ds_bpermute_b32 v9, v138, v140 offset:12
	ds_bpermute_b32 v144, v138, v141 offset:16
	v_add_f32_e32 v10, v143, v10
	s_waitcnt lgkmcnt(2)
	v_sub_f32_e32 v143, v148, v146
	v_mul_f32_e32 v143, v147, v143
	s_waitcnt lgkmcnt(1)
	v_fmac_f32_e32 v142, v143, v9
	ds_bpermute_b32 v9, v138, v140 offset:16
	s_waitcnt lgkmcnt(1)
	v_sub_f32_e32 v143, v150, v144
	ds_bpermute_b32 v144, v138, v141 offset:20
	v_mul_f32_e32 v143, v145, v143
	v_add_f32_e32 v10, v10, v147
	s_waitcnt lgkmcnt(1)
	v_fmac_f32_e32 v142, v143, v9
	ds_bpermute_b32 v9, v138, v140 offset:20
	s_waitcnt lgkmcnt(1)
	v_sub_f32_e32 v143, v152, v144
	ds_bpermute_b32 v144, v138, v141 offset:24
	v_mul_f32_e32 v143, v151, v143
	v_add_f32_e32 v10, v10, v145
	;; [unrolled: 8-line block ×25, first 2 shown]
	s_waitcnt lgkmcnt(1)
	v_fmac_f32_e32 v142, v143, v9
	ds_bpermute_b32 v9, v138, v140 offset:116
	s_waitcnt lgkmcnt(1)
	v_sub_f32_e32 v143, v202, v144
	ds_bpermute_b32 v144, v138, v141 offset:120
	v_add_f32_e32 v10, v10, v195
	v_mul_f32_e32 v143, v201, v143
	ds_bpermute_b32 v145, v138, v140 offset:120
	s_waitcnt lgkmcnt(2)
	v_fmac_f32_e32 v142, v143, v9
	v_add_f32_e32 v143, v10, v201
	ds_bpermute_b32 v9, v138, v140 offset:124
	ds_bpermute_b32 v10, v138, v141 offset:124
	s_waitcnt lgkmcnt(3)
	v_sub_f32_e32 v144, v203, v144
	v_mul_f32_e32 v140, v199, v144
	s_waitcnt lgkmcnt(2)
	v_fmac_f32_e32 v142, v140, v145
	v_add_f32_e32 v140, v143, v199
	s_mov_b64 s[10:11], 0
.LBB51_73:                              ;   in Loop: Header=BB51_3 Depth=1
	s_and_b64 vcc, exec, s[10:11]
	s_cbranch_vccz .LBB51_143
; %bb.74:                               ;   in Loop: Header=BB51_3 Depth=1
	s_load_dword s10, s[26:27], 0x0
	v_mov_b32_e32 v140, 0
	s_waitcnt lgkmcnt(0)
	v_mov_b32_e32 v9, 0
	s_cmp_lt_u32 s6, s10
	s_cselect_b32 s10, 12, 18
	s_add_u32 s10, s26, s10
	s_addc_u32 s11, s27, 0
	global_load_ushort v10, v4, s[10:11]
	s_waitcnt vmcnt(0)
	v_mad_u32_u24 v10, v1, v10, v0
	v_and_b32_e32 v141, 63, v10
	v_cmp_gt_u32_e32 vcc, 32, v141
	v_mov_b32_e32 v10, 0
	s_and_saveexec_b64 s[10:11], vcc
	s_cbranch_execz .LBB51_78
; %bb.75:                               ;   in Loop: Header=BB51_3 Depth=1
	v_add_co_u32_e32 v7, vcc, v7, v141
	v_addc_co_u32_e32 v8, vcc, 0, v8, vcc
	v_cmp_gt_i64_e32 vcc, s[12:13], v[7:8]
	v_mov_b32_e32 v10, 0
	v_mov_b32_e32 v9, 0
	s_and_saveexec_b64 s[36:37], vcc
	s_cbranch_execz .LBB51_77
; %bb.76:                               ;   in Loop: Header=BB51_3 Depth=1
	v_lshlrev_b64 v[7:8], 2, v[7:8]
	v_mov_b32_e32 v9, s23
	v_add_co_u32_e32 v141, vcc, s22, v7
	v_addc_co_u32_e32 v142, vcc, v9, v8, vcc
	v_mov_b32_e32 v9, s21
	v_add_co_u32_e32 v7, vcc, s20, v7
	v_addc_co_u32_e32 v8, vcc, v9, v8, vcc
	global_load_dword v10, v[7:8], off
	global_load_dword v9, v[141:142], off
.LBB51_77:                              ;   in Loop: Header=BB51_3 Depth=1
	s_or_b64 exec, exec, s[36:37]
.LBB51_78:                              ;   in Loop: Header=BB51_3 Depth=1
	s_or_b64 exec, exec, s[10:11]
	v_mov_b32_e32 v7, 0
	v_mov_b32_e32 v8, 0
	s_and_saveexec_b64 s[10:11], s[2:3]
	s_cbranch_execz .LBB51_80
; %bb.79:                               ;   in Loop: Header=BB51_3 Depth=1
	v_add_co_u32_e32 v7, vcc, v209, v5
	v_addc_co_u32_e32 v8, vcc, v11, v6, vcc
	v_add_co_u32_e32 v141, vcc, v12, v5
	v_addc_co_u32_e32 v142, vcc, v13, v6, vcc
	global_load_dword v7, v[7:8], off
	s_nop 0
	global_load_dword v8, v[141:142], off
.LBB51_80:                              ;   in Loop: Header=BB51_3 Depth=1
	s_or_b64 exec, exec, s[10:11]
	v_mov_b32_e32 v143, 0
	s_and_saveexec_b64 s[10:11], s[2:3]
	s_cbranch_execz .LBB51_82
; %bb.81:                               ;   in Loop: Header=BB51_3 Depth=1
	v_add_co_u32_e32 v140, vcc, v134, v5
	v_addc_co_u32_e32 v141, vcc, v135, v6, vcc
	global_load_dword v140, v[140:141], off
	v_add_co_u32_e32 v141, vcc, v136, v5
	v_addc_co_u32_e32 v142, vcc, v137, v6, vcc
	global_load_dword v143, v[141:142], off
.LBB51_82:                              ;   in Loop: Header=BB51_3 Depth=1
	s_or_b64 exec, exec, s[10:11]
	v_mov_b32_e32 v141, 0
	v_mov_b32_e32 v142, 0
	v_mov_b32_e32 v145, 0
	s_and_saveexec_b64 s[10:11], s[2:3]
	s_cbranch_execz .LBB51_84
; %bb.83:                               ;   in Loop: Header=BB51_3 Depth=1
	v_add_co_u32_e32 v144, vcc, v130, v5
	v_addc_co_u32_e32 v145, vcc, v131, v6, vcc
	global_load_dword v142, v[144:145], off
	v_add_co_u32_e32 v144, vcc, v132, v5
	v_addc_co_u32_e32 v145, vcc, v133, v6, vcc
	global_load_dword v145, v[144:145], off
.LBB51_84:                              ;   in Loop: Header=BB51_3 Depth=1
	s_or_b64 exec, exec, s[10:11]
	v_mov_b32_e32 v147, 0
	s_and_saveexec_b64 s[10:11], s[2:3]
	s_cbranch_execz .LBB51_86
; %bb.85:                               ;   in Loop: Header=BB51_3 Depth=1
	v_add_co_u32_e32 v146, vcc, v126, v5
	v_addc_co_u32_e32 v147, vcc, v127, v6, vcc
	global_load_dword v141, v[146:147], off
	v_add_co_u32_e32 v146, vcc, v128, v5
	v_addc_co_u32_e32 v147, vcc, v129, v6, vcc
	global_load_dword v147, v[146:147], off
.LBB51_86:                              ;   in Loop: Header=BB51_3 Depth=1
	s_or_b64 exec, exec, s[10:11]
	v_mov_b32_e32 v144, 0
	v_mov_b32_e32 v146, 0
	v_mov_b32_e32 v149, 0
	s_and_saveexec_b64 s[10:11], s[2:3]
	s_cbranch_execz .LBB51_88
; %bb.87:                               ;   in Loop: Header=BB51_3 Depth=1
	v_add_co_u32_e32 v148, vcc, v122, v5
	v_addc_co_u32_e32 v149, vcc, v123, v6, vcc
	global_load_dword v146, v[148:149], off
	v_add_co_u32_e32 v148, vcc, v124, v5
	v_addc_co_u32_e32 v149, vcc, v125, v6, vcc
	global_load_dword v149, v[148:149], off
.LBB51_88:                              ;   in Loop: Header=BB51_3 Depth=1
	;; [unrolled: 26-line block ×4, first 2 shown]
	s_or_b64 exec, exec, s[10:11]
	v_mov_b32_e32 v160, 0
	s_and_saveexec_b64 s[10:11], s[2:3]
	s_cbranch_execz .LBB51_98
; %bb.97:                               ;   in Loop: Header=BB51_3 Depth=1
	v_add_co_u32_e32 v158, vcc, v102, v5
	v_addc_co_u32_e32 v159, vcc, v103, v6, vcc
	global_load_dword v152, v[158:159], off
	v_add_co_u32_e32 v158, vcc, v104, v5
	v_addc_co_u32_e32 v159, vcc, v105, v6, vcc
	global_load_dword v160, v[158:159], off
.LBB51_98:                              ;   in Loop: Header=BB51_3 Depth=1
	s_or_b64 exec, exec, s[10:11]
	v_mov_b32_e32 v156, 0
	v_mov_b32_e32 v158, 0
	;; [unrolled: 1-line block ×3, first 2 shown]
	s_and_saveexec_b64 s[10:11], s[2:3]
	s_cbranch_execz .LBB51_100
; %bb.99:                               ;   in Loop: Header=BB51_3 Depth=1
	v_add_co_u32_e32 v158, vcc, v98, v5
	v_addc_co_u32_e32 v159, vcc, v99, v6, vcc
	v_add_co_u32_e32 v161, vcc, v100, v5
	v_addc_co_u32_e32 v162, vcc, v101, v6, vcc
	global_load_dword v158, v[158:159], off
	s_nop 0
	global_load_dword v162, v[161:162], off
.LBB51_100:                             ;   in Loop: Header=BB51_3 Depth=1
	s_or_b64 exec, exec, s[10:11]
	v_mov_b32_e32 v164, 0
	s_and_saveexec_b64 s[10:11], s[2:3]
	s_cbranch_execz .LBB51_102
; %bb.101:                              ;   in Loop: Header=BB51_3 Depth=1
	v_add_co_u32_e32 v163, vcc, v94, v5
	v_addc_co_u32_e32 v164, vcc, v95, v6, vcc
	global_load_dword v156, v[163:164], off
	v_add_co_u32_e32 v163, vcc, v96, v5
	v_addc_co_u32_e32 v164, vcc, v97, v6, vcc
	global_load_dword v164, v[163:164], off
.LBB51_102:                             ;   in Loop: Header=BB51_3 Depth=1
	s_or_b64 exec, exec, s[10:11]
	v_mov_b32_e32 v161, 0
	v_mov_b32_e32 v163, 0
	;; [unrolled: 1-line block ×3, first 2 shown]
	s_and_saveexec_b64 s[10:11], s[2:3]
	s_cbranch_execz .LBB51_104
; %bb.103:                              ;   in Loop: Header=BB51_3 Depth=1
	v_add_co_u32_e32 v165, vcc, v90, v5
	v_addc_co_u32_e32 v166, vcc, v91, v6, vcc
	global_load_dword v163, v[165:166], off
	v_add_co_u32_e32 v165, vcc, v92, v5
	v_addc_co_u32_e32 v166, vcc, v93, v6, vcc
	global_load_dword v167, v[165:166], off
.LBB51_104:                             ;   in Loop: Header=BB51_3 Depth=1
	s_or_b64 exec, exec, s[10:11]
	v_mov_b32_e32 v169, 0
	s_and_saveexec_b64 s[10:11], s[2:3]
	s_cbranch_execz .LBB51_106
; %bb.105:                              ;   in Loop: Header=BB51_3 Depth=1
	v_add_co_u32_e32 v165, vcc, v86, v5
	v_addc_co_u32_e32 v166, vcc, v87, v6, vcc
	global_load_dword v161, v[165:166], off
	v_add_co_u32_e32 v165, vcc, v88, v5
	v_addc_co_u32_e32 v166, vcc, v89, v6, vcc
	global_load_dword v169, v[165:166], off
.LBB51_106:                             ;   in Loop: Header=BB51_3 Depth=1
	s_or_b64 exec, exec, s[10:11]
	v_mov_b32_e32 v166, 0
	v_mov_b32_e32 v168, 0
	v_mov_b32_e32 v171, 0
	s_and_saveexec_b64 s[10:11], s[2:3]
	s_cbranch_execz .LBB51_108
; %bb.107:                              ;   in Loop: Header=BB51_3 Depth=1
	v_add_co_u32_e32 v170, vcc, v82, v5
	v_addc_co_u32_e32 v171, vcc, v83, v6, vcc
	global_load_dword v168, v[170:171], off
	v_add_co_u32_e32 v170, vcc, v84, v5
	v_addc_co_u32_e32 v171, vcc, v85, v6, vcc
	global_load_dword v171, v[170:171], off
.LBB51_108:                             ;   in Loop: Header=BB51_3 Depth=1
	s_or_b64 exec, exec, s[10:11]
	v_mov_b32_e32 v173, 0
	s_and_saveexec_b64 s[10:11], s[2:3]
	s_cbranch_execz .LBB51_110
; %bb.109:                              ;   in Loop: Header=BB51_3 Depth=1
	v_add_co_u32_e32 v165, vcc, v78, v5
	v_addc_co_u32_e32 v166, vcc, v79, v6, vcc
	v_add_co_u32_e32 v172, vcc, v80, v5
	v_addc_co_u32_e32 v173, vcc, v81, v6, vcc
	global_load_dword v166, v[165:166], off
	s_nop 0
	global_load_dword v173, v[172:173], off
.LBB51_110:                             ;   in Loop: Header=BB51_3 Depth=1
	s_or_b64 exec, exec, s[10:11]
	v_mov_b32_e32 v170, 0
	v_mov_b32_e32 v172, 0
	v_mov_b32_e32 v175, 0
	s_and_saveexec_b64 s[10:11], s[2:3]
	s_cbranch_execz .LBB51_112
; %bb.111:                              ;   in Loop: Header=BB51_3 Depth=1
	v_add_co_u32_e32 v174, vcc, v74, v5
	v_addc_co_u32_e32 v175, vcc, v75, v6, vcc
	global_load_dword v172, v[174:175], off
	v_add_co_u32_e32 v174, vcc, v76, v5
	v_addc_co_u32_e32 v175, vcc, v77, v6, vcc
	global_load_dword v175, v[174:175], off
.LBB51_112:                             ;   in Loop: Header=BB51_3 Depth=1
	s_or_b64 exec, exec, s[10:11]
	v_mov_b32_e32 v177, 0
	s_and_saveexec_b64 s[10:11], s[2:3]
	s_cbranch_execz .LBB51_114
; %bb.113:                              ;   in Loop: Header=BB51_3 Depth=1
	v_add_co_u32_e32 v176, vcc, v70, v5
	v_addc_co_u32_e32 v177, vcc, v71, v6, vcc
	global_load_dword v170, v[176:177], off
	v_add_co_u32_e32 v176, vcc, v72, v5
	v_addc_co_u32_e32 v177, vcc, v73, v6, vcc
	global_load_dword v177, v[176:177], off
.LBB51_114:                             ;   in Loop: Header=BB51_3 Depth=1
	s_or_b64 exec, exec, s[10:11]
	v_mov_b32_e32 v174, 0
	v_mov_b32_e32 v176, 0
	v_mov_b32_e32 v179, 0
	s_and_saveexec_b64 s[10:11], s[2:3]
	s_cbranch_execz .LBB51_116
; %bb.115:                              ;   in Loop: Header=BB51_3 Depth=1
	v_add_co_u32_e32 v178, vcc, v66, v5
	v_addc_co_u32_e32 v179, vcc, v67, v6, vcc
	global_load_dword v176, v[178:179], off
	v_add_co_u32_e32 v178, vcc, v68, v5
	v_addc_co_u32_e32 v179, vcc, v69, v6, vcc
	global_load_dword v179, v[178:179], off
.LBB51_116:                             ;   in Loop: Header=BB51_3 Depth=1
	s_or_b64 exec, exec, s[10:11]
	v_mov_b32_e32 v181, 0
	s_and_saveexec_b64 s[10:11], s[2:3]
	s_cbranch_execz .LBB51_118
; %bb.117:                              ;   in Loop: Header=BB51_3 Depth=1
	v_add_co_u32_e32 v180, vcc, v62, v5
	v_addc_co_u32_e32 v181, vcc, v63, v6, vcc
	global_load_dword v174, v[180:181], off
	v_add_co_u32_e32 v180, vcc, v64, v5
	v_addc_co_u32_e32 v181, vcc, v65, v6, vcc
	global_load_dword v181, v[180:181], off
.LBB51_118:                             ;   in Loop: Header=BB51_3 Depth=1
	;; [unrolled: 26-line block ×8, first 2 shown]
	s_or_b64 exec, exec, s[10:11]
	s_waitcnt vmcnt(1)
	ds_bpermute_b32 v202, v138, v10
	s_waitcnt vmcnt(0)
	ds_bpermute_b32 v203, v138, v9
	ds_bpermute_b32 v204, v138, v10 offset:4
	ds_bpermute_b32 v205, v138, v9 offset:4
	v_add_f32_e32 v3, v3, v7
	s_waitcnt lgkmcnt(3)
	v_sub_f32_e32 v8, v8, v202
	v_mul_f32_e32 v7, v7, v8
	s_waitcnt lgkmcnt(2)
	v_fmac_f32_e32 v139, v7, v203
	s_waitcnt lgkmcnt(1)
	v_sub_f32_e32 v7, v143, v204
	ds_bpermute_b32 v8, v138, v10 offset:8
	v_mul_f32_e32 v7, v140, v7
	s_waitcnt lgkmcnt(1)
	v_fmac_f32_e32 v139, v7, v205
	ds_bpermute_b32 v7, v138, v9 offset:8
	v_add_f32_e32 v3, v3, v140
	s_waitcnt lgkmcnt(1)
	v_sub_f32_e32 v8, v145, v8
	ds_bpermute_b32 v140, v138, v10 offset:12
	v_mul_f32_e32 v8, v142, v8
	s_waitcnt lgkmcnt(1)
	v_fmac_f32_e32 v139, v8, v7
	ds_bpermute_b32 v7, v138, v9 offset:12
	v_add_f32_e32 v3, v3, v142
	;; [unrolled: 8-line block ×28, first 2 shown]
	s_waitcnt lgkmcnt(1)
	v_sub_f32_e32 v8, v200, v140
	ds_bpermute_b32 v140, v138, v10 offset:120
	v_mul_f32_e32 v8, v195, v8
	s_waitcnt lgkmcnt(1)
	v_fmac_f32_e32 v139, v8, v7
	ds_bpermute_b32 v7, v138, v9 offset:120
	ds_bpermute_b32 v9, v138, v9 offset:124
	;; [unrolled: 1-line block ×3, first 2 shown]
	s_waitcnt lgkmcnt(3)
	v_sub_f32_e32 v8, v201, v140
	v_mul_f32_e32 v8, v199, v8
	v_add_f32_e32 v3, v3, v195
	s_waitcnt lgkmcnt(2)
	v_fmac_f32_e32 v139, v8, v7
	v_add_f32_e32 v140, v3, v199
	v_mov_b32_e32 v142, v139
.LBB51_143:                             ;   in Loop: Header=BB51_3 Depth=1
	v_mov_b32_e32 v7, s29
	v_add_co_u32_e32 v209, vcc, s28, v209
	v_addc_co_u32_e32 v11, vcc, v11, v7, vcc
	v_add_co_u32_e32 v12, vcc, s28, v12
	v_addc_co_u32_e32 v13, vcc, v13, v7, vcc
	;; [unrolled: 2-line block ×64, first 2 shown]
	s_add_u32 s34, s34, s9
	v_add_co_u32_e32 v210, vcc, s9, v210
	v_mov_b32_e32 v7, s12
	s_addc_u32 s35, s35, 0
	v_addc_co_u32_e32 v2, vcc, 0, v2, vcc
	v_mov_b32_e32 v8, s13
	s_waitcnt lgkmcnt(0)
	v_sub_f32_e32 v3, v165, v10
	v_cmp_lt_i64_e32 vcc, s[34:35], v[7:8]
	v_mul_f32_e32 v3, v159, v3
	s_add_u32 s30, s30, s9
	v_fmac_f32_e32 v142, v3, v9
	v_add_f32_e32 v3, v140, v159
	s_addc_u32 s31, 0, s31
	s_cbranch_vccz .LBB51_146
; %bb.144:                              ;   in Loop: Header=BB51_3 Depth=1
	v_mov_b32_e32 v139, v142
	s_branch .LBB51_3
.LBB51_145:
                                        ; implicit-def: $vgpr3
                                        ; implicit-def: $vgpr142
	s_branch .LBB51_147
.LBB51_146:
	s_cbranch_execnz .LBB51_228
.LBB51_147:
	v_mov_b32_e32 v3, 0
	s_and_b64 vcc, exec, s[0:1]
	v_mov_b32_e32 v142, 0
	s_cbranch_vccnz .LBB51_228
; %bb.148:
	v_lshlrev_b32_e32 v144, 5, v1
	v_add_co_u32_e32 v137, vcc, s24, v144
	v_addc_co_u32_e64 v136, s[0:1], 0, 0, vcc
	v_mul_lo_u32 v4, s15, v137
	v_mul_lo_u32 v5, s14, v136
	v_mad_u64_u32 v[14:15], s[0:1], s14, v137, 0
	v_mov_b32_e32 v6, s17
	s_add_u32 s2, s4, 64
	v_add3_u32 v15, v15, v5, v4
	v_lshlrev_b64 v[4:5], 2, v[14:15]
	s_addc_u32 s3, s5, 0
	v_add_co_u32_e32 v187, vcc, s16, v4
	v_addc_co_u32_e32 v188, vcc, v6, v5, vcc
	v_mov_b32_e32 v6, s19
	v_add_co_u32_e32 v189, vcc, s18, v4
	v_addc_co_u32_e32 v190, vcc, v6, v5, vcc
	v_lshlrev_b32_e32 v4, 7, v1
	s_lshl_b64 s[0:1], s[24:25], 2
	v_mov_b32_e32 v5, s1
	v_add_co_u32_e32 v124, vcc, s0, v4
	v_addc_co_u32_e32 v125, vcc, 0, v5, vcc
	v_add_co_u32_e32 v6, vcc, 4, v124
	v_addc_co_u32_e32 v7, vcc, 0, v125, vcc
	v_mov_b32_e32 v127, s17
	v_mov_b32_e32 v129, s19
	;; [unrolled: 1-line block ×4, first 2 shown]
	v_add_co_u32_e32 v13, vcc, 8, v124
	v_mad_u64_u32 v[4:5], s[0:1], s14, v6, v[126:127]
	v_mul_lo_u32 v11, s14, v7
	v_mul_lo_u32 v12, s15, v6
	v_mad_u64_u32 v[6:7], s[0:1], s14, v6, v[128:129]
	v_addc_co_u32_e32 v8, vcc, 0, v125, vcc
	v_mov_b32_e32 v2, v1
	v_mov_b32_e32 v10, s15
	v_add_co_u32_e32 v130, vcc, s14, v14
	buffer_store_dword v2, off, s[40:43], 0 offset:292 ; 4-byte Folded Spill
	s_nop 0
	buffer_store_dword v3, off, s[40:43], 0 offset:296 ; 4-byte Folded Spill
	v_addc_co_u32_e32 v131, vcc, v15, v10, vcc
	v_add_co_u32_e32 v2, vcc, 12, v124
	v_mul_lo_u32 v18, s14, v8
	v_mul_lo_u32 v19, s15, v13
	v_mad_u64_u32 v[8:9], s[0:1], s14, v13, v[126:127]
	v_add3_u32 v5, v12, v5, v11
	v_add3_u32 v7, v12, v7, v11
	v_mad_u64_u32 v[10:11], s[0:1], s14, v13, v[128:129]
	v_addc_co_u32_e32 v3, vcc, 0, v125, vcc
	v_mul_lo_u32 v3, s14, v3
	v_mul_lo_u32 v20, s15, v2
	v_mad_u64_u32 v[12:13], s[0:1], s14, v2, v[126:127]
	v_mad_u64_u32 v[14:15], s[0:1], s14, v2, v[128:129]
	v_add_co_u32_e32 v2, vcc, 16, v124
	v_addc_co_u32_e32 v16, vcc, 0, v125, vcc
	v_add3_u32 v9, v19, v9, v18
	v_mul_lo_u32 v26, s14, v16
	v_mul_lo_u32 v27, s15, v2
	v_mad_u64_u32 v[16:17], s[0:1], s14, v2, v[126:127]
	v_add3_u32 v11, v19, v11, v18
	v_mad_u64_u32 v[18:19], s[0:1], s14, v2, v[128:129]
	v_add_co_u32_e32 v2, vcc, 20, v124
	v_add3_u32 v13, v20, v13, v3
	v_add3_u32 v15, v20, v15, v3
	v_addc_co_u32_e32 v3, vcc, 0, v125, vcc
	v_mul_lo_u32 v3, s14, v3
	v_mul_lo_u32 v28, s15, v2
	v_mad_u64_u32 v[20:21], s[0:1], s14, v2, v[126:127]
	v_mad_u64_u32 v[22:23], s[0:1], s14, v2, v[128:129]
	v_add_co_u32_e32 v2, vcc, 24, v124
	v_addc_co_u32_e32 v24, vcc, 0, v125, vcc
	v_add3_u32 v17, v27, v17, v26
	v_mul_lo_u32 v34, s14, v24
	v_mul_lo_u32 v35, s15, v2
	v_mad_u64_u32 v[24:25], s[0:1], s14, v2, v[126:127]
	v_add3_u32 v19, v27, v19, v26
	v_mad_u64_u32 v[26:27], s[0:1], s14, v2, v[128:129]
	v_add_co_u32_e32 v2, vcc, 28, v124
	v_add3_u32 v21, v28, v21, v3
	v_add3_u32 v23, v28, v23, v3
	;; [unrolled: 16-line block ×6, first 2 shown]
	v_addc_co_u32_e32 v3, vcc, 0, v125, vcc
	v_mul_lo_u32 v68, s15, v2
	v_mad_u64_u32 v[60:61], s[0:1], s14, v2, v[126:127]
	v_mad_u64_u32 v[62:63], s[0:1], s14, v2, v[128:129]
	v_add_co_u32_e32 v2, vcc, 64, v124
	v_mul_lo_u32 v3, s14, v3
	v_addc_co_u32_e32 v64, vcc, 0, v125, vcc
	v_add3_u32 v57, v67, v57, v66
	v_mul_lo_u32 v74, s14, v64
	v_mad_u64_u32 v[64:65], s[0:1], s14, v2, v[126:127]
	v_add3_u32 v59, v67, v59, v66
	v_mad_u64_u32 v[66:67], s[0:1], s14, v2, v[128:129]
	s_movk_i32 s0, 0x44
	v_mul_lo_u32 v75, s15, v2
	v_add_co_u32_e32 v2, vcc, s0, v124
	v_add3_u32 v61, v68, v61, v3
	v_add3_u32 v63, v68, v63, v3
	v_mad_u64_u32 v[68:69], s[0:1], s14, v2, v[126:127]
	v_mad_u64_u32 v[70:71], s[0:1], s14, v2, v[128:129]
	v_addc_co_u32_e32 v3, vcc, 0, v125, vcc
	s_movk_i32 s0, 0x48
	v_mul_lo_u32 v76, s15, v2
	v_add_co_u32_e32 v2, vcc, s0, v124
	v_mul_lo_u32 v3, s14, v3
	v_addc_co_u32_e32 v72, vcc, 0, v125, vcc
	v_add3_u32 v65, v75, v65, v74
	v_mul_lo_u32 v82, s14, v72
	v_mad_u64_u32 v[72:73], s[0:1], s14, v2, v[126:127]
	v_add3_u32 v67, v75, v67, v74
	v_mad_u64_u32 v[74:75], s[0:1], s14, v2, v[128:129]
	s_movk_i32 s0, 0x4c
	v_mul_lo_u32 v83, s15, v2
	v_add_co_u32_e32 v2, vcc, s0, v124
	v_add3_u32 v69, v76, v69, v3
	v_add3_u32 v71, v76, v71, v3
	v_mad_u64_u32 v[76:77], s[0:1], s14, v2, v[126:127]
	v_mad_u64_u32 v[78:79], s[0:1], s14, v2, v[128:129]
	v_addc_co_u32_e32 v3, vcc, 0, v125, vcc
	s_movk_i32 s0, 0x50
	v_mul_lo_u32 v84, s15, v2
	;; [unrolled: 18-line block ×7, first 2 shown]
	v_add_co_u32_e32 v2, vcc, s0, v124
	v_mul_lo_u32 v3, s14, v3
	v_addc_co_u32_e32 v120, vcc, 0, v125, vcc
	v_add3_u32 v113, v123, v113, v122
	v_mul_lo_u32 v133, s14, v120
	v_mad_u64_u32 v[120:121], s[0:1], s14, v2, v[126:127]
	v_add3_u32 v115, v123, v115, v122
	v_mad_u64_u32 v[122:123], s[0:1], s14, v2, v[128:129]
	s_movk_i32 s0, 0x7c
	v_mul_lo_u32 v134, s15, v2
	v_add_co_u32_e32 v2, vcc, s0, v124
	v_add3_u32 v117, v132, v117, v3
	v_add3_u32 v119, v132, v119, v3
	v_addc_co_u32_e32 v3, vcc, 0, v125, vcc
	v_mad_u64_u32 v[124:125], s[0:1], s14, v2, v[126:127]
	v_mad_u64_u32 v[126:127], s[0:1], s14, v2, v[128:129]
	v_mul_lo_u32 v128, s15, v2
	v_add_co_u32_e32 v2, vcc, 31, v137
	v_mul_lo_u32 v132, s14, v3
	v_addc_co_u32_e32 v3, vcc, 0, v136, vcc
	v_mul_lo_u32 v129, s14, v3
	v_mul_lo_u32 v135, s15, v2
	v_mad_u64_u32 v[2:3], s[0:1], s14, v2, 0
	v_add3_u32 v125, v128, v125, v132
	v_add3_u32 v127, v128, v127, v132
	;; [unrolled: 1-line block ×3, first 2 shown]
	v_lshlrev_b64 v[2:3], 2, v[2:3]
	v_mov_b32_e32 v128, s17
	v_add_co_u32_e32 v1, vcc, s16, v2
	buffer_store_dword v1, off, s[40:43], 0 ; 4-byte Folded Spill
	v_addc_co_u32_e32 v1, vcc, v128, v3, vcc
	v_add_co_u32_e32 v128, vcc, 30, v137
	v_addc_co_u32_e32 v129, vcc, 0, v136, vcc
	v_add3_u32 v121, v134, v121, v133
	v_add3_u32 v123, v134, v123, v133
	v_mul_lo_u32 v133, s14, v129
	v_mul_lo_u32 v134, s15, v128
	v_mad_u64_u32 v[128:129], s[0:1], s14, v128, 0
	buffer_store_dword v1, off, s[40:43], 0 offset:4 ; 4-byte Folded Spill
	v_mov_b32_e32 v132, s19
	v_add_co_u32_e32 v1, vcc, s18, v2
	v_add3_u32 v129, v129, v133, v134
	buffer_store_dword v1, off, s[40:43], 0 offset:8 ; 4-byte Folded Spill
	v_addc_co_u32_e32 v1, vcc, v132, v3, vcc
	v_lshlrev_b64 v[2:3], 2, v[128:129]
	buffer_store_dword v1, off, s[40:43], 0 offset:12 ; 4-byte Folded Spill
	v_mov_b32_e32 v128, s17
	v_add_co_u32_e32 v1, vcc, s16, v2
	buffer_store_dword v1, off, s[40:43], 0 offset:16 ; 4-byte Folded Spill
	v_addc_co_u32_e32 v1, vcc, v128, v3, vcc
	v_add_co_u32_e32 v128, vcc, 29, v137
	v_addc_co_u32_e32 v129, vcc, 0, v136, vcc
	v_mul_lo_u32 v133, s14, v129
	v_mul_lo_u32 v134, s15, v128
	v_mad_u64_u32 v[128:129], s[0:1], s14, v128, 0
	buffer_store_dword v1, off, s[40:43], 0 offset:20 ; 4-byte Folded Spill
	v_add_co_u32_e32 v1, vcc, s18, v2
	v_add3_u32 v129, v129, v133, v134
	buffer_store_dword v1, off, s[40:43], 0 offset:24 ; 4-byte Folded Spill
	v_addc_co_u32_e32 v1, vcc, v132, v3, vcc
	v_lshlrev_b64 v[2:3], 2, v[128:129]
	buffer_store_dword v1, off, s[40:43], 0 offset:28 ; 4-byte Folded Spill
	v_mov_b32_e32 v128, s17
	v_add_co_u32_e32 v1, vcc, s16, v2
	buffer_store_dword v1, off, s[40:43], 0 offset:32 ; 4-byte Folded Spill
	v_addc_co_u32_e32 v1, vcc, v128, v3, vcc
	v_add_co_u32_e32 v128, vcc, 28, v137
	v_addc_co_u32_e32 v129, vcc, 0, v136, vcc
	v_mul_lo_u32 v133, s14, v129
	v_mul_lo_u32 v134, s15, v128
	v_mad_u64_u32 v[128:129], s[0:1], s14, v128, 0
	buffer_store_dword v1, off, s[40:43], 0 offset:36 ; 4-byte Folded Spill
	v_add_co_u32_e32 v1, vcc, s18, v2
	v_add3_u32 v129, v129, v133, v134
	buffer_store_dword v1, off, s[40:43], 0 offset:40 ; 4-byte Folded Spill
	v_addc_co_u32_e32 v1, vcc, v132, v3, vcc
	v_lshlrev_b64 v[2:3], 2, v[128:129]
	buffer_store_dword v1, off, s[40:43], 0 offset:44 ; 4-byte Folded Spill
	v_mov_b32_e32 v128, s17
	v_add_co_u32_e32 v1, vcc, s16, v2
	buffer_store_dword v1, off, s[40:43], 0 offset:48 ; 4-byte Folded Spill
	v_addc_co_u32_e32 v1, vcc, v128, v3, vcc
	v_add_co_u32_e32 v128, vcc, 27, v137
	v_addc_co_u32_e32 v129, vcc, 0, v136, vcc
	v_mul_lo_u32 v133, s14, v129
	v_mul_lo_u32 v134, s15, v128
	v_mad_u64_u32 v[128:129], s[0:1], s14, v128, 0
	buffer_store_dword v1, off, s[40:43], 0 offset:52 ; 4-byte Folded Spill
	v_add_co_u32_e32 v1, vcc, s18, v2
	v_add3_u32 v129, v129, v133, v134
	buffer_store_dword v1, off, s[40:43], 0 offset:56 ; 4-byte Folded Spill
	v_addc_co_u32_e32 v1, vcc, v132, v3, vcc
	v_lshlrev_b64 v[2:3], 2, v[128:129]
	buffer_store_dword v1, off, s[40:43], 0 offset:60 ; 4-byte Folded Spill
	v_mov_b32_e32 v128, s17
	v_add_co_u32_e32 v1, vcc, s16, v2
	buffer_store_dword v1, off, s[40:43], 0 offset:64 ; 4-byte Folded Spill
	v_addc_co_u32_e32 v1, vcc, v128, v3, vcc
	v_add_co_u32_e32 v128, vcc, 26, v137
	v_addc_co_u32_e32 v129, vcc, 0, v136, vcc
	v_mul_lo_u32 v133, s14, v129
	v_mul_lo_u32 v134, s15, v128
	v_mad_u64_u32 v[128:129], s[0:1], s14, v128, 0
	buffer_store_dword v1, off, s[40:43], 0 offset:68 ; 4-byte Folded Spill
	v_add_co_u32_e32 v1, vcc, s18, v2
	v_add3_u32 v129, v129, v133, v134
	buffer_store_dword v1, off, s[40:43], 0 offset:72 ; 4-byte Folded Spill
	v_addc_co_u32_e32 v1, vcc, v132, v3, vcc
	v_lshlrev_b64 v[2:3], 2, v[128:129]
	buffer_store_dword v1, off, s[40:43], 0 offset:76 ; 4-byte Folded Spill
	v_mov_b32_e32 v128, s17
	v_add_co_u32_e32 v1, vcc, s16, v2
	buffer_store_dword v1, off, s[40:43], 0 offset:80 ; 4-byte Folded Spill
	v_addc_co_u32_e32 v1, vcc, v128, v3, vcc
	v_add_co_u32_e32 v128, vcc, 25, v137
	v_addc_co_u32_e32 v129, vcc, 0, v136, vcc
	v_mul_lo_u32 v133, s14, v129
	v_mul_lo_u32 v134, s15, v128
	v_mad_u64_u32 v[128:129], s[0:1], s14, v128, 0
	buffer_store_dword v1, off, s[40:43], 0 offset:84 ; 4-byte Folded Spill
	v_add_co_u32_e32 v1, vcc, s18, v2
	v_add3_u32 v129, v129, v133, v134
	buffer_store_dword v1, off, s[40:43], 0 offset:88 ; 4-byte Folded Spill
	v_addc_co_u32_e32 v1, vcc, v132, v3, vcc
	v_lshlrev_b64 v[2:3], 2, v[128:129]
	buffer_store_dword v1, off, s[40:43], 0 offset:92 ; 4-byte Folded Spill
	v_mov_b32_e32 v128, s17
	v_add_co_u32_e32 v1, vcc, s16, v2
	buffer_store_dword v1, off, s[40:43], 0 offset:96 ; 4-byte Folded Spill
	v_addc_co_u32_e32 v1, vcc, v128, v3, vcc
	v_add_co_u32_e32 v128, vcc, 24, v137
	v_addc_co_u32_e32 v129, vcc, 0, v136, vcc
	v_mul_lo_u32 v133, s14, v129
	v_mul_lo_u32 v134, s15, v128
	v_mad_u64_u32 v[128:129], s[0:1], s14, v128, 0
	buffer_store_dword v1, off, s[40:43], 0 offset:100 ; 4-byte Folded Spill
	v_add_co_u32_e32 v1, vcc, s18, v2
	v_add3_u32 v129, v129, v133, v134
	buffer_store_dword v1, off, s[40:43], 0 offset:104 ; 4-byte Folded Spill
	v_addc_co_u32_e32 v1, vcc, v132, v3, vcc
	v_lshlrev_b64 v[2:3], 2, v[128:129]
	buffer_store_dword v1, off, s[40:43], 0 offset:108 ; 4-byte Folded Spill
	v_mov_b32_e32 v128, s17
	v_add_co_u32_e32 v1, vcc, s16, v2
	buffer_store_dword v1, off, s[40:43], 0 offset:112 ; 4-byte Folded Spill
	v_addc_co_u32_e32 v1, vcc, v128, v3, vcc
	v_add_co_u32_e32 v128, vcc, 23, v137
	v_addc_co_u32_e32 v129, vcc, 0, v136, vcc
	v_mul_lo_u32 v133, s14, v129
	v_mul_lo_u32 v134, s15, v128
	v_mad_u64_u32 v[128:129], s[0:1], s14, v128, 0
	buffer_store_dword v1, off, s[40:43], 0 offset:116 ; 4-byte Folded Spill
	v_add_co_u32_e32 v1, vcc, s18, v2
	v_add3_u32 v129, v129, v133, v134
	buffer_store_dword v1, off, s[40:43], 0 offset:120 ; 4-byte Folded Spill
	v_addc_co_u32_e32 v1, vcc, v132, v3, vcc
	v_lshlrev_b64 v[2:3], 2, v[128:129]
	buffer_store_dword v1, off, s[40:43], 0 offset:124 ; 4-byte Folded Spill
	v_mov_b32_e32 v128, s17
	v_add_co_u32_e32 v1, vcc, s16, v2
	buffer_store_dword v1, off, s[40:43], 0 offset:128 ; 4-byte Folded Spill
	v_addc_co_u32_e32 v1, vcc, v128, v3, vcc
	v_add_co_u32_e32 v128, vcc, 22, v137
	v_addc_co_u32_e32 v129, vcc, 0, v136, vcc
	v_mul_lo_u32 v133, s14, v129
	v_mul_lo_u32 v134, s15, v128
	v_mad_u64_u32 v[128:129], s[0:1], s14, v128, 0
	buffer_store_dword v1, off, s[40:43], 0 offset:132 ; 4-byte Folded Spill
	v_add_co_u32_e32 v1, vcc, s18, v2
	v_add3_u32 v129, v129, v133, v134
	buffer_store_dword v1, off, s[40:43], 0 offset:136 ; 4-byte Folded Spill
	v_addc_co_u32_e32 v1, vcc, v132, v3, vcc
	v_lshlrev_b64 v[2:3], 2, v[128:129]
	buffer_store_dword v1, off, s[40:43], 0 offset:140 ; 4-byte Folded Spill
	v_mov_b32_e32 v128, s17
	v_add_co_u32_e32 v1, vcc, s16, v2
	buffer_store_dword v1, off, s[40:43], 0 offset:144 ; 4-byte Folded Spill
	v_addc_co_u32_e32 v1, vcc, v128, v3, vcc
	v_add_co_u32_e32 v128, vcc, 21, v137
	v_addc_co_u32_e32 v129, vcc, 0, v136, vcc
	v_mul_lo_u32 v133, s14, v129
	v_mul_lo_u32 v134, s15, v128
	v_mad_u64_u32 v[128:129], s[0:1], s14, v128, 0
	buffer_store_dword v1, off, s[40:43], 0 offset:148 ; 4-byte Folded Spill
	v_add_co_u32_e32 v1, vcc, s18, v2
	v_add3_u32 v129, v129, v133, v134
	buffer_store_dword v1, off, s[40:43], 0 offset:152 ; 4-byte Folded Spill
	v_addc_co_u32_e32 v1, vcc, v132, v3, vcc
	v_lshlrev_b64 v[2:3], 2, v[128:129]
	buffer_store_dword v1, off, s[40:43], 0 offset:156 ; 4-byte Folded Spill
	v_mov_b32_e32 v128, s17
	v_add_co_u32_e32 v1, vcc, s16, v2
	buffer_store_dword v1, off, s[40:43], 0 offset:160 ; 4-byte Folded Spill
	v_addc_co_u32_e32 v1, vcc, v128, v3, vcc
	v_add_co_u32_e32 v128, vcc, 20, v137
	v_addc_co_u32_e32 v129, vcc, 0, v136, vcc
	v_mul_lo_u32 v133, s14, v129
	v_mul_lo_u32 v134, s15, v128
	v_mad_u64_u32 v[128:129], s[0:1], s14, v128, 0
	buffer_store_dword v1, off, s[40:43], 0 offset:164 ; 4-byte Folded Spill
	v_add_co_u32_e32 v1, vcc, s18, v2
	v_add3_u32 v129, v129, v133, v134
	buffer_store_dword v1, off, s[40:43], 0 offset:168 ; 4-byte Folded Spill
	v_addc_co_u32_e32 v1, vcc, v132, v3, vcc
	v_lshlrev_b64 v[2:3], 2, v[128:129]
	buffer_store_dword v1, off, s[40:43], 0 offset:172 ; 4-byte Folded Spill
	v_mov_b32_e32 v128, s17
	v_add_co_u32_e32 v1, vcc, s16, v2
	buffer_store_dword v1, off, s[40:43], 0 offset:176 ; 4-byte Folded Spill
	v_addc_co_u32_e32 v1, vcc, v128, v3, vcc
	v_add_co_u32_e32 v128, vcc, 19, v137
	v_addc_co_u32_e32 v129, vcc, 0, v136, vcc
	v_mul_lo_u32 v133, s14, v129
	v_mul_lo_u32 v134, s15, v128
	v_mad_u64_u32 v[128:129], s[0:1], s14, v128, 0
	buffer_store_dword v1, off, s[40:43], 0 offset:180 ; 4-byte Folded Spill
	v_add_co_u32_e32 v1, vcc, s18, v2
	v_add3_u32 v129, v129, v133, v134
	buffer_store_dword v1, off, s[40:43], 0 offset:184 ; 4-byte Folded Spill
	v_addc_co_u32_e32 v1, vcc, v132, v3, vcc
	v_lshlrev_b64 v[2:3], 2, v[128:129]
	buffer_store_dword v1, off, s[40:43], 0 offset:188 ; 4-byte Folded Spill
	v_mov_b32_e32 v128, s17
	v_add_co_u32_e32 v1, vcc, s16, v2
	buffer_store_dword v1, off, s[40:43], 0 offset:192 ; 4-byte Folded Spill
	v_addc_co_u32_e32 v1, vcc, v128, v3, vcc
	v_add_co_u32_e32 v128, vcc, 18, v137
	v_addc_co_u32_e32 v129, vcc, 0, v136, vcc
	v_mul_lo_u32 v133, s14, v129
	v_mul_lo_u32 v134, s15, v128
	v_mad_u64_u32 v[128:129], s[0:1], s14, v128, 0
	buffer_store_dword v1, off, s[40:43], 0 offset:196 ; 4-byte Folded Spill
	v_add_co_u32_e32 v1, vcc, s18, v2
	v_add3_u32 v129, v129, v133, v134
	buffer_store_dword v1, off, s[40:43], 0 offset:200 ; 4-byte Folded Spill
	v_addc_co_u32_e32 v1, vcc, v132, v3, vcc
	v_lshlrev_b64 v[2:3], 2, v[128:129]
	buffer_store_dword v1, off, s[40:43], 0 offset:204 ; 4-byte Folded Spill
	v_mov_b32_e32 v128, s17
	v_add_co_u32_e32 v1, vcc, s16, v2
	buffer_store_dword v1, off, s[40:43], 0 offset:208 ; 4-byte Folded Spill
	v_addc_co_u32_e32 v1, vcc, v128, v3, vcc
	v_add_co_u32_e32 v128, vcc, 17, v137
	v_addc_co_u32_e32 v129, vcc, 0, v136, vcc
	v_mul_lo_u32 v133, s14, v129
	v_mul_lo_u32 v134, s15, v128
	v_mad_u64_u32 v[128:129], s[0:1], s14, v128, 0
	buffer_store_dword v1, off, s[40:43], 0 offset:212 ; 4-byte Folded Spill
	v_add_co_u32_e32 v1, vcc, s18, v2
	v_add3_u32 v129, v129, v133, v134
	buffer_store_dword v1, off, s[40:43], 0 offset:216 ; 4-byte Folded Spill
	v_addc_co_u32_e32 v1, vcc, v132, v3, vcc
	v_lshlrev_b64 v[2:3], 2, v[128:129]
	buffer_store_dword v1, off, s[40:43], 0 offset:220 ; 4-byte Folded Spill
	v_mov_b32_e32 v128, s17
	v_add_co_u32_e32 v1, vcc, s16, v2
	buffer_store_dword v1, off, s[40:43], 0 offset:224 ; 4-byte Folded Spill
	v_addc_co_u32_e32 v1, vcc, v128, v3, vcc
	v_add_co_u32_e32 v128, vcc, 16, v137
	v_addc_co_u32_e32 v129, vcc, 0, v136, vcc
	v_mul_lo_u32 v133, s14, v129
	v_mul_lo_u32 v134, s15, v128
	v_mad_u64_u32 v[128:129], s[0:1], s14, v128, 0
	buffer_store_dword v1, off, s[40:43], 0 offset:228 ; 4-byte Folded Spill
	v_add_co_u32_e32 v1, vcc, s18, v2
	v_add3_u32 v129, v129, v133, v134
	buffer_store_dword v1, off, s[40:43], 0 offset:232 ; 4-byte Folded Spill
	v_addc_co_u32_e32 v1, vcc, v132, v3, vcc
	v_lshlrev_b64 v[2:3], 2, v[128:129]
	buffer_store_dword v1, off, s[40:43], 0 offset:236 ; 4-byte Folded Spill
	v_mov_b32_e32 v128, s17
	v_add_co_u32_e32 v1, vcc, s16, v2
	buffer_store_dword v1, off, s[40:43], 0 offset:240 ; 4-byte Folded Spill
	v_addc_co_u32_e32 v1, vcc, v128, v3, vcc
	v_add_co_u32_e32 v128, vcc, 15, v137
	v_addc_co_u32_e32 v129, vcc, 0, v136, vcc
	v_mul_lo_u32 v133, s14, v129
	v_mul_lo_u32 v134, s15, v128
	v_mad_u64_u32 v[128:129], s[0:1], s14, v128, 0
	buffer_store_dword v1, off, s[40:43], 0 offset:244 ; 4-byte Folded Spill
	v_add_co_u32_e32 v1, vcc, s18, v2
	v_add3_u32 v129, v129, v133, v134
	buffer_store_dword v1, off, s[40:43], 0 offset:248 ; 4-byte Folded Spill
	v_addc_co_u32_e32 v1, vcc, v132, v3, vcc
	v_lshlrev_b64 v[2:3], 2, v[128:129]
	buffer_store_dword v1, off, s[40:43], 0 offset:252 ; 4-byte Folded Spill
	v_mov_b32_e32 v128, s17
	v_add_co_u32_e32 v1, vcc, s16, v2
	buffer_store_dword v1, off, s[40:43], 0 offset:256 ; 4-byte Folded Spill
	v_addc_co_u32_e32 v1, vcc, v128, v3, vcc
	v_add_co_u32_e32 v128, vcc, 14, v137
	v_addc_co_u32_e32 v129, vcc, 0, v136, vcc
	v_mul_lo_u32 v133, s14, v129
	v_mul_lo_u32 v134, s15, v128
	v_mad_u64_u32 v[128:129], s[0:1], s14, v128, 0
	buffer_store_dword v1, off, s[40:43], 0 offset:260 ; 4-byte Folded Spill
	v_add_co_u32_e32 v1, vcc, s18, v2
	v_add3_u32 v129, v129, v133, v134
	buffer_store_dword v1, off, s[40:43], 0 offset:264 ; 4-byte Folded Spill
	v_addc_co_u32_e32 v1, vcc, v132, v3, vcc
	v_lshlrev_b64 v[2:3], 2, v[128:129]
	buffer_store_dword v1, off, s[40:43], 0 offset:268 ; 4-byte Folded Spill
	v_mov_b32_e32 v128, s17
	v_add_co_u32_e32 v1, vcc, s16, v2
	v_mov_b32_e32 v135, v0
	v_addc_co_u32_e32 v0, vcc, v128, v3, vcc
	v_add_co_u32_e32 v128, vcc, 13, v137
	v_addc_co_u32_e32 v129, vcc, 0, v136, vcc
	v_mul_lo_u32 v133, s14, v129
	v_mul_lo_u32 v134, s15, v128
	v_mad_u64_u32 v[128:129], s[0:1], s14, v128, 0
	v_add_co_u32_e32 v211, vcc, s18, v2
	v_add3_u32 v129, v129, v133, v134
	v_addc_co_u32_e32 v212, vcc, v132, v3, vcc
	v_lshlrev_b64 v[2:3], 2, v[128:129]
	v_mov_b32_e32 v128, s17
	v_add_co_u32_e32 v213, vcc, s16, v2
	v_addc_co_u32_e32 v214, vcc, v128, v3, vcc
	v_add_co_u32_e32 v128, vcc, 12, v137
	v_addc_co_u32_e32 v129, vcc, 0, v136, vcc
	v_mul_lo_u32 v133, s14, v129
	v_mul_lo_u32 v134, s15, v128
	v_mad_u64_u32 v[128:129], s[0:1], s14, v128, 0
	v_add_co_u32_e32 v215, vcc, s18, v2
	v_add3_u32 v129, v129, v133, v134
	v_addc_co_u32_e32 v216, vcc, v132, v3, vcc
	v_lshlrev_b64 v[2:3], 2, v[128:129]
	v_mov_b32_e32 v128, s17
	v_add_co_u32_e32 v217, vcc, s16, v2
	;; [unrolled: 12-line block ×10, first 2 shown]
	v_addc_co_u32_e32 v250, vcc, v128, v3, vcc
	v_mov_b32_e32 v128, s19
	v_add_co_u32_e32 v251, vcc, s18, v2
	v_addc_co_u32_e32 v252, vcc, v128, v3, vcc
	v_add_co_u32_e32 v2, vcc, 3, v137
	v_addc_co_u32_e32 v3, vcc, 0, v136, vcc
	v_mul_lo_u32 v128, s14, v3
	v_mul_lo_u32 v129, s15, v2
	v_mad_u64_u32 v[2:3], s[0:1], s14, v2, 0
	buffer_store_dword v0, off, s[40:43], 0 offset:276 ; 4-byte Folded Spill
	buffer_store_dword v1, off, s[40:43], 0 offset:272 ; 4-byte Folded Spill
	v_add3_u32 v3, v3, v128, v129
	v_lshlrev_b64 v[2:3], 2, v[2:3]
	v_mov_b32_e32 v128, s17
	v_add_co_u32_e32 v253, vcc, s16, v2
	v_addc_co_u32_e32 v254, vcc, v128, v3, vcc
	v_mov_b32_e32 v128, s19
	v_add_co_u32_e32 v255, vcc, s18, v2
	v_addc_co_u32_e32 v128, vcc, v128, v3, vcc
	v_add_co_u32_e32 v0, vcc, 2, v137
	v_addc_co_u32_e32 v1, vcc, 0, v136, vcc
	v_mul_lo_u32 v2, s14, v1
	v_mul_lo_u32 v3, s15, v0
	v_mad_u64_u32 v[0:1], s[0:1], s14, v0, 0
	v_lshlrev_b64 v[130:131], 2, v[130:131]
	s_load_dword s0, s[4:5], 0x44
	v_add3_u32 v1, v1, v2, v3
	v_lshlrev_b64 v[0:1], 2, v[0:1]
	v_mov_b32_e32 v2, s17
	v_add_co_u32_e32 v129, vcc, s16, v0
	v_addc_co_u32_e32 v2, vcc, v2, v1, vcc
	v_mov_b32_e32 v3, s19
	v_add_co_u32_e32 v137, vcc, s18, v0
	v_addc_co_u32_e32 v0, vcc, v3, v1, vcc
	;; [unrolled: 3-line block ×4, first 2 shown]
	v_mbcnt_lo_u32_b32 v3, -1, 0
	v_mbcnt_hi_u32_b32 v3, -1, v3
	v_add_u32_e32 v130, s7, v135
	v_mov_b32_e32 v131, 0
	s_waitcnt lgkmcnt(0)
	s_lshl_b32 s7, s0, 5
	v_lshlrev_b32_e32 v3, 2, v3
	s_mul_i32 s0, s15, s7
	s_mul_hi_u32 s1, s14, s7
	v_and_b32_e32 v136, 0x100, v3
	v_mov_b32_e32 v3, v131
	buffer_store_dword v135, off, s[40:43], 0 offset:300 ; 4-byte Folded Spill
	s_add_i32 s1, s1, s0
	s_mul_i32 s0, s14, s7
	v_mov_b32_e32 v141, v131
	buffer_store_dword v2, off, s[40:43], 0 offset:304 ; 4-byte Folded Spill
	s_nop 0
	buffer_store_dword v3, off, s[40:43], 0 offset:308 ; 4-byte Folded Spill
	v_lshlrev_b64 v[130:131], 2, v[130:131]
	s_lshl_b64 s[10:11], s[0:1], 2
	s_mov_b64 s[16:17], 31
	s_mov_b64 s[18:19], s[24:25]
	v_mov_b32_e32 v143, 0
	v_mov_b32_e32 v3, 0
.LBB51_149:                             ; =>This Inner Loop Header: Depth=1
	s_add_u32 s0, s24, s16
	v_mov_b32_e32 v133, s13
	s_addc_u32 s1, 0, s17
	v_mov_b32_e32 v132, s12
	v_cmp_ge_i64_e32 vcc, s[0:1], v[132:133]
	v_add_co_u32_e64 v132, s[0:1], s24, v144
	v_addc_co_u32_e64 v133, s[0:1], 0, v141, s[0:1]
	s_mov_b64 s[0:1], -1
	s_and_b64 vcc, exec, vcc
	buffer_store_dword v144, off, s[40:43], 0 offset:280 ; 4-byte Folded Spill
                                        ; implicit-def: $vgpr135
                                        ; implicit-def: $vgpr191
                                        ; implicit-def: $vgpr192
                                        ; implicit-def: $vgpr144
                                        ; implicit-def: $vgpr134
                                        ; implicit-def: $vgpr142
	s_cbranch_vccz .LBB51_219
; %bb.150:                              ;   in Loop: Header=BB51_149 Depth=1
	s_load_dword s0, s[2:3], 0xc
	buffer_load_dword v134, off, s[40:43], 0 offset:292 ; 4-byte Folded Reload
	buffer_load_dword v135, off, s[40:43], 0 offset:296 ; 4-byte Folded Reload
	buffer_load_dword v135, off, s[40:43], 0 offset:300 ; 4-byte Folded Reload
	v_mov_b32_e32 v147, 0
	v_mov_b32_e32 v144, 0
	s_waitcnt lgkmcnt(0)
	s_and_b32 s0, s0, 0xffff
	v_mov_b32_e32 v145, 0
	s_waitcnt vmcnt(0)
	v_mad_u32_u24 v134, v134, s0, v135
	v_and_b32_e32 v134, 63, v134
	v_cmp_gt_u32_e32 vcc, 32, v134
	s_and_saveexec_b64 s[0:1], vcc
	s_cbranch_execz .LBB51_154
; %bb.151:                              ;   in Loop: Header=BB51_149 Depth=1
	v_add_co_u32_e32 v134, vcc, v132, v134
	v_addc_co_u32_e32 v135, vcc, 0, v133, vcc
	v_cmp_gt_i64_e32 vcc, s[12:13], v[134:135]
	v_mov_b32_e32 v145, 0
	v_mov_b32_e32 v144, 0
	s_and_saveexec_b64 s[26:27], vcc
	s_cbranch_execz .LBB51_153
; %bb.152:                              ;   in Loop: Header=BB51_149 Depth=1
	v_lshlrev_b64 v[134:135], 2, v[134:135]
	v_mov_b32_e32 v142, s23
	v_add_co_u32_e32 v148, vcc, s22, v134
	v_addc_co_u32_e32 v149, vcc, v142, v135, vcc
	v_mov_b32_e32 v142, s21
	v_add_co_u32_e32 v134, vcc, s20, v134
	v_addc_co_u32_e32 v135, vcc, v142, v135, vcc
	global_load_dword v145, v[134:135], off
	global_load_dword v144, v[148:149], off
.LBB51_153:                             ;   in Loop: Header=BB51_149 Depth=1
	s_or_b64 exec, exec, s[26:27]
.LBB51_154:                             ;   in Loop: Header=BB51_149 Depth=1
	s_or_b64 exec, exec, s[0:1]
	v_cmp_gt_i64_e32 vcc, s[12:13], v[132:133]
	v_mov_b32_e32 v142, 0
	s_and_saveexec_b64 s[0:1], vcc
	s_cbranch_execz .LBB51_156
; %bb.155:                              ;   in Loop: Header=BB51_149 Depth=1
	v_add_co_u32_e32 v134, vcc, v187, v130
	v_addc_co_u32_e32 v135, vcc, v188, v131, vcc
	global_load_dword v147, v[134:135], off
	v_add_co_u32_e32 v134, vcc, v189, v130
	v_addc_co_u32_e32 v135, vcc, v190, v131, vcc
	global_load_dword v142, v[134:135], off
.LBB51_156:                             ;   in Loop: Header=BB51_149 Depth=1
	s_or_b64 exec, exec, s[0:1]
	v_add_co_u32_e32 v134, vcc, 1, v132
	v_addc_co_u32_e32 v135, vcc, 0, v133, vcc
	v_cmp_gt_i64_e32 vcc, s[12:13], v[134:135]
	v_mov_b32_e32 v163, 0
	v_mov_b32_e32 v180, 0
	v_mov_b32_e32 v185, 0
	s_and_saveexec_b64 s[0:1], vcc
	s_cbranch_execz .LBB51_158
; %bb.157:                              ;   in Loop: Header=BB51_149 Depth=1
	v_add_co_u32_e32 v134, vcc, v1, v130
	v_addc_co_u32_e32 v135, vcc, v138, v131, vcc
	global_load_dword v180, v[134:135], off
	v_add_co_u32_e32 v134, vcc, v139, v130
	v_addc_co_u32_e32 v135, vcc, v140, v131, vcc
	global_load_dword v185, v[134:135], off
.LBB51_158:                             ;   in Loop: Header=BB51_149 Depth=1
	s_or_b64 exec, exec, s[0:1]
	v_add_co_u32_e32 v134, vcc, 2, v132
	v_addc_co_u32_e32 v135, vcc, 0, v133, vcc
	v_cmp_gt_i64_e32 vcc, s[12:13], v[134:135]
	v_mov_b32_e32 v184, 0
	s_and_saveexec_b64 s[0:1], vcc
	s_cbranch_execz .LBB51_160
; %bb.159:                              ;   in Loop: Header=BB51_149 Depth=1
	v_add_co_u32_e32 v134, vcc, v129, v130
	v_addc_co_u32_e32 v135, vcc, v2, v131, vcc
	global_load_dword v163, v[134:135], off
	v_add_co_u32_e32 v134, vcc, v137, v130
	v_addc_co_u32_e32 v135, vcc, v0, v131, vcc
	global_load_dword v184, v[134:135], off
.LBB51_160:                             ;   in Loop: Header=BB51_149 Depth=1
	s_or_b64 exec, exec, s[0:1]
	v_add_co_u32_e32 v134, vcc, 3, v132
	v_addc_co_u32_e32 v135, vcc, 0, v133, vcc
	v_cmp_gt_i64_e32 vcc, s[12:13], v[134:135]
	v_mov_b32_e32 v161, 0
	v_mov_b32_e32 v173, 0
	v_mov_b32_e32 v183, 0
	s_and_saveexec_b64 s[0:1], vcc
	s_cbranch_execz .LBB51_162
; %bb.161:                              ;   in Loop: Header=BB51_149 Depth=1
	v_add_co_u32_e32 v134, vcc, v253, v130
	v_addc_co_u32_e32 v135, vcc, v254, v131, vcc
	global_load_dword v173, v[134:135], off
	v_add_co_u32_e32 v134, vcc, v255, v130
	v_addc_co_u32_e32 v135, vcc, v128, v131, vcc
	global_load_dword v183, v[134:135], off
.LBB51_162:                             ;   in Loop: Header=BB51_149 Depth=1
	s_or_b64 exec, exec, s[0:1]
	v_add_co_u32_e32 v134, vcc, 4, v132
	v_addc_co_u32_e32 v135, vcc, 0, v133, vcc
	;; [unrolled: 32-line block ×5, first 2 shown]
	v_cmp_gt_i64_e32 vcc, s[12:13], v[134:135]
	v_mov_b32_e32 v134, 0
	buffer_store_dword v134, off, s[40:43], 0 offset:288 ; 4-byte Folded Spill
	s_and_saveexec_b64 s[0:1], vcc
	s_cbranch_execz .LBB51_176
; %bb.175:                              ;   in Loop: Header=BB51_149 Depth=1
	v_add_co_u32_e32 v134, vcc, v225, v130
	v_addc_co_u32_e32 v135, vcc, v226, v131, vcc
	global_load_dword v155, v[134:135], off
	v_add_co_u32_e32 v134, vcc, v227, v130
	v_addc_co_u32_e32 v135, vcc, v228, v131, vcc
	global_load_dword v134, v[134:135], off
	s_waitcnt vmcnt(0)
	buffer_store_dword v134, off, s[40:43], 0 offset:288 ; 4-byte Folded Spill
.LBB51_176:                             ;   in Loop: Header=BB51_149 Depth=1
	s_or_b64 exec, exec, s[0:1]
	v_add_co_u32_e32 v134, vcc, 11, v132
	v_addc_co_u32_e32 v135, vcc, 0, v133, vcc
	v_cmp_gt_i64_e32 vcc, s[12:13], v[134:135]
	v_mov_b32_e32 v154, 0
	v_mov_b32_e32 v169, 0
	;; [unrolled: 1-line block ×3, first 2 shown]
	s_and_saveexec_b64 s[0:1], vcc
	s_cbranch_execz .LBB51_178
; %bb.177:                              ;   in Loop: Header=BB51_149 Depth=1
	v_add_co_u32_e32 v134, vcc, v221, v130
	v_addc_co_u32_e32 v135, vcc, v222, v131, vcc
	global_load_dword v169, v[134:135], off
	v_add_co_u32_e32 v134, vcc, v223, v130
	v_addc_co_u32_e32 v135, vcc, v224, v131, vcc
	global_load_dword v186, v[134:135], off
.LBB51_178:                             ;   in Loop: Header=BB51_149 Depth=1
	s_or_b64 exec, exec, s[0:1]
	v_add_co_u32_e32 v134, vcc, 12, v132
	v_addc_co_u32_e32 v135, vcc, 0, v133, vcc
	v_cmp_gt_i64_e32 vcc, s[12:13], v[134:135]
	v_mov_b32_e32 v134, 0
	buffer_store_dword v134, off, s[40:43], 0 offset:284 ; 4-byte Folded Spill
	s_and_saveexec_b64 s[0:1], vcc
	s_cbranch_execz .LBB51_180
; %bb.179:                              ;   in Loop: Header=BB51_149 Depth=1
	v_add_co_u32_e32 v134, vcc, v217, v130
	v_addc_co_u32_e32 v135, vcc, v218, v131, vcc
	global_load_dword v154, v[134:135], off
	v_add_co_u32_e32 v134, vcc, v219, v130
	v_addc_co_u32_e32 v135, vcc, v220, v131, vcc
	global_load_dword v134, v[134:135], off
	s_waitcnt vmcnt(0)
	buffer_store_dword v134, off, s[40:43], 0 offset:284 ; 4-byte Folded Spill
.LBB51_180:                             ;   in Loop: Header=BB51_149 Depth=1
	s_or_b64 exec, exec, s[0:1]
	v_add_co_u32_e32 v134, vcc, 13, v132
	v_addc_co_u32_e32 v135, vcc, 0, v133, vcc
	v_cmp_gt_i64_e32 vcc, s[12:13], v[134:135]
	v_mov_b32_e32 v153, 0
	v_mov_b32_e32 v168, 0
	;; [unrolled: 1-line block ×3, first 2 shown]
	s_and_saveexec_b64 s[0:1], vcc
	s_cbranch_execz .LBB51_182
; %bb.181:                              ;   in Loop: Header=BB51_149 Depth=1
	v_add_co_u32_e32 v134, vcc, v213, v130
	v_addc_co_u32_e32 v135, vcc, v214, v131, vcc
	global_load_dword v168, v[134:135], off
	v_add_co_u32_e32 v134, vcc, v215, v130
	v_addc_co_u32_e32 v135, vcc, v216, v131, vcc
	global_load_dword v210, v[134:135], off
.LBB51_182:                             ;   in Loop: Header=BB51_149 Depth=1
	s_or_b64 exec, exec, s[0:1]
	v_add_co_u32_e32 v134, vcc, 14, v132
	v_addc_co_u32_e32 v135, vcc, 0, v133, vcc
	v_cmp_gt_i64_e32 vcc, s[12:13], v[134:135]
	v_mov_b32_e32 v209, 0
	s_and_saveexec_b64 s[0:1], vcc
	s_cbranch_execz .LBB51_184
; %bb.183:                              ;   in Loop: Header=BB51_149 Depth=1
	buffer_load_dword v134, off, s[40:43], 0 offset:272 ; 4-byte Folded Reload
	buffer_load_dword v135, off, s[40:43], 0 offset:276 ; 4-byte Folded Reload
	s_waitcnt vmcnt(1)
	v_add_co_u32_e32 v134, vcc, v134, v130
	s_waitcnt vmcnt(0)
	v_addc_co_u32_e32 v135, vcc, v135, v131, vcc
	global_load_dword v153, v[134:135], off
	v_add_co_u32_e32 v134, vcc, v211, v130
	v_addc_co_u32_e32 v135, vcc, v212, v131, vcc
	global_load_dword v209, v[134:135], off
.LBB51_184:                             ;   in Loop: Header=BB51_149 Depth=1
	s_or_b64 exec, exec, s[0:1]
	v_add_co_u32_e32 v134, vcc, 15, v132
	v_addc_co_u32_e32 v135, vcc, 0, v133, vcc
	v_cmp_gt_i64_e32 vcc, s[12:13], v[134:135]
	v_mov_b32_e32 v152, 0
	v_mov_b32_e32 v167, 0
	v_mov_b32_e32 v208, 0
	s_and_saveexec_b64 s[0:1], vcc
	s_cbranch_execz .LBB51_186
; %bb.185:                              ;   in Loop: Header=BB51_149 Depth=1
	buffer_load_dword v134, off, s[40:43], 0 offset:256 ; 4-byte Folded Reload
	buffer_load_dword v135, off, s[40:43], 0 offset:260 ; 4-byte Folded Reload
	s_waitcnt vmcnt(1)
	v_add_co_u32_e32 v134, vcc, v134, v130
	s_waitcnt vmcnt(0)
	v_addc_co_u32_e32 v135, vcc, v135, v131, vcc
	global_load_dword v167, v[134:135], off
	s_nop 0
	buffer_load_dword v134, off, s[40:43], 0 offset:264 ; 4-byte Folded Reload
	buffer_load_dword v135, off, s[40:43], 0 offset:268 ; 4-byte Folded Reload
	s_waitcnt vmcnt(1)
	v_add_co_u32_e32 v134, vcc, v134, v130
	s_waitcnt vmcnt(0)
	v_addc_co_u32_e32 v135, vcc, v135, v131, vcc
	global_load_dword v208, v[134:135], off
.LBB51_186:                             ;   in Loop: Header=BB51_149 Depth=1
	s_or_b64 exec, exec, s[0:1]
	v_add_co_u32_e32 v134, vcc, 16, v132
	v_addc_co_u32_e32 v135, vcc, 0, v133, vcc
	v_cmp_gt_i64_e32 vcc, s[12:13], v[134:135]
	v_mov_b32_e32 v207, 0
	s_and_saveexec_b64 s[0:1], vcc
	s_cbranch_execz .LBB51_188
; %bb.187:                              ;   in Loop: Header=BB51_149 Depth=1
	buffer_load_dword v134, off, s[40:43], 0 offset:240 ; 4-byte Folded Reload
	buffer_load_dword v135, off, s[40:43], 0 offset:244 ; 4-byte Folded Reload
	s_waitcnt vmcnt(1)
	v_add_co_u32_e32 v134, vcc, v134, v130
	s_waitcnt vmcnt(0)
	v_addc_co_u32_e32 v135, vcc, v135, v131, vcc
	global_load_dword v152, v[134:135], off
	s_nop 0
	buffer_load_dword v134, off, s[40:43], 0 offset:248 ; 4-byte Folded Reload
	buffer_load_dword v135, off, s[40:43], 0 offset:252 ; 4-byte Folded Reload
	s_waitcnt vmcnt(1)
	v_add_co_u32_e32 v134, vcc, v134, v130
	s_waitcnt vmcnt(0)
	v_addc_co_u32_e32 v135, vcc, v135, v131, vcc
	global_load_dword v207, v[134:135], off
.LBB51_188:                             ;   in Loop: Header=BB51_149 Depth=1
	s_or_b64 exec, exec, s[0:1]
	v_add_co_u32_e32 v134, vcc, 17, v132
	v_addc_co_u32_e32 v135, vcc, 0, v133, vcc
	v_cmp_gt_i64_e32 vcc, s[12:13], v[134:135]
	v_mov_b32_e32 v151, 0
	v_mov_b32_e32 v166, 0
	v_mov_b32_e32 v206, 0
	s_and_saveexec_b64 s[0:1], vcc
	s_cbranch_execz .LBB51_190
; %bb.189:                              ;   in Loop: Header=BB51_149 Depth=1
	buffer_load_dword v134, off, s[40:43], 0 offset:224 ; 4-byte Folded Reload
	buffer_load_dword v135, off, s[40:43], 0 offset:228 ; 4-byte Folded Reload
	s_waitcnt vmcnt(1)
	v_add_co_u32_e32 v134, vcc, v134, v130
	s_waitcnt vmcnt(0)
	v_addc_co_u32_e32 v135, vcc, v135, v131, vcc
	global_load_dword v166, v[134:135], off
	s_nop 0
	buffer_load_dword v134, off, s[40:43], 0 offset:232 ; 4-byte Folded Reload
	buffer_load_dword v135, off, s[40:43], 0 offset:236 ; 4-byte Folded Reload
	s_waitcnt vmcnt(1)
	v_add_co_u32_e32 v134, vcc, v134, v130
	s_waitcnt vmcnt(0)
	v_addc_co_u32_e32 v135, vcc, v135, v131, vcc
	global_load_dword v206, v[134:135], off
.LBB51_190:                             ;   in Loop: Header=BB51_149 Depth=1
	s_or_b64 exec, exec, s[0:1]
	v_add_co_u32_e32 v134, vcc, 18, v132
	v_addc_co_u32_e32 v135, vcc, 0, v133, vcc
	v_cmp_gt_i64_e32 vcc, s[12:13], v[134:135]
	v_mov_b32_e32 v205, 0
	s_and_saveexec_b64 s[0:1], vcc
	s_cbranch_execz .LBB51_192
; %bb.191:                              ;   in Loop: Header=BB51_149 Depth=1
	buffer_load_dword v134, off, s[40:43], 0 offset:208 ; 4-byte Folded Reload
	buffer_load_dword v135, off, s[40:43], 0 offset:212 ; 4-byte Folded Reload
	s_waitcnt vmcnt(1)
	v_add_co_u32_e32 v134, vcc, v134, v130
	s_waitcnt vmcnt(0)
	v_addc_co_u32_e32 v135, vcc, v135, v131, vcc
	global_load_dword v151, v[134:135], off
	s_nop 0
	buffer_load_dword v134, off, s[40:43], 0 offset:216 ; 4-byte Folded Reload
	buffer_load_dword v135, off, s[40:43], 0 offset:220 ; 4-byte Folded Reload
	s_waitcnt vmcnt(1)
	v_add_co_u32_e32 v134, vcc, v134, v130
	s_waitcnt vmcnt(0)
	v_addc_co_u32_e32 v135, vcc, v135, v131, vcc
	global_load_dword v205, v[134:135], off
.LBB51_192:                             ;   in Loop: Header=BB51_149 Depth=1
	;; [unrolled: 50-line block ×6, first 2 shown]
	s_or_b64 exec, exec, s[0:1]
	v_add_co_u32_e32 v134, vcc, 27, v132
	v_addc_co_u32_e32 v135, vcc, 0, v133, vcc
	v_cmp_gt_i64_e32 vcc, s[12:13], v[134:135]
	v_mov_b32_e32 v134, 0
	v_mov_b32_e32 v158, 0
	;; [unrolled: 1-line block ×3, first 2 shown]
	s_and_saveexec_b64 s[0:1], vcc
	s_cbranch_execz .LBB51_210
; %bb.209:                              ;   in Loop: Header=BB51_149 Depth=1
	buffer_load_dword v135, off, s[40:43], 0 offset:64 ; 4-byte Folded Reload
	s_waitcnt vmcnt(0)
	v_add_co_u32_e32 v177, vcc, v135, v130
	buffer_load_dword v135, off, s[40:43], 0 offset:68 ; 4-byte Folded Reload
	s_waitcnt vmcnt(0)
	v_addc_co_u32_e32 v178, vcc, v135, v131, vcc
	buffer_load_dword v135, off, s[40:43], 0 offset:72 ; 4-byte Folded Reload
	global_load_dword v158, v[177:178], off
	s_waitcnt vmcnt(1)
	v_add_co_u32_e32 v177, vcc, v135, v130
	buffer_load_dword v135, off, s[40:43], 0 offset:76 ; 4-byte Folded Reload
	s_waitcnt vmcnt(0)
	v_addc_co_u32_e32 v178, vcc, v135, v131, vcc
	global_load_dword v196, v[177:178], off
.LBB51_210:                             ;   in Loop: Header=BB51_149 Depth=1
	s_or_b64 exec, exec, s[0:1]
	v_add_co_u32_e32 v177, vcc, 28, v132
	v_addc_co_u32_e32 v178, vcc, 0, v133, vcc
	v_cmp_gt_i64_e32 vcc, s[12:13], v[177:178]
	v_mov_b32_e32 v195, 0
	s_and_saveexec_b64 s[0:1], vcc
	s_cbranch_execz .LBB51_212
; %bb.211:                              ;   in Loop: Header=BB51_149 Depth=1
	buffer_load_dword v134, off, s[40:43], 0 offset:48 ; 4-byte Folded Reload
	buffer_load_dword v135, off, s[40:43], 0 offset:52 ; 4-byte Folded Reload
	s_waitcnt vmcnt(1)
	v_add_co_u32_e32 v134, vcc, v134, v130
	s_waitcnt vmcnt(0)
	v_addc_co_u32_e32 v135, vcc, v135, v131, vcc
	global_load_dword v134, v[134:135], off
	s_nop 0
	buffer_load_dword v135, off, s[40:43], 0 offset:56 ; 4-byte Folded Reload
	s_waitcnt vmcnt(0)
	v_add_co_u32_e32 v177, vcc, v135, v130
	buffer_load_dword v135, off, s[40:43], 0 offset:60 ; 4-byte Folded Reload
	s_waitcnt vmcnt(0)
	v_addc_co_u32_e32 v178, vcc, v135, v131, vcc
	global_load_dword v195, v[177:178], off
.LBB51_212:                             ;   in Loop: Header=BB51_149 Depth=1
	s_or_b64 exec, exec, s[0:1]
	v_add_co_u32_e32 v177, vcc, 29, v132
	v_addc_co_u32_e32 v178, vcc, 0, v133, vcc
	v_cmp_gt_i64_e32 vcc, s[12:13], v[177:178]
	v_mov_b32_e32 v135, 0
	v_mov_b32_e32 v156, 0
	;; [unrolled: 1-line block ×3, first 2 shown]
	s_and_saveexec_b64 s[0:1], vcc
	s_cbranch_execz .LBB51_214
; %bb.213:                              ;   in Loop: Header=BB51_149 Depth=1
	buffer_load_dword v156, off, s[40:43], 0 offset:32 ; 4-byte Folded Reload
	s_waitcnt vmcnt(0)
	v_add_co_u32_e32 v177, vcc, v156, v130
	buffer_load_dword v156, off, s[40:43], 0 offset:36 ; 4-byte Folded Reload
	s_waitcnt vmcnt(0)
	v_addc_co_u32_e32 v178, vcc, v156, v131, vcc
	global_load_dword v156, v[177:178], off
	s_nop 0
	buffer_load_dword v177, off, s[40:43], 0 offset:40 ; 4-byte Folded Reload
	buffer_load_dword v178, off, s[40:43], 0 offset:44 ; 4-byte Folded Reload
	s_waitcnt vmcnt(1)
	v_add_co_u32_e32 v177, vcc, v177, v130
	s_waitcnt vmcnt(0)
	v_addc_co_u32_e32 v178, vcc, v178, v131, vcc
	global_load_dword v194, v[177:178], off
.LBB51_214:                             ;   in Loop: Header=BB51_149 Depth=1
	s_or_b64 exec, exec, s[0:1]
	v_add_co_u32_e32 v177, vcc, 30, v132
	v_addc_co_u32_e32 v178, vcc, 0, v133, vcc
	v_cmp_gt_i64_e32 vcc, s[12:13], v[177:178]
	v_mov_b32_e32 v193, 0
	s_and_saveexec_b64 s[0:1], vcc
	s_cbranch_execz .LBB51_216
; %bb.215:                              ;   in Loop: Header=BB51_149 Depth=1
	buffer_load_dword v135, off, s[40:43], 0 offset:16 ; 4-byte Folded Reload
	s_waitcnt vmcnt(0)
	v_add_co_u32_e32 v177, vcc, v135, v130
	buffer_load_dword v135, off, s[40:43], 0 offset:20 ; 4-byte Folded Reload
	s_waitcnt vmcnt(0)
	v_addc_co_u32_e32 v178, vcc, v135, v131, vcc
	global_load_dword v135, v[177:178], off
	s_nop 0
	buffer_load_dword v177, off, s[40:43], 0 offset:24 ; 4-byte Folded Reload
	buffer_load_dword v178, off, s[40:43], 0 offset:28 ; 4-byte Folded Reload
	s_waitcnt vmcnt(1)
	v_add_co_u32_e32 v177, vcc, v177, v130
	s_waitcnt vmcnt(0)
	v_addc_co_u32_e32 v178, vcc, v178, v131, vcc
	global_load_dword v193, v[177:178], off
.LBB51_216:                             ;   in Loop: Header=BB51_149 Depth=1
	s_or_b64 exec, exec, s[0:1]
	v_add_co_u32_e32 v177, vcc, 31, v132
	v_addc_co_u32_e32 v178, vcc, 0, v133, vcc
	v_cmp_gt_i64_e32 vcc, s[12:13], v[177:178]
	v_mov_b32_e32 v191, 0
	v_mov_b32_e32 v192, 0
	s_and_saveexec_b64 s[0:1], vcc
	s_cbranch_execz .LBB51_218
; %bb.217:                              ;   in Loop: Header=BB51_149 Depth=1
	buffer_load_dword v177, off, s[40:43], 0 ; 4-byte Folded Reload
	buffer_load_dword v178, off, s[40:43], 0 offset:4 ; 4-byte Folded Reload
	s_waitcnt vmcnt(1)
	v_add_co_u32_e32 v177, vcc, v177, v130
	s_waitcnt vmcnt(0)
	v_addc_co_u32_e32 v178, vcc, v178, v131, vcc
	global_load_dword v191, v[177:178], off
	s_nop 0
	buffer_load_dword v177, off, s[40:43], 0 offset:8 ; 4-byte Folded Reload
	buffer_load_dword v178, off, s[40:43], 0 offset:12 ; 4-byte Folded Reload
	s_waitcnt vmcnt(1)
	v_add_co_u32_e32 v177, vcc, v177, v130
	s_waitcnt vmcnt(0)
	v_addc_co_u32_e32 v178, vcc, v178, v131, vcc
	global_load_dword v192, v[177:178], off
.LBB51_218:                             ;   in Loop: Header=BB51_149 Depth=1
	s_or_b64 exec, exec, s[0:1]
	s_waitcnt vmcnt(3)
	ds_bpermute_b32 v178, v136, v145
	s_waitcnt vmcnt(2)
	ds_bpermute_b32 v177, v136, v144
	s_mov_b64 s[0:1], 0
	s_waitcnt lgkmcnt(1)
	v_sub_f32_e32 v142, v142, v178
	ds_bpermute_b32 v178, v136, v145 offset:4
	v_mul_f32_e32 v142, v147, v142
	s_waitcnt lgkmcnt(1)
	v_fma_f32 v142, v142, v177, v143
	ds_bpermute_b32 v177, v136, v144 offset:4
	v_add_f32_e32 v147, v3, v147
	s_waitcnt lgkmcnt(1)
	v_sub_f32_e32 v178, v185, v178
	v_mul_f32_e32 v178, v180, v178
	v_add_f32_e32 v147, v147, v180
	s_waitcnt lgkmcnt(0)
	v_fmac_f32_e32 v142, v178, v177
	ds_bpermute_b32 v178, v136, v145 offset:8
	ds_bpermute_b32 v177, v136, v144 offset:8
	v_add_f32_e32 v147, v147, v163
	v_add_f32_e32 v147, v147, v173
	;; [unrolled: 1-line block ×3, first 2 shown]
	s_waitcnt lgkmcnt(1)
	v_sub_f32_e32 v178, v184, v178
	v_mul_f32_e32 v178, v163, v178
	s_waitcnt lgkmcnt(0)
	v_fmac_f32_e32 v142, v178, v177
	ds_bpermute_b32 v177, v136, v145 offset:12
	ds_bpermute_b32 v163, v136, v144 offset:12
	v_add_f32_e32 v147, v147, v176
	v_add_f32_e32 v147, v147, v159
	;; [unrolled: 1-line block ×3, first 2 shown]
	s_waitcnt lgkmcnt(1)
	v_sub_f32_e32 v177, v183, v177
	v_mul_f32_e32 v177, v173, v177
	ds_bpermute_b32 v173, v136, v145 offset:16
	s_waitcnt lgkmcnt(1)
	v_fmac_f32_e32 v142, v177, v163
	ds_bpermute_b32 v163, v136, v144 offset:16
	v_add_f32_e32 v147, v147, v157
	v_add_f32_e32 v147, v147, v172
	s_waitcnt lgkmcnt(1)
	v_sub_f32_e32 v173, v175, v173
	v_mul_f32_e32 v173, v161, v173
	s_waitcnt lgkmcnt(0)
	v_fmac_f32_e32 v142, v173, v163
	ds_bpermute_b32 v163, v136, v145 offset:20
	ds_bpermute_b32 v161, v136, v144 offset:20
	v_add_f32_e32 v147, v147, v155
	v_add_f32_e32 v147, v147, v169
	;; [unrolled: 1-line block ×3, first 2 shown]
	s_waitcnt lgkmcnt(1)
	v_sub_f32_e32 v163, v171, v163
	v_mul_f32_e32 v163, v176, v163
	s_waitcnt lgkmcnt(0)
	v_fmac_f32_e32 v142, v163, v161
	ds_bpermute_b32 v163, v136, v145 offset:24
	ds_bpermute_b32 v161, v136, v144 offset:24
	s_waitcnt vmcnt(1)
	v_add_f32_e32 v147, v147, v168
	v_add_f32_e32 v147, v147, v153
	;; [unrolled: 1-line block ×3, first 2 shown]
	s_waitcnt lgkmcnt(1)
	v_sub_f32_e32 v163, v182, v163
	v_mul_f32_e32 v163, v159, v163
	s_waitcnt lgkmcnt(0)
	v_fmac_f32_e32 v142, v163, v161
	ds_bpermute_b32 v161, v136, v145 offset:28
	ds_bpermute_b32 v159, v136, v144 offset:28
	v_add_f32_e32 v147, v147, v152
	v_add_f32_e32 v147, v147, v166
	v_add_f32_e32 v147, v147, v151
	s_waitcnt lgkmcnt(1)
	v_sub_f32_e32 v161, v181, v161
	v_mul_f32_e32 v161, v170, v161
	s_waitcnt lgkmcnt(0)
	v_fmac_f32_e32 v142, v161, v159
	ds_bpermute_b32 v161, v136, v145 offset:32
	ds_bpermute_b32 v159, v136, v144 offset:32
	v_add_f32_e32 v147, v147, v165
	v_add_f32_e32 v147, v147, v150
	;; [unrolled: 1-line block ×3, first 2 shown]
	s_waitcnt lgkmcnt(1)
	v_sub_f32_e32 v161, v179, v161
	v_mul_f32_e32 v161, v157, v161
	s_waitcnt lgkmcnt(0)
	v_fmac_f32_e32 v142, v161, v159
	buffer_load_dword v161, off, s[40:43], 0 offset:288 ; 4-byte Folded Reload
	ds_bpermute_b32 v159, v136, v145 offset:36
	ds_bpermute_b32 v157, v136, v144 offset:36
	v_add_f32_e32 v147, v147, v149
	v_add_f32_e32 v147, v147, v162
	v_add_f32_e32 v147, v147, v148
	s_waitcnt lgkmcnt(1)
	v_sub_f32_e32 v159, v174, v159
	v_mul_f32_e32 v159, v172, v159
	s_waitcnt lgkmcnt(0)
	v_fmac_f32_e32 v142, v159, v157
	ds_bpermute_b32 v159, v136, v145 offset:40
	ds_bpermute_b32 v157, v136, v144 offset:40
	v_add_f32_e32 v147, v147, v160
	s_waitcnt vmcnt(0) lgkmcnt(1)
	v_sub_f32_e32 v159, v161, v159
	v_mul_f32_e32 v159, v155, v159
	s_waitcnt lgkmcnt(0)
	v_fmac_f32_e32 v142, v159, v157
	buffer_load_dword v159, off, s[40:43], 0 offset:284 ; 4-byte Folded Reload
	ds_bpermute_b32 v157, v136, v145 offset:44
	ds_bpermute_b32 v155, v136, v144 offset:44
	s_waitcnt lgkmcnt(1)
	v_sub_f32_e32 v157, v186, v157
	v_mul_f32_e32 v157, v169, v157
	s_waitcnt lgkmcnt(0)
	v_fmac_f32_e32 v142, v157, v155
	ds_bpermute_b32 v157, v136, v145 offset:48
	ds_bpermute_b32 v155, v136, v144 offset:48
	s_waitcnt vmcnt(0) lgkmcnt(1)
	v_sub_f32_e32 v157, v159, v157
	v_mul_f32_e32 v157, v154, v157
	s_waitcnt lgkmcnt(0)
	v_fmac_f32_e32 v142, v157, v155
	ds_bpermute_b32 v155, v136, v145 offset:52
	ds_bpermute_b32 v154, v136, v144 offset:52
	s_waitcnt lgkmcnt(1)
	v_sub_f32_e32 v155, v210, v155
	v_mul_f32_e32 v155, v168, v155
	s_waitcnt lgkmcnt(0)
	v_fmac_f32_e32 v142, v155, v154
	ds_bpermute_b32 v155, v136, v145 offset:56
	ds_bpermute_b32 v154, v136, v144 offset:56
	s_waitcnt lgkmcnt(1)
	;; [unrolled: 7-line block ×14, first 2 shown]
	v_sub_f32_e32 v149, v197, v149
	v_mul_f32_e32 v149, v146, v149
	s_waitcnt lgkmcnt(0)
	v_fmac_f32_e32 v142, v149, v148
	ds_bpermute_b32 v148, v136, v145 offset:108
	v_add_f32_e32 v146, v147, v146
	ds_bpermute_b32 v147, v136, v144 offset:108
	v_add_f32_e32 v146, v146, v158
	s_waitcnt lgkmcnt(1)
	v_sub_f32_e32 v148, v196, v148
	v_mul_f32_e32 v148, v158, v148
	s_waitcnt lgkmcnt(0)
	v_fmac_f32_e32 v142, v148, v147
	ds_bpermute_b32 v148, v136, v145 offset:112
	ds_bpermute_b32 v147, v136, v144 offset:112
	s_waitcnt lgkmcnt(1)
	v_sub_f32_e32 v148, v195, v148
	v_mul_f32_e32 v148, v134, v148
	s_waitcnt lgkmcnt(0)
	v_fmac_f32_e32 v142, v148, v147
	ds_bpermute_b32 v147, v136, v145 offset:116
	v_add_f32_e32 v134, v146, v134
	ds_bpermute_b32 v146, v136, v144 offset:116
	v_add_f32_e32 v134, v134, v156
	v_add_f32_e32 v134, v134, v135
	s_waitcnt lgkmcnt(1)
	v_sub_f32_e32 v147, v194, v147
	v_mul_f32_e32 v147, v156, v147
	s_waitcnt lgkmcnt(0)
	v_fmac_f32_e32 v142, v147, v146
	ds_bpermute_b32 v147, v136, v145 offset:120
	ds_bpermute_b32 v146, v136, v144 offset:120
	s_waitcnt lgkmcnt(1)
	v_sub_f32_e32 v147, v193, v147
	v_mul_f32_e32 v147, v135, v147
	ds_bpermute_b32 v135, v136, v144 offset:124
	ds_bpermute_b32 v144, v136, v145 offset:124
	s_waitcnt lgkmcnt(2)
	v_fmac_f32_e32 v142, v147, v146
.LBB51_219:                             ;   in Loop: Header=BB51_149 Depth=1
	s_and_b64 vcc, exec, s[0:1]
	s_cbranch_vccz .LBB51_225
; %bb.220:                              ;   in Loop: Header=BB51_149 Depth=1
	s_load_dword s0, s[2:3], 0x0
	buffer_load_dword v134, off, s[40:43], 0 offset:304 ; 4-byte Folded Reload
	s_waitcnt lgkmcnt(0)
	buffer_load_dword v135, off, s[40:43], 0 offset:308 ; 4-byte Folded Reload
	v_mov_b32_e32 v142, 0
	s_cmp_lt_u32 s6, s0
	s_cselect_b32 s0, 12, 18
	s_add_u32 s0, s2, s0
	s_addc_u32 s1, s3, 0
	s_waitcnt vmcnt(0)
	global_load_ushort v134, v135, s[0:1]
	buffer_load_dword v144, off, s[40:43], 0 offset:292 ; 4-byte Folded Reload
	buffer_load_dword v145, off, s[40:43], 0 offset:296 ; 4-byte Folded Reload
	s_nop 0
	buffer_load_dword v135, off, s[40:43], 0 offset:300 ; 4-byte Folded Reload
	s_waitcnt vmcnt(0)
	v_mad_u32_u24 v134, v144, v134, v135
	v_and_b32_e32 v134, 63, v134
	v_cmp_gt_u32_e32 vcc, 32, v134
	v_mov_b32_e32 v144, 0
	s_and_saveexec_b64 s[0:1], vcc
	s_cbranch_execz .LBB51_224
; %bb.221:                              ;   in Loop: Header=BB51_149 Depth=1
	v_add_co_u32_e32 v132, vcc, v132, v134
	v_addc_co_u32_e32 v133, vcc, 0, v133, vcc
	v_cmp_gt_i64_e32 vcc, s[12:13], v[132:133]
	v_mov_b32_e32 v144, 0
	v_mov_b32_e32 v142, 0
	s_and_saveexec_b64 s[26:27], vcc
	s_cbranch_execz .LBB51_223
; %bb.222:                              ;   in Loop: Header=BB51_149 Depth=1
	v_lshlrev_b64 v[132:133], 2, v[132:133]
	v_mov_b32_e32 v135, s23
	v_add_co_u32_e32 v134, vcc, s22, v132
	v_addc_co_u32_e32 v135, vcc, v135, v133, vcc
	v_mov_b32_e32 v142, s21
	v_add_co_u32_e32 v132, vcc, s20, v132
	v_addc_co_u32_e32 v133, vcc, v142, v133, vcc
	global_load_dword v144, v[132:133], off
	global_load_dword v142, v[134:135], off
.LBB51_223:                             ;   in Loop: Header=BB51_149 Depth=1
	s_or_b64 exec, exec, s[26:27]
.LBB51_224:                             ;   in Loop: Header=BB51_149 Depth=1
	s_or_b64 exec, exec, s[0:1]
	v_add_co_u32_e32 v132, vcc, v187, v130
	v_addc_co_u32_e32 v133, vcc, v188, v131, vcc
	v_mov_b32_e32 v205, v187
	global_load_dword v187, v[132:133], off
	v_add_co_u32_e32 v132, vcc, v189, v130
	v_addc_co_u32_e32 v133, vcc, v190, v131, vcc
	global_load_dword v206, v[132:133], off
	v_add_co_u32_e32 v132, vcc, v4, v130
	v_addc_co_u32_e32 v133, vcc, v5, v131, vcc
	v_mov_b32_e32 v207, v189
	global_load_dword v189, v[132:133], off
	v_add_co_u32_e32 v132, vcc, v6, v130
	v_addc_co_u32_e32 v133, vcc, v7, v131, vcc
	global_load_dword v208, v[132:133], off
	v_add_co_u32_e32 v132, vcc, v8, v130
	v_addc_co_u32_e32 v133, vcc, v9, v131, vcc
	;; [unrolled: 3-line block ×58, first 2 shown]
	v_add_co_u32_e32 v185, vcc, v122, v130
	v_addc_co_u32_e32 v186, vcc, v123, v131, vcc
	global_load_dword v132, v[132:133], off
	s_waitcnt vmcnt(60)
	v_add_f32_e32 v3, v3, v187
	global_load_dword v133, v[185:186], off
	v_add_co_u32_e32 v185, vcc, v124, v130
	v_addc_co_u32_e32 v186, vcc, v125, v131, vcc
	global_load_dword v191, v[185:186], off
	v_add_co_u32_e32 v185, vcc, v126, v130
	v_addc_co_u32_e32 v186, vcc, v127, v131, vcc
	global_load_dword v192, v[185:186], off
	ds_bpermute_b32 v186, v136, v144
	ds_bpermute_b32 v185, v136, v142
	s_waitcnt vmcnt(61)
	v_add_f32_e32 v3, v3, v189
	s_waitcnt vmcnt(59)
	v_add_f32_e32 v3, v3, v209
	s_waitcnt vmcnt(57)
	v_add_f32_e32 v3, v3, v193
	s_waitcnt lgkmcnt(1)
	v_sub_f32_e32 v186, v206, v186
	v_mul_f32_e32 v186, v187, v186
	s_waitcnt lgkmcnt(0)
	v_fmac_f32_e32 v143, v186, v185
	ds_bpermute_b32 v186, v136, v144 offset:4
	ds_bpermute_b32 v185, v136, v142 offset:4
	s_waitcnt vmcnt(55)
	v_add_f32_e32 v3, v3, v195
	s_waitcnt vmcnt(53)
	v_add_f32_e32 v3, v3, v197
	s_waitcnt vmcnt(51)
	v_add_f32_e32 v3, v3, v199
	s_waitcnt lgkmcnt(1)
	v_sub_f32_e32 v186, v208, v186
	v_mul_f32_e32 v186, v189, v186
	s_waitcnt lgkmcnt(0)
	v_fmac_f32_e32 v143, v186, v185
	ds_bpermute_b32 v186, v136, v144 offset:8
	ds_bpermute_b32 v185, v136, v142 offset:8
	s_waitcnt vmcnt(49)
	v_add_f32_e32 v3, v3, v201
	s_waitcnt vmcnt(47)
	v_add_f32_e32 v3, v3, v203
	s_waitcnt vmcnt(45)
	v_add_f32_e32 v3, v3, v183
	s_waitcnt lgkmcnt(1)
	v_sub_f32_e32 v186, v210, v186
	v_mul_f32_e32 v186, v209, v186
	s_waitcnt lgkmcnt(0)
	v_fmac_f32_e32 v143, v186, v185
	ds_bpermute_b32 v186, v136, v144 offset:12
	ds_bpermute_b32 v185, v136, v142 offset:12
	s_waitcnt vmcnt(43)
	v_add_f32_e32 v3, v3, v181
	s_waitcnt vmcnt(41)
	v_add_f32_e32 v3, v3, v179
	s_waitcnt vmcnt(39)
	v_add_f32_e32 v3, v3, v177
	s_waitcnt lgkmcnt(1)
	v_sub_f32_e32 v186, v194, v186
	v_mul_f32_e32 v186, v193, v186
	s_waitcnt lgkmcnt(0)
	v_fmac_f32_e32 v143, v186, v185
	ds_bpermute_b32 v186, v136, v144 offset:16
	ds_bpermute_b32 v185, v136, v142 offset:16
	s_waitcnt vmcnt(37)
	v_add_f32_e32 v3, v3, v175
	s_waitcnt vmcnt(35)
	v_add_f32_e32 v3, v3, v173
	s_waitcnt vmcnt(33)
	v_add_f32_e32 v3, v3, v171
	s_waitcnt lgkmcnt(1)
	v_sub_f32_e32 v186, v196, v186
	v_mul_f32_e32 v186, v195, v186
	s_waitcnt lgkmcnt(0)
	v_fmac_f32_e32 v143, v186, v185
	ds_bpermute_b32 v186, v136, v144 offset:20
	ds_bpermute_b32 v185, v136, v142 offset:20
	s_waitcnt vmcnt(31)
	v_add_f32_e32 v3, v3, v169
	s_waitcnt vmcnt(29)
	v_add_f32_e32 v3, v3, v167
	s_waitcnt vmcnt(27)
	v_add_f32_e32 v3, v3, v165
	s_waitcnt lgkmcnt(1)
	v_sub_f32_e32 v186, v198, v186
	v_mul_f32_e32 v186, v197, v186
	s_waitcnt lgkmcnt(0)
	v_fmac_f32_e32 v143, v186, v185
	ds_bpermute_b32 v186, v136, v144 offset:24
	ds_bpermute_b32 v185, v136, v142 offset:24
	s_waitcnt vmcnt(25)
	v_add_f32_e32 v3, v3, v163
	s_waitcnt vmcnt(23)
	v_add_f32_e32 v3, v3, v161
	s_waitcnt vmcnt(21)
	v_add_f32_e32 v3, v3, v159
	s_waitcnt lgkmcnt(1)
	v_sub_f32_e32 v186, v200, v186
	v_mul_f32_e32 v186, v199, v186
	s_waitcnt lgkmcnt(0)
	v_fmac_f32_e32 v143, v186, v185
	ds_bpermute_b32 v186, v136, v144 offset:28
	ds_bpermute_b32 v185, v136, v142 offset:28
	s_waitcnt vmcnt(19)
	v_add_f32_e32 v3, v3, v157
	s_waitcnt vmcnt(17)
	v_add_f32_e32 v3, v3, v155
	s_waitcnt vmcnt(15)
	v_add_f32_e32 v3, v3, v153
	s_waitcnt lgkmcnt(1)
	v_sub_f32_e32 v186, v202, v186
	v_mul_f32_e32 v186, v201, v186
	s_waitcnt lgkmcnt(0)
	v_fmac_f32_e32 v143, v186, v185
	ds_bpermute_b32 v186, v136, v144 offset:32
	ds_bpermute_b32 v185, v136, v142 offset:32
	s_waitcnt vmcnt(13)
	v_add_f32_e32 v3, v3, v151
	s_waitcnt vmcnt(11)
	v_add_f32_e32 v3, v3, v149
	s_waitcnt vmcnt(9)
	v_add_f32_e32 v3, v3, v147
	s_waitcnt lgkmcnt(1)
	v_sub_f32_e32 v186, v204, v186
	v_mul_f32_e32 v186, v203, v186
	s_waitcnt lgkmcnt(0)
	v_fmac_f32_e32 v143, v186, v185
	ds_bpermute_b32 v186, v136, v144 offset:36
	ds_bpermute_b32 v185, v136, v142 offset:36
	s_waitcnt vmcnt(7)
	v_add_f32_e32 v3, v3, v145
	s_waitcnt vmcnt(5)
	v_add_f32_e32 v3, v3, v134
	v_mov_b32_e32 v187, v205
	s_waitcnt lgkmcnt(1)
	v_sub_f32_e32 v184, v184, v186
	v_mul_f32_e32 v184, v183, v184
	s_waitcnt lgkmcnt(0)
	v_fmac_f32_e32 v143, v184, v185
	ds_bpermute_b32 v184, v136, v144 offset:40
	ds_bpermute_b32 v183, v136, v142 offset:40
	v_mov_b32_e32 v189, v207
	s_waitcnt lgkmcnt(1)
	v_sub_f32_e32 v182, v182, v184
	v_mul_f32_e32 v182, v181, v182
	s_waitcnt lgkmcnt(0)
	v_fmac_f32_e32 v143, v182, v183
	ds_bpermute_b32 v182, v136, v144 offset:44
	ds_bpermute_b32 v181, v136, v142 offset:44
	s_waitcnt lgkmcnt(1)
	v_sub_f32_e32 v180, v180, v182
	v_mul_f32_e32 v180, v179, v180
	s_waitcnt lgkmcnt(0)
	v_fmac_f32_e32 v143, v180, v181
	ds_bpermute_b32 v180, v136, v144 offset:48
	ds_bpermute_b32 v179, v136, v142 offset:48
	;; [unrolled: 7-line block ×19, first 2 shown]
	s_waitcnt vmcnt(4) lgkmcnt(1)
	v_sub_f32_e32 v135, v135, v146
	v_mul_f32_e32 v135, v134, v135
	s_waitcnt lgkmcnt(0)
	v_fmac_f32_e32 v143, v135, v145
	ds_bpermute_b32 v135, v136, v144 offset:120
	ds_bpermute_b32 v134, v136, v142 offset:120
	;; [unrolled: 1-line block ×3, first 2 shown]
	s_waitcnt vmcnt(2) lgkmcnt(2)
	v_sub_f32_e32 v133, v133, v135
	ds_bpermute_b32 v135, v136, v142 offset:124
	v_mul_f32_e32 v133, v132, v133
	s_waitcnt lgkmcnt(2)
	v_fmac_f32_e32 v143, v133, v134
	v_add_f32_e32 v134, v3, v132
	v_mov_b32_e32 v142, v143
.LBB51_225:                             ;   in Loop: Header=BB51_149 Depth=1
	s_waitcnt vmcnt(0) lgkmcnt(0)
	v_sub_f32_e32 v3, v192, v144
	v_mul_f32_e32 v3, v191, v3
	v_fmac_f32_e32 v142, v3, v135
	v_mov_b32_e32 v3, s11
	v_add_co_u32_e64 v187, s[0:1], s10, v187
	v_addc_co_u32_e64 v188, s[0:1], v188, v3, s[0:1]
	v_add_co_u32_e64 v189, s[0:1], s10, v189
	v_addc_co_u32_e64 v190, s[0:1], v190, v3, s[0:1]
	;; [unrolled: 2-line block ×23, first 2 shown]
	s_add_u32 s18, s18, s7
	v_mov_b32_e32 v133, s13
	v_add_co_u32_e64 v88, s[0:1], s10, v88
	s_addc_u32 s19, s19, 0
	v_mov_b32_e32 v132, s12
	v_addc_co_u32_e64 v89, s[0:1], v89, v3, s[0:1]
	v_cmp_ge_i64_e32 vcc, s[18:19], v[132:133]
	v_add_co_u32_e64 v92, s[0:1], s10, v92
	buffer_load_dword v132, off, s[40:43], 0 ; 4-byte Folded Reload
	buffer_load_dword v144, off, s[40:43], 0 offset:280 ; 4-byte Folded Reload
	v_addc_co_u32_e64 v93, s[0:1], v93, v3, s[0:1]
	v_add_co_u32_e64 v96, s[0:1], s10, v96
	v_addc_co_u32_e64 v97, s[0:1], v97, v3, s[0:1]
	v_add_co_u32_e64 v100, s[0:1], s10, v100
	;; [unrolled: 2-line block ×39, first 2 shown]
	v_addc_co_u32_e64 v127, s[0:1], v127, v3, s[0:1]
	s_waitcnt vmcnt(1)
	v_add_co_u32_e64 v132, s[0:1], s10, v132
	buffer_store_dword v132, off, s[40:43], 0 ; 4-byte Folded Spill
	buffer_load_dword v132, off, s[40:43], 0 offset:4 ; 4-byte Folded Reload
	s_add_u32 s16, s16, s7
	s_addc_u32 s17, 0, s17
	s_and_b64 vcc, exec, vcc
	s_waitcnt vmcnt(0)
	v_addc_co_u32_e64 v132, s[0:1], v132, v3, s[0:1]
	buffer_store_dword v132, off, s[40:43], 0 offset:4 ; 4-byte Folded Spill
	buffer_load_dword v132, off, s[40:43], 0 offset:8 ; 4-byte Folded Reload
	s_waitcnt vmcnt(0)
	v_add_co_u32_e64 v132, s[0:1], s10, v132
	buffer_store_dword v132, off, s[40:43], 0 offset:8 ; 4-byte Folded Spill
	buffer_load_dword v132, off, s[40:43], 0 offset:12 ; 4-byte Folded Reload
	s_waitcnt vmcnt(0)
	v_addc_co_u32_e64 v132, s[0:1], v132, v3, s[0:1]
	buffer_store_dword v132, off, s[40:43], 0 offset:12 ; 4-byte Folded Spill
	buffer_load_dword v132, off, s[40:43], 0 offset:16 ; 4-byte Folded Reload
	s_waitcnt vmcnt(0)
	v_add_co_u32_e64 v132, s[0:1], s10, v132
	buffer_store_dword v132, off, s[40:43], 0 offset:16 ; 4-byte Folded Spill
	buffer_load_dword v132, off, s[40:43], 0 offset:20 ; 4-byte Folded Reload
	s_waitcnt vmcnt(0)
	v_addc_co_u32_e64 v132, s[0:1], v132, v3, s[0:1]
	buffer_store_dword v132, off, s[40:43], 0 offset:20 ; 4-byte Folded Spill
	buffer_load_dword v132, off, s[40:43], 0 offset:24 ; 4-byte Folded Reload
	s_waitcnt vmcnt(0)
	v_add_co_u32_e64 v132, s[0:1], s10, v132
	buffer_store_dword v132, off, s[40:43], 0 offset:24 ; 4-byte Folded Spill
	buffer_load_dword v132, off, s[40:43], 0 offset:28 ; 4-byte Folded Reload
	s_waitcnt vmcnt(0)
	v_addc_co_u32_e64 v132, s[0:1], v132, v3, s[0:1]
	buffer_store_dword v132, off, s[40:43], 0 offset:28 ; 4-byte Folded Spill
	buffer_load_dword v132, off, s[40:43], 0 offset:32 ; 4-byte Folded Reload
	s_waitcnt vmcnt(0)
	v_add_co_u32_e64 v132, s[0:1], s10, v132
	buffer_store_dword v132, off, s[40:43], 0 offset:32 ; 4-byte Folded Spill
	buffer_load_dword v132, off, s[40:43], 0 offset:36 ; 4-byte Folded Reload
	s_waitcnt vmcnt(0)
	v_addc_co_u32_e64 v132, s[0:1], v132, v3, s[0:1]
	buffer_store_dword v132, off, s[40:43], 0 offset:36 ; 4-byte Folded Spill
	buffer_load_dword v132, off, s[40:43], 0 offset:40 ; 4-byte Folded Reload
	s_waitcnt vmcnt(0)
	v_add_co_u32_e64 v132, s[0:1], s10, v132
	buffer_store_dword v132, off, s[40:43], 0 offset:40 ; 4-byte Folded Spill
	buffer_load_dword v132, off, s[40:43], 0 offset:44 ; 4-byte Folded Reload
	s_waitcnt vmcnt(0)
	v_addc_co_u32_e64 v132, s[0:1], v132, v3, s[0:1]
	buffer_store_dword v132, off, s[40:43], 0 offset:44 ; 4-byte Folded Spill
	buffer_load_dword v132, off, s[40:43], 0 offset:48 ; 4-byte Folded Reload
	s_waitcnt vmcnt(0)
	v_add_co_u32_e64 v132, s[0:1], s10, v132
	buffer_store_dword v132, off, s[40:43], 0 offset:48 ; 4-byte Folded Spill
	buffer_load_dword v132, off, s[40:43], 0 offset:52 ; 4-byte Folded Reload
	s_waitcnt vmcnt(0)
	v_addc_co_u32_e64 v132, s[0:1], v132, v3, s[0:1]
	buffer_store_dword v132, off, s[40:43], 0 offset:52 ; 4-byte Folded Spill
	buffer_load_dword v132, off, s[40:43], 0 offset:56 ; 4-byte Folded Reload
	s_waitcnt vmcnt(0)
	v_add_co_u32_e64 v132, s[0:1], s10, v132
	buffer_store_dword v132, off, s[40:43], 0 offset:56 ; 4-byte Folded Spill
	buffer_load_dword v132, off, s[40:43], 0 offset:60 ; 4-byte Folded Reload
	s_waitcnt vmcnt(0)
	v_addc_co_u32_e64 v132, s[0:1], v132, v3, s[0:1]
	buffer_store_dword v132, off, s[40:43], 0 offset:60 ; 4-byte Folded Spill
	buffer_load_dword v132, off, s[40:43], 0 offset:64 ; 4-byte Folded Reload
	s_waitcnt vmcnt(0)
	v_add_co_u32_e64 v132, s[0:1], s10, v132
	buffer_store_dword v132, off, s[40:43], 0 offset:64 ; 4-byte Folded Spill
	buffer_load_dword v132, off, s[40:43], 0 offset:68 ; 4-byte Folded Reload
	s_waitcnt vmcnt(0)
	v_addc_co_u32_e64 v132, s[0:1], v132, v3, s[0:1]
	buffer_store_dword v132, off, s[40:43], 0 offset:68 ; 4-byte Folded Spill
	buffer_load_dword v132, off, s[40:43], 0 offset:72 ; 4-byte Folded Reload
	s_waitcnt vmcnt(0)
	v_add_co_u32_e64 v132, s[0:1], s10, v132
	buffer_store_dword v132, off, s[40:43], 0 offset:72 ; 4-byte Folded Spill
	buffer_load_dword v132, off, s[40:43], 0 offset:76 ; 4-byte Folded Reload
	s_waitcnt vmcnt(0)
	v_addc_co_u32_e64 v132, s[0:1], v132, v3, s[0:1]
	buffer_store_dword v132, off, s[40:43], 0 offset:76 ; 4-byte Folded Spill
	buffer_load_dword v132, off, s[40:43], 0 offset:80 ; 4-byte Folded Reload
	s_waitcnt vmcnt(0)
	v_add_co_u32_e64 v132, s[0:1], s10, v132
	buffer_store_dword v132, off, s[40:43], 0 offset:80 ; 4-byte Folded Spill
	buffer_load_dword v132, off, s[40:43], 0 offset:84 ; 4-byte Folded Reload
	s_waitcnt vmcnt(0)
	v_addc_co_u32_e64 v132, s[0:1], v132, v3, s[0:1]
	buffer_store_dword v132, off, s[40:43], 0 offset:84 ; 4-byte Folded Spill
	buffer_load_dword v132, off, s[40:43], 0 offset:88 ; 4-byte Folded Reload
	s_waitcnt vmcnt(0)
	v_add_co_u32_e64 v132, s[0:1], s10, v132
	buffer_store_dword v132, off, s[40:43], 0 offset:88 ; 4-byte Folded Spill
	buffer_load_dword v132, off, s[40:43], 0 offset:92 ; 4-byte Folded Reload
	s_waitcnt vmcnt(0)
	v_addc_co_u32_e64 v132, s[0:1], v132, v3, s[0:1]
	buffer_store_dword v132, off, s[40:43], 0 offset:92 ; 4-byte Folded Spill
	buffer_load_dword v132, off, s[40:43], 0 offset:96 ; 4-byte Folded Reload
	s_waitcnt vmcnt(0)
	v_add_co_u32_e64 v132, s[0:1], s10, v132
	buffer_store_dword v132, off, s[40:43], 0 offset:96 ; 4-byte Folded Spill
	buffer_load_dword v132, off, s[40:43], 0 offset:100 ; 4-byte Folded Reload
	s_waitcnt vmcnt(0)
	v_addc_co_u32_e64 v132, s[0:1], v132, v3, s[0:1]
	buffer_store_dword v132, off, s[40:43], 0 offset:100 ; 4-byte Folded Spill
	buffer_load_dword v132, off, s[40:43], 0 offset:104 ; 4-byte Folded Reload
	s_waitcnt vmcnt(0)
	v_add_co_u32_e64 v132, s[0:1], s10, v132
	buffer_store_dword v132, off, s[40:43], 0 offset:104 ; 4-byte Folded Spill
	buffer_load_dword v132, off, s[40:43], 0 offset:108 ; 4-byte Folded Reload
	s_waitcnt vmcnt(0)
	v_addc_co_u32_e64 v132, s[0:1], v132, v3, s[0:1]
	buffer_store_dword v132, off, s[40:43], 0 offset:108 ; 4-byte Folded Spill
	buffer_load_dword v132, off, s[40:43], 0 offset:112 ; 4-byte Folded Reload
	s_waitcnt vmcnt(0)
	v_add_co_u32_e64 v132, s[0:1], s10, v132
	buffer_store_dword v132, off, s[40:43], 0 offset:112 ; 4-byte Folded Spill
	buffer_load_dword v132, off, s[40:43], 0 offset:116 ; 4-byte Folded Reload
	s_waitcnt vmcnt(0)
	v_addc_co_u32_e64 v132, s[0:1], v132, v3, s[0:1]
	buffer_store_dword v132, off, s[40:43], 0 offset:116 ; 4-byte Folded Spill
	buffer_load_dword v132, off, s[40:43], 0 offset:120 ; 4-byte Folded Reload
	s_waitcnt vmcnt(0)
	v_add_co_u32_e64 v132, s[0:1], s10, v132
	buffer_store_dword v132, off, s[40:43], 0 offset:120 ; 4-byte Folded Spill
	buffer_load_dword v132, off, s[40:43], 0 offset:124 ; 4-byte Folded Reload
	s_waitcnt vmcnt(0)
	v_addc_co_u32_e64 v132, s[0:1], v132, v3, s[0:1]
	buffer_store_dword v132, off, s[40:43], 0 offset:124 ; 4-byte Folded Spill
	buffer_load_dword v132, off, s[40:43], 0 offset:128 ; 4-byte Folded Reload
	s_waitcnt vmcnt(0)
	v_add_co_u32_e64 v132, s[0:1], s10, v132
	buffer_store_dword v132, off, s[40:43], 0 offset:128 ; 4-byte Folded Spill
	buffer_load_dword v132, off, s[40:43], 0 offset:132 ; 4-byte Folded Reload
	s_waitcnt vmcnt(0)
	v_addc_co_u32_e64 v132, s[0:1], v132, v3, s[0:1]
	buffer_store_dword v132, off, s[40:43], 0 offset:132 ; 4-byte Folded Spill
	buffer_load_dword v132, off, s[40:43], 0 offset:136 ; 4-byte Folded Reload
	s_waitcnt vmcnt(0)
	v_add_co_u32_e64 v132, s[0:1], s10, v132
	buffer_store_dword v132, off, s[40:43], 0 offset:136 ; 4-byte Folded Spill
	buffer_load_dword v132, off, s[40:43], 0 offset:140 ; 4-byte Folded Reload
	s_waitcnt vmcnt(0)
	v_addc_co_u32_e64 v132, s[0:1], v132, v3, s[0:1]
	buffer_store_dword v132, off, s[40:43], 0 offset:140 ; 4-byte Folded Spill
	buffer_load_dword v132, off, s[40:43], 0 offset:144 ; 4-byte Folded Reload
	s_waitcnt vmcnt(0)
	v_add_co_u32_e64 v132, s[0:1], s10, v132
	buffer_store_dword v132, off, s[40:43], 0 offset:144 ; 4-byte Folded Spill
	buffer_load_dword v132, off, s[40:43], 0 offset:148 ; 4-byte Folded Reload
	s_waitcnt vmcnt(0)
	v_addc_co_u32_e64 v132, s[0:1], v132, v3, s[0:1]
	buffer_store_dword v132, off, s[40:43], 0 offset:148 ; 4-byte Folded Spill
	buffer_load_dword v132, off, s[40:43], 0 offset:152 ; 4-byte Folded Reload
	s_waitcnt vmcnt(0)
	v_add_co_u32_e64 v132, s[0:1], s10, v132
	buffer_store_dword v132, off, s[40:43], 0 offset:152 ; 4-byte Folded Spill
	buffer_load_dword v132, off, s[40:43], 0 offset:156 ; 4-byte Folded Reload
	s_waitcnt vmcnt(0)
	v_addc_co_u32_e64 v132, s[0:1], v132, v3, s[0:1]
	buffer_store_dword v132, off, s[40:43], 0 offset:156 ; 4-byte Folded Spill
	buffer_load_dword v132, off, s[40:43], 0 offset:160 ; 4-byte Folded Reload
	s_waitcnt vmcnt(0)
	v_add_co_u32_e64 v132, s[0:1], s10, v132
	buffer_store_dword v132, off, s[40:43], 0 offset:160 ; 4-byte Folded Spill
	buffer_load_dword v132, off, s[40:43], 0 offset:164 ; 4-byte Folded Reload
	s_waitcnt vmcnt(0)
	v_addc_co_u32_e64 v132, s[0:1], v132, v3, s[0:1]
	buffer_store_dword v132, off, s[40:43], 0 offset:164 ; 4-byte Folded Spill
	buffer_load_dword v132, off, s[40:43], 0 offset:168 ; 4-byte Folded Reload
	s_waitcnt vmcnt(0)
	v_add_co_u32_e64 v132, s[0:1], s10, v132
	buffer_store_dword v132, off, s[40:43], 0 offset:168 ; 4-byte Folded Spill
	buffer_load_dword v132, off, s[40:43], 0 offset:172 ; 4-byte Folded Reload
	s_waitcnt vmcnt(0)
	v_addc_co_u32_e64 v132, s[0:1], v132, v3, s[0:1]
	buffer_store_dword v132, off, s[40:43], 0 offset:172 ; 4-byte Folded Spill
	buffer_load_dword v132, off, s[40:43], 0 offset:176 ; 4-byte Folded Reload
	s_waitcnt vmcnt(0)
	v_add_co_u32_e64 v132, s[0:1], s10, v132
	buffer_store_dword v132, off, s[40:43], 0 offset:176 ; 4-byte Folded Spill
	buffer_load_dword v132, off, s[40:43], 0 offset:180 ; 4-byte Folded Reload
	s_waitcnt vmcnt(0)
	v_addc_co_u32_e64 v132, s[0:1], v132, v3, s[0:1]
	buffer_store_dword v132, off, s[40:43], 0 offset:180 ; 4-byte Folded Spill
	buffer_load_dword v132, off, s[40:43], 0 offset:184 ; 4-byte Folded Reload
	s_waitcnt vmcnt(0)
	v_add_co_u32_e64 v132, s[0:1], s10, v132
	buffer_store_dword v132, off, s[40:43], 0 offset:184 ; 4-byte Folded Spill
	buffer_load_dword v132, off, s[40:43], 0 offset:188 ; 4-byte Folded Reload
	s_waitcnt vmcnt(0)
	v_addc_co_u32_e64 v132, s[0:1], v132, v3, s[0:1]
	buffer_store_dword v132, off, s[40:43], 0 offset:188 ; 4-byte Folded Spill
	buffer_load_dword v132, off, s[40:43], 0 offset:192 ; 4-byte Folded Reload
	s_waitcnt vmcnt(0)
	v_add_co_u32_e64 v132, s[0:1], s10, v132
	buffer_store_dword v132, off, s[40:43], 0 offset:192 ; 4-byte Folded Spill
	buffer_load_dword v132, off, s[40:43], 0 offset:196 ; 4-byte Folded Reload
	s_waitcnt vmcnt(0)
	v_addc_co_u32_e64 v132, s[0:1], v132, v3, s[0:1]
	buffer_store_dword v132, off, s[40:43], 0 offset:196 ; 4-byte Folded Spill
	buffer_load_dword v132, off, s[40:43], 0 offset:200 ; 4-byte Folded Reload
	s_waitcnt vmcnt(0)
	v_add_co_u32_e64 v132, s[0:1], s10, v132
	buffer_store_dword v132, off, s[40:43], 0 offset:200 ; 4-byte Folded Spill
	buffer_load_dword v132, off, s[40:43], 0 offset:204 ; 4-byte Folded Reload
	s_waitcnt vmcnt(0)
	v_addc_co_u32_e64 v132, s[0:1], v132, v3, s[0:1]
	buffer_store_dword v132, off, s[40:43], 0 offset:204 ; 4-byte Folded Spill
	buffer_load_dword v132, off, s[40:43], 0 offset:208 ; 4-byte Folded Reload
	s_waitcnt vmcnt(0)
	v_add_co_u32_e64 v132, s[0:1], s10, v132
	buffer_store_dword v132, off, s[40:43], 0 offset:208 ; 4-byte Folded Spill
	buffer_load_dword v132, off, s[40:43], 0 offset:212 ; 4-byte Folded Reload
	s_waitcnt vmcnt(0)
	v_addc_co_u32_e64 v132, s[0:1], v132, v3, s[0:1]
	buffer_store_dword v132, off, s[40:43], 0 offset:212 ; 4-byte Folded Spill
	buffer_load_dword v132, off, s[40:43], 0 offset:216 ; 4-byte Folded Reload
	s_waitcnt vmcnt(0)
	v_add_co_u32_e64 v132, s[0:1], s10, v132
	buffer_store_dword v132, off, s[40:43], 0 offset:216 ; 4-byte Folded Spill
	buffer_load_dword v132, off, s[40:43], 0 offset:220 ; 4-byte Folded Reload
	s_waitcnt vmcnt(0)
	v_addc_co_u32_e64 v132, s[0:1], v132, v3, s[0:1]
	buffer_store_dword v132, off, s[40:43], 0 offset:220 ; 4-byte Folded Spill
	buffer_load_dword v132, off, s[40:43], 0 offset:224 ; 4-byte Folded Reload
	s_waitcnt vmcnt(0)
	v_add_co_u32_e64 v132, s[0:1], s10, v132
	buffer_store_dword v132, off, s[40:43], 0 offset:224 ; 4-byte Folded Spill
	buffer_load_dword v132, off, s[40:43], 0 offset:228 ; 4-byte Folded Reload
	s_waitcnt vmcnt(0)
	v_addc_co_u32_e64 v132, s[0:1], v132, v3, s[0:1]
	buffer_store_dword v132, off, s[40:43], 0 offset:228 ; 4-byte Folded Spill
	buffer_load_dword v132, off, s[40:43], 0 offset:232 ; 4-byte Folded Reload
	s_waitcnt vmcnt(0)
	v_add_co_u32_e64 v132, s[0:1], s10, v132
	buffer_store_dword v132, off, s[40:43], 0 offset:232 ; 4-byte Folded Spill
	buffer_load_dword v132, off, s[40:43], 0 offset:236 ; 4-byte Folded Reload
	s_waitcnt vmcnt(0)
	v_addc_co_u32_e64 v132, s[0:1], v132, v3, s[0:1]
	buffer_store_dword v132, off, s[40:43], 0 offset:236 ; 4-byte Folded Spill
	buffer_load_dword v132, off, s[40:43], 0 offset:240 ; 4-byte Folded Reload
	s_waitcnt vmcnt(0)
	v_add_co_u32_e64 v132, s[0:1], s10, v132
	buffer_store_dword v132, off, s[40:43], 0 offset:240 ; 4-byte Folded Spill
	buffer_load_dword v132, off, s[40:43], 0 offset:244 ; 4-byte Folded Reload
	s_waitcnt vmcnt(0)
	v_addc_co_u32_e64 v132, s[0:1], v132, v3, s[0:1]
	buffer_store_dword v132, off, s[40:43], 0 offset:244 ; 4-byte Folded Spill
	buffer_load_dword v132, off, s[40:43], 0 offset:248 ; 4-byte Folded Reload
	s_waitcnt vmcnt(0)
	v_add_co_u32_e64 v132, s[0:1], s10, v132
	buffer_store_dword v132, off, s[40:43], 0 offset:248 ; 4-byte Folded Spill
	buffer_load_dword v132, off, s[40:43], 0 offset:252 ; 4-byte Folded Reload
	s_waitcnt vmcnt(0)
	v_addc_co_u32_e64 v132, s[0:1], v132, v3, s[0:1]
	buffer_store_dword v132, off, s[40:43], 0 offset:252 ; 4-byte Folded Spill
	buffer_load_dword v132, off, s[40:43], 0 offset:256 ; 4-byte Folded Reload
	s_waitcnt vmcnt(0)
	v_add_co_u32_e64 v132, s[0:1], s10, v132
	buffer_store_dword v132, off, s[40:43], 0 offset:256 ; 4-byte Folded Spill
	buffer_load_dword v132, off, s[40:43], 0 offset:260 ; 4-byte Folded Reload
	s_waitcnt vmcnt(0)
	v_addc_co_u32_e64 v132, s[0:1], v132, v3, s[0:1]
	buffer_store_dword v132, off, s[40:43], 0 offset:260 ; 4-byte Folded Spill
	buffer_load_dword v132, off, s[40:43], 0 offset:264 ; 4-byte Folded Reload
	s_waitcnt vmcnt(0)
	v_add_co_u32_e64 v132, s[0:1], s10, v132
	buffer_store_dword v132, off, s[40:43], 0 offset:264 ; 4-byte Folded Spill
	buffer_load_dword v132, off, s[40:43], 0 offset:268 ; 4-byte Folded Reload
	s_waitcnt vmcnt(0)
	v_addc_co_u32_e64 v132, s[0:1], v132, v3, s[0:1]
	buffer_store_dword v132, off, s[40:43], 0 offset:268 ; 4-byte Folded Spill
	buffer_load_dword v132, off, s[40:43], 0 offset:272 ; 4-byte Folded Reload
	s_waitcnt vmcnt(0)
	v_add_co_u32_e64 v132, s[0:1], s10, v132
	buffer_store_dword v132, off, s[40:43], 0 offset:272 ; 4-byte Folded Spill
	buffer_load_dword v132, off, s[40:43], 0 offset:276 ; 4-byte Folded Reload
	s_waitcnt vmcnt(0)
	v_addc_co_u32_e64 v132, s[0:1], v132, v3, s[0:1]
	v_add_co_u32_e64 v211, s[0:1], s10, v211
	v_addc_co_u32_e64 v212, s[0:1], v212, v3, s[0:1]
	v_add_co_u32_e64 v213, s[0:1], s10, v213
	;; [unrolled: 2-line block ×28, first 2 shown]
	v_add_f32_e32 v3, v134, v191
	v_addc_co_u32_e64 v141, s[0:1], 0, v141, s[0:1]
	buffer_store_dword v132, off, s[40:43], 0 offset:276 ; 4-byte Folded Spill
	s_cbranch_vccnz .LBB51_227
; %bb.226:                              ;   in Loop: Header=BB51_149 Depth=1
	v_mov_b32_e32 v143, v142
	s_branch .LBB51_149
.LBB51_227:
	buffer_load_dword v1, off, s[40:43], 0 offset:292 ; 4-byte Folded Reload
	buffer_load_dword v2, off, s[40:43], 0 offset:296 ; 4-byte Folded Reload
	;; [unrolled: 1-line block ×3, first 2 shown]
.LBB51_228:
	s_mov_b32 s7, 0
	s_lshl_b64 s[0:1], s[6:7], 6
	s_waitcnt vmcnt(0)
	v_or_b32_e32 v6, s0, v0
	v_mov_b32_e32 v7, s1
	v_cmp_gt_i64_e32 vcc, s[14:15], v[6:7]
	s_and_saveexec_b64 s[0:1], vcc
	s_cbranch_execz .LBB51_233
; %bb.229:
	s_load_dword s0, s[4:5], 0x4c
	v_mov_b32_e32 v2, 0
	v_mov_b32_e32 v0, s8
	s_waitcnt lgkmcnt(0)
	s_lshr_b32 s0, s0, 16
	v_mad_u64_u32 v[4:5], s[0:1], s0, v0, v[1:2]
	s_load_dwordx4 s[0:3], s[4:5], 0x30
	v_lshlrev_b64 v[0:1], 2, v[6:7]
	v_mul_lo_u32 v2, v5, s14
	v_mul_lo_u32 v5, v4, s15
	s_waitcnt lgkmcnt(0)
	s_cmp_eq_u64 s[0:1], 0
	s_cbranch_scc1 .LBB51_231
; %bb.230:
	v_mad_u64_u32 v[6:7], s[4:5], v4, s14, 0
	v_mov_b32_e32 v8, s1
	v_add3_u32 v7, v7, v5, v2
	v_lshlrev_b64 v[6:7], 2, v[6:7]
	v_add_co_u32_e32 v6, vcc, s0, v6
	v_addc_co_u32_e32 v7, vcc, v8, v7, vcc
	v_add_co_u32_e32 v6, vcc, v6, v0
	v_addc_co_u32_e32 v7, vcc, v7, v1, vcc
	global_store_dword v[6:7], v142, off
.LBB51_231:
	s_cmp_eq_u64 s[2:3], 0
	s_cbranch_scc1 .LBB51_233
; %bb.232:
	v_mad_u64_u32 v[6:7], s[0:1], v4, s14, 0
	v_mov_b32_e32 v8, s3
	v_add3_u32 v7, v7, v5, v2
	v_lshlrev_b64 v[4:5], 2, v[6:7]
	v_add_co_u32_e32 v2, vcc, s2, v4
	v_addc_co_u32_e32 v4, vcc, v8, v5, vcc
	v_add_co_u32_e32 v0, vcc, v2, v0
	v_addc_co_u32_e32 v1, vcc, v4, v1, vcc
	global_store_dword v[0:1], v3, off
.LBB51_233:
	s_endpgm
	.section	.rodata,"a",@progbits
	.p2align	6, 0x0
	.amdhsa_kernel _ZN2at6native12_GLOBAL__N_135GammaBetaBackwardCUDAKernelTemplateIffLj64ELj1ELj32ELb1ELb0ELb0EEEvllPKT_S5_PKT0_S8_PS3_S9_
		.amdhsa_group_segment_fixed_size 0
		.amdhsa_private_segment_fixed_size 316
		.amdhsa_kernarg_size 320
		.amdhsa_user_sgpr_count 6
		.amdhsa_user_sgpr_private_segment_buffer 1
		.amdhsa_user_sgpr_dispatch_ptr 0
		.amdhsa_user_sgpr_queue_ptr 0
		.amdhsa_user_sgpr_kernarg_segment_ptr 1
		.amdhsa_user_sgpr_dispatch_id 0
		.amdhsa_user_sgpr_flat_scratch_init 0
		.amdhsa_user_sgpr_private_segment_size 0
		.amdhsa_uses_dynamic_stack 0
		.amdhsa_system_sgpr_private_segment_wavefront_offset 1
		.amdhsa_system_sgpr_workgroup_id_x 1
		.amdhsa_system_sgpr_workgroup_id_y 1
		.amdhsa_system_sgpr_workgroup_id_z 0
		.amdhsa_system_sgpr_workgroup_info 0
		.amdhsa_system_vgpr_workitem_id 1
		.amdhsa_next_free_vgpr 256
		.amdhsa_next_free_sgpr 44
		.amdhsa_reserve_vcc 1
		.amdhsa_reserve_flat_scratch 0
		.amdhsa_float_round_mode_32 0
		.amdhsa_float_round_mode_16_64 0
		.amdhsa_float_denorm_mode_32 3
		.amdhsa_float_denorm_mode_16_64 3
		.amdhsa_dx10_clamp 1
		.amdhsa_ieee_mode 1
		.amdhsa_fp16_overflow 0
		.amdhsa_exception_fp_ieee_invalid_op 0
		.amdhsa_exception_fp_denorm_src 0
		.amdhsa_exception_fp_ieee_div_zero 0
		.amdhsa_exception_fp_ieee_overflow 0
		.amdhsa_exception_fp_ieee_underflow 0
		.amdhsa_exception_fp_ieee_inexact 0
		.amdhsa_exception_int_div_zero 0
	.end_amdhsa_kernel
	.section	.text._ZN2at6native12_GLOBAL__N_135GammaBetaBackwardCUDAKernelTemplateIffLj64ELj1ELj32ELb1ELb0ELb0EEEvllPKT_S5_PKT0_S8_PS3_S9_,"axG",@progbits,_ZN2at6native12_GLOBAL__N_135GammaBetaBackwardCUDAKernelTemplateIffLj64ELj1ELj32ELb1ELb0ELb0EEEvllPKT_S5_PKT0_S8_PS3_S9_,comdat
.Lfunc_end51:
	.size	_ZN2at6native12_GLOBAL__N_135GammaBetaBackwardCUDAKernelTemplateIffLj64ELj1ELj32ELb1ELb0ELb0EEEvllPKT_S5_PKT0_S8_PS3_S9_, .Lfunc_end51-_ZN2at6native12_GLOBAL__N_135GammaBetaBackwardCUDAKernelTemplateIffLj64ELj1ELj32ELb1ELb0ELb0EEEvllPKT_S5_PKT0_S8_PS3_S9_
                                        ; -- End function
	.set _ZN2at6native12_GLOBAL__N_135GammaBetaBackwardCUDAKernelTemplateIffLj64ELj1ELj32ELb1ELb0ELb0EEEvllPKT_S5_PKT0_S8_PS3_S9_.num_vgpr, 256
	.set _ZN2at6native12_GLOBAL__N_135GammaBetaBackwardCUDAKernelTemplateIffLj64ELj1ELj32ELb1ELb0ELb0EEEvllPKT_S5_PKT0_S8_PS3_S9_.num_agpr, 0
	.set _ZN2at6native12_GLOBAL__N_135GammaBetaBackwardCUDAKernelTemplateIffLj64ELj1ELj32ELb1ELb0ELb0EEEvllPKT_S5_PKT0_S8_PS3_S9_.numbered_sgpr, 44
	.set _ZN2at6native12_GLOBAL__N_135GammaBetaBackwardCUDAKernelTemplateIffLj64ELj1ELj32ELb1ELb0ELb0EEEvllPKT_S5_PKT0_S8_PS3_S9_.num_named_barrier, 0
	.set _ZN2at6native12_GLOBAL__N_135GammaBetaBackwardCUDAKernelTemplateIffLj64ELj1ELj32ELb1ELb0ELb0EEEvllPKT_S5_PKT0_S8_PS3_S9_.private_seg_size, 316
	.set _ZN2at6native12_GLOBAL__N_135GammaBetaBackwardCUDAKernelTemplateIffLj64ELj1ELj32ELb1ELb0ELb0EEEvllPKT_S5_PKT0_S8_PS3_S9_.uses_vcc, 1
	.set _ZN2at6native12_GLOBAL__N_135GammaBetaBackwardCUDAKernelTemplateIffLj64ELj1ELj32ELb1ELb0ELb0EEEvllPKT_S5_PKT0_S8_PS3_S9_.uses_flat_scratch, 0
	.set _ZN2at6native12_GLOBAL__N_135GammaBetaBackwardCUDAKernelTemplateIffLj64ELj1ELj32ELb1ELb0ELb0EEEvllPKT_S5_PKT0_S8_PS3_S9_.has_dyn_sized_stack, 0
	.set _ZN2at6native12_GLOBAL__N_135GammaBetaBackwardCUDAKernelTemplateIffLj64ELj1ELj32ELb1ELb0ELb0EEEvllPKT_S5_PKT0_S8_PS3_S9_.has_recursion, 0
	.set _ZN2at6native12_GLOBAL__N_135GammaBetaBackwardCUDAKernelTemplateIffLj64ELj1ELj32ELb1ELb0ELb0EEEvllPKT_S5_PKT0_S8_PS3_S9_.has_indirect_call, 0
	.section	.AMDGPU.csdata,"",@progbits
; Kernel info:
; codeLenInByte = 25484
; TotalNumSgprs: 48
; NumVgprs: 256
; ScratchSize: 316
; MemoryBound: 0
; FloatMode: 240
; IeeeMode: 1
; LDSByteSize: 0 bytes/workgroup (compile time only)
; SGPRBlocks: 5
; VGPRBlocks: 63
; NumSGPRsForWavesPerEU: 48
; NumVGPRsForWavesPerEU: 256
; Occupancy: 1
; WaveLimiterHint : 0
; COMPUTE_PGM_RSRC2:SCRATCH_EN: 1
; COMPUTE_PGM_RSRC2:USER_SGPR: 6
; COMPUTE_PGM_RSRC2:TRAP_HANDLER: 0
; COMPUTE_PGM_RSRC2:TGID_X_EN: 1
; COMPUTE_PGM_RSRC2:TGID_Y_EN: 1
; COMPUTE_PGM_RSRC2:TGID_Z_EN: 0
; COMPUTE_PGM_RSRC2:TIDIG_COMP_CNT: 1
	.section	.text._ZN2at6native12_GLOBAL__N_135GammaBetaBackwardCUDAKernelTemplateIffLj64ELj1ELj8ELb1ELb1ELb0EEEvllPKT_S5_PKT0_S8_PS3_S9_,"axG",@progbits,_ZN2at6native12_GLOBAL__N_135GammaBetaBackwardCUDAKernelTemplateIffLj64ELj1ELj8ELb1ELb1ELb0EEEvllPKT_S5_PKT0_S8_PS3_S9_,comdat
	.globl	_ZN2at6native12_GLOBAL__N_135GammaBetaBackwardCUDAKernelTemplateIffLj64ELj1ELj8ELb1ELb1ELb0EEEvllPKT_S5_PKT0_S8_PS3_S9_ ; -- Begin function _ZN2at6native12_GLOBAL__N_135GammaBetaBackwardCUDAKernelTemplateIffLj64ELj1ELj8ELb1ELb1ELb0EEEvllPKT_S5_PKT0_S8_PS3_S9_
	.p2align	8
	.type	_ZN2at6native12_GLOBAL__N_135GammaBetaBackwardCUDAKernelTemplateIffLj64ELj1ELj8ELb1ELb1ELb0EEEvllPKT_S5_PKT0_S8_PS3_S9_,@function
_ZN2at6native12_GLOBAL__N_135GammaBetaBackwardCUDAKernelTemplateIffLj64ELj1ELj8ELb1ELb1ELb0EEEvllPKT_S5_PKT0_S8_PS3_S9_: ; @_ZN2at6native12_GLOBAL__N_135GammaBetaBackwardCUDAKernelTemplateIffLj64ELj1ELj8ELb1ELb1ELb0EEEvllPKT_S5_PKT0_S8_PS3_S9_
; %bb.0:
	s_load_dwordx4 s[16:19], s[4:5], 0x0
	s_lshl_b32 s24, s7, 3
	s_mov_b32 s25, 0
	v_mov_b32_e32 v2, s24
	v_mov_b32_e32 v3, s25
	s_waitcnt lgkmcnt(0)
	v_cmp_gt_i64_e32 vcc, s[16:17], v[2:3]
	s_mov_b32 s2, s7
	s_cbranch_vccnz .LBB52_2
; %bb.1:
	s_add_u32 s26, s4, 64
	s_addc_u32 s27, s5, 0
	s_mov_b64 s[0:1], 0
	s_branch .LBB52_3
.LBB52_2:
	s_mov_b64 s[0:1], -1
                                        ; implicit-def: $sgpr26_sgpr27
.LBB52_3:
	s_load_dwordx4 s[20:23], s[4:5], 0x30
	v_mov_b32_e32 v8, 0
	s_andn2_b64 vcc, exec, s[0:1]
	v_mov_b32_e32 v3, 0
	s_cbranch_vccnz .LBB52_10
; %bb.4:
	v_lshlrev_b32_e32 v5, 3, v1
	v_mbcnt_lo_u32_b32 v6, -1, 0
	s_add_u32 s26, s4, 64
	v_mbcnt_hi_u32_b32 v6, -1, v6
	v_add_co_u32_e32 v5, vcc, s24, v5
	s_load_dword s0, s[4:5], 0x4c
	s_load_dword s3, s[4:5], 0x44
	s_load_dwordx8 s[8:15], s[4:5], 0x10
	s_addc_u32 s27, s5, 0
	v_lshlrev_b32_e32 v6, 2, v6
	v_addc_co_u32_e64 v8, s[4:5], 0, 0, vcc
	v_and_b32_e32 v9, 0x100, v6
	v_mul_lo_u32 v17, s19, v5
	v_mul_lo_u32 v18, s18, v8
	v_mad_u64_u32 v[6:7], s[4:5], s18, v5, 0
	s_waitcnt lgkmcnt(0)
	s_and_b32 s0, s0, 0xffff
	v_mad_u32_u24 v2, v1, s0, v0
	v_and_b32_e32 v4, 63, v2
	v_mov_b32_e32 v3, 0
	v_lshl_or_b32 v2, s6, 6, v0
	v_add3_u32 v7, v7, v18, v17
	v_cmp_gt_u32_e64 s[0:1], 8, v4
	v_add_co_u32_e32 v4, vcc, v5, v4
	v_lshlrev_b64 v[6:7], 2, v[6:7]
	v_lshlrev_b64 v[17:18], 2, v[2:3]
	s_lshl_b32 s28, s3, 3
	v_addc_co_u32_e32 v5, vcc, 0, v8, vcc
	v_add_co_u32_e32 v2, vcc, v6, v17
	s_mul_i32 s3, s19, s28
	s_mul_hi_u32 s4, s18, s28
	s_mov_b32 s29, 0
	v_addc_co_u32_e32 v17, vcc, v7, v18, vcc
	v_lshlrev_b64 v[6:7], 2, v[4:5]
	s_add_i32 s5, s4, s3
	s_mul_i32 s4, s18, s28
	v_or_b32_e32 v10, 4, v9
	v_or_b32_e32 v11, 8, v9
	;; [unrolled: 1-line block ×7, first 2 shown]
	s_lshl_b64 s[30:31], s[28:29], 2
	s_lshl_b64 s[34:35], s[4:5], 2
	;; [unrolled: 1-line block ×3, first 2 shown]
	v_mov_b32_e32 v8, v3
	s_branch .LBB52_7
.LBB52_5:                               ;   in Loop: Header=BB52_7 Depth=1
	s_or_b64 exec, exec, s[38:39]
.LBB52_6:                               ;   in Loop: Header=BB52_7 Depth=1
	s_or_b64 exec, exec, s[4:5]
	v_mov_b32_e32 v21, s11
	v_add_co_u32_e32 v20, vcc, s10, v2
	v_addc_co_u32_e32 v21, vcc, v21, v17, vcc
	global_load_dword v26, v[20:21], off
	v_mov_b32_e32 v23, s9
	v_add_co_u32_e32 v22, vcc, s8, v2
	v_addc_co_u32_e32 v23, vcc, v23, v17, vcc
	global_load_dword v27, v[22:23], off
	v_mov_b32_e32 v28, s37
	v_add_co_u32_e32 v20, vcc, s36, v20
	v_addc_co_u32_e32 v21, vcc, v21, v28, vcc
	v_add_co_u32_e32 v22, vcc, s36, v22
	v_addc_co_u32_e32 v23, vcc, v23, v28, vcc
	global_load_dword v29, v[20:21], off
	global_load_dword v30, v[22:23], off
	v_add_co_u32_e32 v20, vcc, s36, v20
	v_addc_co_u32_e32 v21, vcc, v21, v28, vcc
	v_add_co_u32_e32 v22, vcc, s36, v22
	v_addc_co_u32_e32 v23, vcc, v23, v28, vcc
	global_load_dword v31, v[20:21], off
	v_add_co_u32_e32 v24, vcc, s36, v20
	global_load_dword v32, v[22:23], off
	v_addc_co_u32_e32 v25, vcc, v21, v28, vcc
	v_add_co_u32_e32 v20, vcc, s36, v22
	v_addc_co_u32_e32 v21, vcc, v23, v28, vcc
	v_add_co_u32_e32 v22, vcc, s36, v24
	global_load_dword v33, v[24:25], off
	s_waitcnt vmcnt(8)
	ds_bpermute_b32 v24, v9, v19
	v_addc_co_u32_e32 v23, vcc, v25, v28, vcc
	s_waitcnt vmcnt(7)
	ds_bpermute_b32 v25, v9, v18
	s_add_u32 s24, s24, s28
	s_addc_u32 s25, s25, 0
	v_add_co_u32_e64 v2, s[4:5], s34, v2
	s_waitcnt vmcnt(6) lgkmcnt(1)
	v_sub_f32_e32 v24, v26, v24
	global_load_dword v26, v[20:21], off
	s_waitcnt vmcnt(6)
	v_mul_f32_e32 v24, v27, v24
	s_waitcnt lgkmcnt(0)
	v_fmac_f32_e32 v3, v24, v25
	v_add_co_u32_e32 v24, vcc, s36, v20
	ds_bpermute_b32 v20, v10, v19
	v_addc_co_u32_e32 v25, vcc, v21, v28, vcc
	ds_bpermute_b32 v21, v10, v18
	v_add_f32_e32 v8, v8, v27
	s_waitcnt vmcnt(5) lgkmcnt(1)
	v_sub_f32_e32 v20, v29, v20
	s_waitcnt vmcnt(4)
	v_mul_f32_e32 v20, v30, v20
	s_waitcnt lgkmcnt(0)
	v_fmac_f32_e32 v3, v20, v21
	v_add_co_u32_e32 v20, vcc, s36, v22
	global_load_dword v29, v[22:23], off
	ds_bpermute_b32 v22, v11, v19
	v_addc_co_u32_e32 v21, vcc, v23, v28, vcc
	ds_bpermute_b32 v23, v11, v18
	v_add_f32_e32 v8, v8, v30
	s_waitcnt vmcnt(4) lgkmcnt(1)
	v_sub_f32_e32 v22, v31, v22
	global_load_dword v31, v[24:25], off
	s_waitcnt vmcnt(4)
	v_mul_f32_e32 v22, v32, v22
	s_waitcnt lgkmcnt(0)
	v_fmac_f32_e32 v3, v22, v23
	v_add_co_u32_e32 v22, vcc, s36, v24
	v_addc_co_u32_e32 v23, vcc, v25, v28, vcc
	global_load_dword v34, v[22:23], off
	ds_bpermute_b32 v24, v12, v19
	ds_bpermute_b32 v25, v12, v18
	v_add_f32_e32 v8, v8, v32
	s_waitcnt vmcnt(4) lgkmcnt(1)
	v_sub_f32_e32 v24, v33, v24
	global_load_dword v33, v[20:21], off
	s_waitcnt vmcnt(4)
	v_mul_f32_e32 v24, v26, v24
	s_waitcnt lgkmcnt(0)
	v_fmac_f32_e32 v3, v24, v25
	v_add_co_u32_e32 v24, vcc, s36, v20
	v_addc_co_u32_e32 v25, vcc, v21, v28, vcc
	v_add_co_u32_e32 v20, vcc, s36, v22
	v_addc_co_u32_e32 v21, vcc, v23, v28, vcc
	;; [unrolled: 2-line block ×3, first 2 shown]
	global_load_dword v35, v[24:25], off
	v_add_co_u32_e32 v24, vcc, s36, v20
	v_addc_co_u32_e32 v25, vcc, v21, v28, vcc
	global_load_dword v20, v[20:21], off
	s_nop 0
	global_load_dword v21, v[22:23], off
	global_load_dword v28, v[24:25], off
	ds_bpermute_b32 v22, v13, v19
	ds_bpermute_b32 v23, v13, v18
	ds_bpermute_b32 v24, v15, v19
	v_add_co_u32_e32 v6, vcc, s30, v6
	s_waitcnt vmcnt(7) lgkmcnt(2)
	v_sub_f32_e32 v22, v29, v22
	v_add_f32_e32 v8, v8, v26
	s_waitcnt vmcnt(6)
	v_mul_f32_e32 v22, v31, v22
	s_waitcnt lgkmcnt(1)
	v_fmac_f32_e32 v3, v22, v23
	ds_bpermute_b32 v22, v14, v19
	ds_bpermute_b32 v23, v14, v18
	;; [unrolled: 1-line block ×3, first 2 shown]
	v_add_f32_e32 v8, v8, v31
	s_waitcnt vmcnt(5)
	v_add_f32_e32 v8, v8, v34
	s_waitcnt vmcnt(4) lgkmcnt(2)
	v_sub_f32_e32 v22, v33, v22
	v_mul_f32_e32 v22, v34, v22
	s_waitcnt lgkmcnt(1)
	v_fmac_f32_e32 v3, v22, v23
	ds_bpermute_b32 v22, v15, v18
	ds_bpermute_b32 v18, v16, v18
	s_waitcnt vmcnt(3)
	v_sub_f32_e32 v23, v35, v24
	s_waitcnt vmcnt(2)
	v_mul_f32_e32 v23, v20, v23
	s_waitcnt vmcnt(1) lgkmcnt(2)
	v_sub_f32_e32 v19, v21, v19
	s_waitcnt lgkmcnt(1)
	v_fmac_f32_e32 v3, v23, v22
	s_waitcnt vmcnt(0)
	v_mul_f32_e32 v19, v28, v19
	s_waitcnt lgkmcnt(0)
	v_fmac_f32_e32 v3, v19, v18
	v_mov_b32_e32 v18, s31
	v_addc_co_u32_e32 v7, vcc, v7, v18, vcc
	v_add_co_u32_e32 v4, vcc, s28, v4
	v_mov_b32_e32 v19, s17
	v_addc_co_u32_e32 v5, vcc, 0, v5, vcc
	v_mov_b32_e32 v18, s16
	v_cmp_lt_i64_e32 vcc, s[24:25], v[18:19]
	v_add_f32_e32 v8, v8, v20
	v_mov_b32_e32 v20, s35
	v_add_f32_e32 v8, v8, v28
	v_addc_co_u32_e64 v17, s[4:5], v17, v20, s[4:5]
	s_cbranch_vccz .LBB52_10
.LBB52_7:                               ; =>This Inner Loop Header: Depth=1
	v_mov_b32_e32 v18, 0
	v_mov_b32_e32 v19, 0
	s_and_saveexec_b64 s[4:5], s[0:1]
	s_cbranch_execz .LBB52_6
; %bb.8:                                ;   in Loop: Header=BB52_7 Depth=1
	v_cmp_gt_i64_e32 vcc, s[16:17], v[4:5]
	v_mov_b32_e32 v19, 0
	v_mov_b32_e32 v18, 0
	s_and_saveexec_b64 s[38:39], vcc
	s_cbranch_execz .LBB52_5
; %bb.9:                                ;   in Loop: Header=BB52_7 Depth=1
	v_mov_b32_e32 v18, s15
	v_add_co_u32_e32 v20, vcc, s14, v6
	v_addc_co_u32_e32 v21, vcc, v18, v7, vcc
	v_mov_b32_e32 v18, s13
	v_add_co_u32_e32 v22, vcc, s12, v6
	v_addc_co_u32_e32 v23, vcc, v18, v7, vcc
	global_load_dword v19, v[22:23], off
	global_load_dword v18, v[20:21], off
	s_branch .LBB52_5
.LBB52_10:
	s_load_dword s0, s[26:27], 0xc
	v_mov_b32_e32 v2, 0
	v_mov_b32_e32 v4, s2
	s_mov_b32 s7, 0
	s_waitcnt lgkmcnt(0)
	s_lshr_b32 s0, s0, 16
	v_mad_u64_u32 v[4:5], s[0:1], s0, v4, v[1:2]
	s_lshl_b64 s[0:1], s[6:7], 6
	v_or_b32_e32 v0, s0, v0
	v_mul_lo_u32 v2, v5, s18
	v_mul_lo_u32 v5, v4, s19
	v_mov_b32_e32 v1, s1
	v_lshlrev_b64 v[0:1], 2, v[0:1]
	s_cmp_eq_u64 s[20:21], 0
	s_cbranch_scc1 .LBB52_12
; %bb.11:
	v_mad_u64_u32 v[6:7], s[0:1], v4, s18, 0
	v_mov_b32_e32 v9, s21
	v_add3_u32 v7, v7, v5, v2
	v_lshlrev_b64 v[6:7], 2, v[6:7]
	v_add_co_u32_e32 v6, vcc, s20, v6
	v_addc_co_u32_e32 v7, vcc, v9, v7, vcc
	v_add_co_u32_e32 v6, vcc, v6, v0
	v_addc_co_u32_e32 v7, vcc, v7, v1, vcc
	global_store_dword v[6:7], v3, off
.LBB52_12:
	s_cmp_eq_u64 s[22:23], 0
	s_cbranch_scc1 .LBB52_14
; %bb.13:
	v_mad_u64_u32 v[3:4], s[0:1], v4, s18, 0
	v_mov_b32_e32 v6, s23
	v_add3_u32 v4, v4, v5, v2
	v_lshlrev_b64 v[2:3], 2, v[3:4]
	v_add_co_u32_e32 v2, vcc, s22, v2
	v_addc_co_u32_e32 v3, vcc, v6, v3, vcc
	v_add_co_u32_e32 v0, vcc, v2, v0
	v_addc_co_u32_e32 v1, vcc, v3, v1, vcc
	global_store_dword v[0:1], v8, off
.LBB52_14:
	s_endpgm
	.section	.rodata,"a",@progbits
	.p2align	6, 0x0
	.amdhsa_kernel _ZN2at6native12_GLOBAL__N_135GammaBetaBackwardCUDAKernelTemplateIffLj64ELj1ELj8ELb1ELb1ELb0EEEvllPKT_S5_PKT0_S8_PS3_S9_
		.amdhsa_group_segment_fixed_size 0
		.amdhsa_private_segment_fixed_size 0
		.amdhsa_kernarg_size 320
		.amdhsa_user_sgpr_count 6
		.amdhsa_user_sgpr_private_segment_buffer 1
		.amdhsa_user_sgpr_dispatch_ptr 0
		.amdhsa_user_sgpr_queue_ptr 0
		.amdhsa_user_sgpr_kernarg_segment_ptr 1
		.amdhsa_user_sgpr_dispatch_id 0
		.amdhsa_user_sgpr_flat_scratch_init 0
		.amdhsa_user_sgpr_private_segment_size 0
		.amdhsa_uses_dynamic_stack 0
		.amdhsa_system_sgpr_private_segment_wavefront_offset 0
		.amdhsa_system_sgpr_workgroup_id_x 1
		.amdhsa_system_sgpr_workgroup_id_y 1
		.amdhsa_system_sgpr_workgroup_id_z 0
		.amdhsa_system_sgpr_workgroup_info 0
		.amdhsa_system_vgpr_workitem_id 1
		.amdhsa_next_free_vgpr 36
		.amdhsa_next_free_sgpr 40
		.amdhsa_reserve_vcc 1
		.amdhsa_reserve_flat_scratch 0
		.amdhsa_float_round_mode_32 0
		.amdhsa_float_round_mode_16_64 0
		.amdhsa_float_denorm_mode_32 3
		.amdhsa_float_denorm_mode_16_64 3
		.amdhsa_dx10_clamp 1
		.amdhsa_ieee_mode 1
		.amdhsa_fp16_overflow 0
		.amdhsa_exception_fp_ieee_invalid_op 0
		.amdhsa_exception_fp_denorm_src 0
		.amdhsa_exception_fp_ieee_div_zero 0
		.amdhsa_exception_fp_ieee_overflow 0
		.amdhsa_exception_fp_ieee_underflow 0
		.amdhsa_exception_fp_ieee_inexact 0
		.amdhsa_exception_int_div_zero 0
	.end_amdhsa_kernel
	.section	.text._ZN2at6native12_GLOBAL__N_135GammaBetaBackwardCUDAKernelTemplateIffLj64ELj1ELj8ELb1ELb1ELb0EEEvllPKT_S5_PKT0_S8_PS3_S9_,"axG",@progbits,_ZN2at6native12_GLOBAL__N_135GammaBetaBackwardCUDAKernelTemplateIffLj64ELj1ELj8ELb1ELb1ELb0EEEvllPKT_S5_PKT0_S8_PS3_S9_,comdat
.Lfunc_end52:
	.size	_ZN2at6native12_GLOBAL__N_135GammaBetaBackwardCUDAKernelTemplateIffLj64ELj1ELj8ELb1ELb1ELb0EEEvllPKT_S5_PKT0_S8_PS3_S9_, .Lfunc_end52-_ZN2at6native12_GLOBAL__N_135GammaBetaBackwardCUDAKernelTemplateIffLj64ELj1ELj8ELb1ELb1ELb0EEEvllPKT_S5_PKT0_S8_PS3_S9_
                                        ; -- End function
	.set _ZN2at6native12_GLOBAL__N_135GammaBetaBackwardCUDAKernelTemplateIffLj64ELj1ELj8ELb1ELb1ELb0EEEvllPKT_S5_PKT0_S8_PS3_S9_.num_vgpr, 36
	.set _ZN2at6native12_GLOBAL__N_135GammaBetaBackwardCUDAKernelTemplateIffLj64ELj1ELj8ELb1ELb1ELb0EEEvllPKT_S5_PKT0_S8_PS3_S9_.num_agpr, 0
	.set _ZN2at6native12_GLOBAL__N_135GammaBetaBackwardCUDAKernelTemplateIffLj64ELj1ELj8ELb1ELb1ELb0EEEvllPKT_S5_PKT0_S8_PS3_S9_.numbered_sgpr, 40
	.set _ZN2at6native12_GLOBAL__N_135GammaBetaBackwardCUDAKernelTemplateIffLj64ELj1ELj8ELb1ELb1ELb0EEEvllPKT_S5_PKT0_S8_PS3_S9_.num_named_barrier, 0
	.set _ZN2at6native12_GLOBAL__N_135GammaBetaBackwardCUDAKernelTemplateIffLj64ELj1ELj8ELb1ELb1ELb0EEEvllPKT_S5_PKT0_S8_PS3_S9_.private_seg_size, 0
	.set _ZN2at6native12_GLOBAL__N_135GammaBetaBackwardCUDAKernelTemplateIffLj64ELj1ELj8ELb1ELb1ELb0EEEvllPKT_S5_PKT0_S8_PS3_S9_.uses_vcc, 1
	.set _ZN2at6native12_GLOBAL__N_135GammaBetaBackwardCUDAKernelTemplateIffLj64ELj1ELj8ELb1ELb1ELb0EEEvllPKT_S5_PKT0_S8_PS3_S9_.uses_flat_scratch, 0
	.set _ZN2at6native12_GLOBAL__N_135GammaBetaBackwardCUDAKernelTemplateIffLj64ELj1ELj8ELb1ELb1ELb0EEEvllPKT_S5_PKT0_S8_PS3_S9_.has_dyn_sized_stack, 0
	.set _ZN2at6native12_GLOBAL__N_135GammaBetaBackwardCUDAKernelTemplateIffLj64ELj1ELj8ELb1ELb1ELb0EEEvllPKT_S5_PKT0_S8_PS3_S9_.has_recursion, 0
	.set _ZN2at6native12_GLOBAL__N_135GammaBetaBackwardCUDAKernelTemplateIffLj64ELj1ELj8ELb1ELb1ELb0EEEvllPKT_S5_PKT0_S8_PS3_S9_.has_indirect_call, 0
	.section	.AMDGPU.csdata,"",@progbits
; Kernel info:
; codeLenInByte = 1328
; TotalNumSgprs: 44
; NumVgprs: 36
; ScratchSize: 0
; MemoryBound: 0
; FloatMode: 240
; IeeeMode: 1
; LDSByteSize: 0 bytes/workgroup (compile time only)
; SGPRBlocks: 5
; VGPRBlocks: 8
; NumSGPRsForWavesPerEU: 44
; NumVGPRsForWavesPerEU: 36
; Occupancy: 7
; WaveLimiterHint : 0
; COMPUTE_PGM_RSRC2:SCRATCH_EN: 0
; COMPUTE_PGM_RSRC2:USER_SGPR: 6
; COMPUTE_PGM_RSRC2:TRAP_HANDLER: 0
; COMPUTE_PGM_RSRC2:TGID_X_EN: 1
; COMPUTE_PGM_RSRC2:TGID_Y_EN: 1
; COMPUTE_PGM_RSRC2:TGID_Z_EN: 0
; COMPUTE_PGM_RSRC2:TIDIG_COMP_CNT: 1
	.section	.text._ZN2at6native12_GLOBAL__N_135GammaBetaBackwardCUDAKernelTemplateIffLj64ELj1ELj8ELb1ELb0ELb0EEEvllPKT_S5_PKT0_S8_PS3_S9_,"axG",@progbits,_ZN2at6native12_GLOBAL__N_135GammaBetaBackwardCUDAKernelTemplateIffLj64ELj1ELj8ELb1ELb0ELb0EEEvllPKT_S5_PKT0_S8_PS3_S9_,comdat
	.globl	_ZN2at6native12_GLOBAL__N_135GammaBetaBackwardCUDAKernelTemplateIffLj64ELj1ELj8ELb1ELb0ELb0EEEvllPKT_S5_PKT0_S8_PS3_S9_ ; -- Begin function _ZN2at6native12_GLOBAL__N_135GammaBetaBackwardCUDAKernelTemplateIffLj64ELj1ELj8ELb1ELb0ELb0EEEvllPKT_S5_PKT0_S8_PS3_S9_
	.p2align	8
	.type	_ZN2at6native12_GLOBAL__N_135GammaBetaBackwardCUDAKernelTemplateIffLj64ELj1ELj8ELb1ELb0ELb0EEEvllPKT_S5_PKT0_S8_PS3_S9_,@function
_ZN2at6native12_GLOBAL__N_135GammaBetaBackwardCUDAKernelTemplateIffLj64ELj1ELj8ELb1ELb0ELb0EEEvllPKT_S5_PKT0_S8_PS3_S9_: ; @_ZN2at6native12_GLOBAL__N_135GammaBetaBackwardCUDAKernelTemplateIffLj64ELj1ELj8ELb1ELb0ELb0EEEvllPKT_S5_PKT0_S8_PS3_S9_
; %bb.0:
	s_mov_b32 s8, s7
	s_load_dwordx8 s[12:19], s[4:5], 0x0
	s_load_dwordx4 s[20:23], s[4:5], 0x20
	s_lshl_b32 s24, s8, 3
	s_lshl_b32 s7, s6, 6
	s_mov_b32 s25, 0
	v_mov_b32_e32 v2, s24
	s_or_b32 s0, s7, 63
	v_mov_b32_e32 v3, s25
	v_mov_b32_e32 v18, s0
	;; [unrolled: 1-line block ×3, first 2 shown]
	s_waitcnt lgkmcnt(0)
	v_cmp_gt_i64_e64 s[0:1], s[12:13], v[2:3]
	v_cmp_le_i64_e32 vcc, s[14:15], v[18:19]
	v_cndmask_b32_e64 v2, 0, 1, s[0:1]
	v_cmp_ne_u32_e64 s[0:1], 1, v2
	s_cbranch_vccz .LBB53_49
; %bb.1:
	s_and_b64 vcc, exec, s[0:1]
	v_mov_b32_e32 v57, 0
	s_cbranch_vccnz .LBB53_50
; %bb.2:
	v_lshlrev_b32_e32 v24, 3, v1
	v_add_co_u32_e32 v9, vcc, s24, v24
	v_addc_co_u32_e64 v10, s[2:3], 0, 0, vcc
	v_mul_lo_u32 v7, s15, v9
	v_mul_lo_u32 v8, s14, v10
	v_mad_u64_u32 v[5:6], s[2:3], s14, v9, 0
	v_mov_b32_e32 v2, 0
	s_load_dword s9, s[4:5], 0x44
	v_add_u32_e32 v3, s7, v0
	v_mov_b32_e32 v4, v2
	v_add3_u32 v6, v6, v8, v7
	v_cmp_gt_i64_e64 s[2:3], s[14:15], v[3:4]
	v_lshlrev_b64 v[20:21], 2, v[3:4]
	v_lshlrev_b64 v[3:4], 2, v[5:6]
	s_add_u32 s26, s4, 64
	v_mov_b32_e32 v7, s17
	v_add_co_u32_e32 v26, vcc, s16, v3
	s_addc_u32 s27, s5, 0
	s_waitcnt lgkmcnt(0)
	s_lshl_b32 s9, s9, 3
	v_addc_co_u32_e32 v27, vcc, v7, v4, vcc
	s_mul_i32 s10, s15, s9
	s_mul_hi_u32 s11, s14, s9
	v_add_co_u32_e32 v7, vcc, 7, v9
	s_add_i32 s11, s11, s10
	s_mul_i32 s10, s14, s9
	v_addc_co_u32_e32 v8, vcc, 0, v10, vcc
	s_lshl_b64 s[28:29], s[10:11], 2
	v_mul_lo_u32 v12, s15, v7
	v_mul_lo_u32 v13, s14, v8
	v_mad_u64_u32 v[7:8], s[10:11], s14, v7, 0
	v_mov_b32_e32 v11, s19
	v_add_co_u32_e32 v28, vcc, s18, v3
	v_add3_u32 v8, v8, v13, v12
	v_addc_co_u32_e32 v29, vcc, v11, v4, vcc
	v_lshlrev_b64 v[3:4], 2, v[7:8]
	v_mov_b32_e32 v7, s17
	v_add_co_u32_e32 v30, vcc, s16, v3
	v_addc_co_u32_e32 v31, vcc, v7, v4, vcc
	v_add_co_u32_e32 v7, vcc, 6, v9
	v_addc_co_u32_e32 v8, vcc, 0, v10, vcc
	v_mul_lo_u32 v12, s15, v7
	v_mul_lo_u32 v13, s14, v8
	v_mad_u64_u32 v[7:8], s[10:11], s14, v7, 0
	v_add_co_u32_e32 v32, vcc, s18, v3
	v_add3_u32 v8, v8, v13, v12
	v_addc_co_u32_e32 v33, vcc, v11, v4, vcc
	v_lshlrev_b64 v[3:4], 2, v[7:8]
	v_mov_b32_e32 v7, s17
	v_add_co_u32_e32 v34, vcc, s16, v3
	v_addc_co_u32_e32 v35, vcc, v7, v4, vcc
	v_add_co_u32_e32 v7, vcc, 5, v9
	v_addc_co_u32_e32 v8, vcc, 0, v10, vcc
	v_mul_lo_u32 v12, s15, v7
	v_mul_lo_u32 v13, s14, v8
	v_mad_u64_u32 v[7:8], s[10:11], s14, v7, 0
	v_add_co_u32_e32 v36, vcc, s18, v3
	v_add3_u32 v8, v8, v13, v12
	v_addc_co_u32_e32 v37, vcc, v11, v4, vcc
	v_lshlrev_b64 v[3:4], 2, v[7:8]
	v_mov_b32_e32 v7, s17
	v_add_co_u32_e32 v38, vcc, s16, v3
	v_addc_co_u32_e32 v39, vcc, v7, v4, vcc
	v_add_co_u32_e32 v7, vcc, 4, v9
	v_addc_co_u32_e32 v8, vcc, 0, v10, vcc
	v_mul_lo_u32 v12, s15, v7
	v_mul_lo_u32 v13, s14, v8
	v_mad_u64_u32 v[7:8], s[10:11], s14, v7, 0
	v_add_co_u32_e32 v40, vcc, s18, v3
	v_add3_u32 v8, v8, v13, v12
	v_addc_co_u32_e32 v41, vcc, v11, v4, vcc
	v_lshlrev_b64 v[3:4], 2, v[7:8]
	v_mov_b32_e32 v7, s17
	v_add_co_u32_e32 v42, vcc, s16, v3
	v_addc_co_u32_e32 v43, vcc, v7, v4, vcc
	v_add_co_u32_e32 v7, vcc, 3, v9
	v_addc_co_u32_e32 v8, vcc, 0, v10, vcc
	v_mul_lo_u32 v12, s15, v7
	v_mul_lo_u32 v13, s14, v8
	v_mad_u64_u32 v[7:8], s[10:11], s14, v7, 0
	v_add_co_u32_e32 v44, vcc, s18, v3
	v_add3_u32 v8, v8, v13, v12
	v_addc_co_u32_e32 v45, vcc, v11, v4, vcc
	v_lshlrev_b64 v[3:4], 2, v[7:8]
	v_mov_b32_e32 v7, s17
	v_add_co_u32_e32 v46, vcc, s16, v3
	v_addc_co_u32_e32 v47, vcc, v7, v4, vcc
	v_add_co_u32_e32 v7, vcc, 2, v9
	v_addc_co_u32_e32 v8, vcc, 0, v10, vcc
	v_mul_lo_u32 v9, s15, v7
	v_mul_lo_u32 v10, s14, v8
	v_mad_u64_u32 v[7:8], s[10:11], s14, v7, 0
	v_add_co_u32_e32 v48, vcc, s18, v3
	v_add3_u32 v8, v8, v10, v9
	v_addc_co_u32_e32 v49, vcc, v11, v4, vcc
	v_lshlrev_b64 v[3:4], 2, v[7:8]
	v_mov_b32_e32 v7, s17
	v_add_co_u32_e32 v50, vcc, s16, v3
	v_addc_co_u32_e32 v51, vcc, v7, v4, vcc
	v_mov_b32_e32 v7, s19
	v_add_co_u32_e32 v52, vcc, s18, v3
	v_addc_co_u32_e32 v53, vcc, v7, v4, vcc
	;; [unrolled: 3-line block ×3, first 2 shown]
	v_lshlrev_b64 v[3:4], 2, v[3:4]
	v_mov_b32_e32 v5, s17
	v_add_co_u32_e32 v54, vcc, s16, v3
	v_addc_co_u32_e32 v55, vcc, v5, v4, vcc
	v_add_co_u32_e32 v56, vcc, s18, v3
	v_mbcnt_lo_u32_b32 v3, -1, 0
	v_mbcnt_hi_u32_b32 v3, -1, v3
	v_mov_b32_e32 v5, s19
	v_lshlrev_b32_e32 v3, 2, v3
	v_mov_b32_e32 v25, v2
	s_mov_b64 s[30:31], 7
	v_addc_co_u32_e32 v58, vcc, v5, v4, vcc
	v_and_b32_e32 v59, 0x100, v3
	v_mov_b32_e32 v60, 0
	v_mov_b32_e32 v19, 0
	s_mov_b64 s[34:35], s[24:25]
.LBB53_3:                               ; =>This Inner Loop Header: Depth=1
	s_add_u32 s10, s24, s30
	v_mov_b32_e32 v3, s12
	s_addc_u32 s11, 0, s31
	v_mov_b32_e32 v4, s13
	v_cmp_ge_i64_e32 vcc, s[10:11], v[3:4]
	v_add_co_u32_e64 v22, s[10:11], s24, v24
	v_addc_co_u32_e64 v23, s[10:11], 0, v25, s[10:11]
	s_mov_b64 s[10:11], -1
	s_and_b64 vcc, exec, vcc
                                        ; implicit-def: $vgpr3_vgpr4_vgpr5_vgpr6_vgpr7_vgpr8_vgpr9_vgpr10
                                        ; implicit-def: $vgpr63
                                        ; implicit-def: $vgpr11_vgpr12_vgpr13_vgpr14_vgpr15_vgpr16_vgpr17_vgpr18
                                        ; implicit-def: $vgpr3
                                        ; implicit-def: $vgpr4
                                        ; implicit-def: $vgpr57
	s_cbranch_vccz .LBB53_25
; %bb.4:                                ;   in Loop: Header=BB53_3 Depth=1
	s_load_dword s10, s[26:27], 0xc
	v_mov_b32_e32 v61, 0
	v_mov_b32_e32 v62, 0
	s_waitcnt lgkmcnt(0)
	s_and_b32 s10, s10, 0xffff
	v_mad_u32_u24 v3, v1, s10, v0
	v_and_b32_e32 v3, 63, v3
	v_cmp_gt_u32_e32 vcc, 8, v3
	s_and_saveexec_b64 s[10:11], vcc
	s_cbranch_execz .LBB53_8
; %bb.5:                                ;   in Loop: Header=BB53_3 Depth=1
	v_add_co_u32_e32 v3, vcc, v22, v3
	v_addc_co_u32_e32 v4, vcc, 0, v23, vcc
	v_cmp_gt_i64_e32 vcc, s[12:13], v[3:4]
	v_mov_b32_e32 v62, 0
	v_mov_b32_e32 v61, 0
	s_and_saveexec_b64 s[36:37], vcc
	s_cbranch_execz .LBB53_7
; %bb.6:                                ;   in Loop: Header=BB53_3 Depth=1
	v_lshlrev_b64 v[3:4], 2, v[3:4]
	v_mov_b32_e32 v6, s23
	v_add_co_u32_e32 v5, vcc, s22, v3
	v_addc_co_u32_e32 v6, vcc, v6, v4, vcc
	v_mov_b32_e32 v7, s21
	v_add_co_u32_e32 v3, vcc, s20, v3
	v_addc_co_u32_e32 v4, vcc, v7, v4, vcc
	global_load_dword v62, v[3:4], off
	global_load_dword v61, v[5:6], off
.LBB53_7:                               ;   in Loop: Header=BB53_3 Depth=1
	s_or_b64 exec, exec, s[36:37]
.LBB53_8:                               ;   in Loop: Header=BB53_3 Depth=1
	s_or_b64 exec, exec, s[10:11]
	v_mov_b32_e32 v9, v2
	v_cmp_gt_i64_e32 vcc, s[12:13], v[22:23]
	v_mov_b32_e32 v3, v2
	v_mov_b32_e32 v4, v2
	v_mov_b32_e32 v5, v2
	v_mov_b32_e32 v6, v2
	v_mov_b32_e32 v7, v2
	v_mov_b32_e32 v8, v2
	v_mov_b32_e32 v18, v9
	v_mov_b32_e32 v17, v8
	v_mov_b32_e32 v16, v7
	v_mov_b32_e32 v15, v6
	v_mov_b32_e32 v14, v5
	v_mov_b32_e32 v13, v4
	v_mov_b32_e32 v12, v3
	v_mov_b32_e32 v11, v2
	v_mov_b32_e32 v10, v9
	s_and_b64 s[36:37], s[2:3], vcc
	v_mov_b32_e32 v9, v8
	v_mov_b32_e32 v8, v7
	;; [unrolled: 1-line block ×7, first 2 shown]
	s_and_saveexec_b64 s[10:11], s[36:37]
	s_cbranch_execz .LBB53_10
; %bb.9:                                ;   in Loop: Header=BB53_3 Depth=1
	v_add_co_u32_e32 v3, vcc, v26, v20
	v_addc_co_u32_e32 v4, vcc, v27, v21, vcc
	global_load_dword v3, v[3:4], off
	v_add_co_u32_e32 v4, vcc, v28, v20
	v_addc_co_u32_e32 v5, vcc, v29, v21, vcc
	global_load_dword v11, v[4:5], off
	v_mov_b32_e32 v4, v2
	v_mov_b32_e32 v5, v2
	;; [unrolled: 1-line block ×14, first 2 shown]
.LBB53_10:                              ;   in Loop: Header=BB53_3 Depth=1
	s_or_b64 exec, exec, s[10:11]
	v_add_co_u32_e32 v63, vcc, 1, v22
	v_addc_co_u32_e32 v64, vcc, 0, v23, vcc
	v_cmp_gt_i64_e32 vcc, s[12:13], v[63:64]
	s_and_b64 s[36:37], s[2:3], vcc
	s_and_saveexec_b64 s[10:11], s[36:37]
	s_cbranch_execz .LBB53_12
; %bb.11:                               ;   in Loop: Header=BB53_3 Depth=1
	v_add_co_u32_e32 v63, vcc, v54, v20
	v_addc_co_u32_e32 v64, vcc, v55, v21, vcc
	global_load_dword v4, v[63:64], off
	v_add_co_u32_e32 v63, vcc, v56, v20
	v_addc_co_u32_e32 v64, vcc, v58, v21, vcc
	global_load_dword v12, v[63:64], off
.LBB53_12:                              ;   in Loop: Header=BB53_3 Depth=1
	s_or_b64 exec, exec, s[10:11]
	v_add_co_u32_e32 v63, vcc, 2, v22
	v_addc_co_u32_e32 v64, vcc, 0, v23, vcc
	v_cmp_gt_i64_e32 vcc, s[12:13], v[63:64]
	s_and_b64 s[36:37], s[2:3], vcc
	s_and_saveexec_b64 s[10:11], s[36:37]
	s_cbranch_execz .LBB53_14
; %bb.13:                               ;   in Loop: Header=BB53_3 Depth=1
	v_add_co_u32_e32 v63, vcc, v50, v20
	v_addc_co_u32_e32 v64, vcc, v51, v21, vcc
	global_load_dword v5, v[63:64], off
	v_add_co_u32_e32 v63, vcc, v52, v20
	v_addc_co_u32_e32 v64, vcc, v53, v21, vcc
	global_load_dword v13, v[63:64], off
.LBB53_14:                              ;   in Loop: Header=BB53_3 Depth=1
	s_or_b64 exec, exec, s[10:11]
	v_add_co_u32_e32 v63, vcc, 3, v22
	v_addc_co_u32_e32 v64, vcc, 0, v23, vcc
	v_cmp_gt_i64_e32 vcc, s[12:13], v[63:64]
	s_and_b64 s[36:37], s[2:3], vcc
	s_and_saveexec_b64 s[10:11], s[36:37]
	s_cbranch_execz .LBB53_16
; %bb.15:                               ;   in Loop: Header=BB53_3 Depth=1
	v_add_co_u32_e32 v63, vcc, v46, v20
	v_addc_co_u32_e32 v64, vcc, v47, v21, vcc
	global_load_dword v6, v[63:64], off
	v_add_co_u32_e32 v63, vcc, v48, v20
	v_addc_co_u32_e32 v64, vcc, v49, v21, vcc
	global_load_dword v14, v[63:64], off
.LBB53_16:                              ;   in Loop: Header=BB53_3 Depth=1
	s_or_b64 exec, exec, s[10:11]
	v_add_co_u32_e32 v63, vcc, 4, v22
	v_addc_co_u32_e32 v64, vcc, 0, v23, vcc
	v_cmp_gt_i64_e32 vcc, s[12:13], v[63:64]
	s_and_b64 s[36:37], s[2:3], vcc
	s_and_saveexec_b64 s[10:11], s[36:37]
	s_cbranch_execz .LBB53_18
; %bb.17:                               ;   in Loop: Header=BB53_3 Depth=1
	v_add_co_u32_e32 v63, vcc, v42, v20
	v_addc_co_u32_e32 v64, vcc, v43, v21, vcc
	global_load_dword v7, v[63:64], off
	v_add_co_u32_e32 v63, vcc, v44, v20
	v_addc_co_u32_e32 v64, vcc, v45, v21, vcc
	global_load_dword v15, v[63:64], off
.LBB53_18:                              ;   in Loop: Header=BB53_3 Depth=1
	s_or_b64 exec, exec, s[10:11]
	v_add_co_u32_e32 v63, vcc, 5, v22
	v_addc_co_u32_e32 v64, vcc, 0, v23, vcc
	v_cmp_gt_i64_e32 vcc, s[12:13], v[63:64]
	s_and_b64 s[36:37], s[2:3], vcc
	s_and_saveexec_b64 s[10:11], s[36:37]
	s_cbranch_execz .LBB53_20
; %bb.19:                               ;   in Loop: Header=BB53_3 Depth=1
	v_add_co_u32_e32 v63, vcc, v38, v20
	v_addc_co_u32_e32 v64, vcc, v39, v21, vcc
	global_load_dword v8, v[63:64], off
	v_add_co_u32_e32 v63, vcc, v40, v20
	v_addc_co_u32_e32 v64, vcc, v41, v21, vcc
	global_load_dword v16, v[63:64], off
.LBB53_20:                              ;   in Loop: Header=BB53_3 Depth=1
	s_or_b64 exec, exec, s[10:11]
	v_add_co_u32_e32 v63, vcc, 6, v22
	v_addc_co_u32_e32 v64, vcc, 0, v23, vcc
	v_cmp_gt_i64_e32 vcc, s[12:13], v[63:64]
	s_and_b64 s[36:37], s[2:3], vcc
	s_and_saveexec_b64 s[10:11], s[36:37]
	s_cbranch_execz .LBB53_22
; %bb.21:                               ;   in Loop: Header=BB53_3 Depth=1
	v_add_co_u32_e32 v63, vcc, v34, v20
	v_addc_co_u32_e32 v64, vcc, v35, v21, vcc
	global_load_dword v9, v[63:64], off
	v_add_co_u32_e32 v63, vcc, v36, v20
	v_addc_co_u32_e32 v64, vcc, v37, v21, vcc
	global_load_dword v17, v[63:64], off
.LBB53_22:                              ;   in Loop: Header=BB53_3 Depth=1
	s_or_b64 exec, exec, s[10:11]
	v_add_co_u32_e32 v63, vcc, 7, v22
	v_addc_co_u32_e32 v64, vcc, 0, v23, vcc
	v_cmp_gt_i64_e32 vcc, s[12:13], v[63:64]
	s_and_b64 s[36:37], s[2:3], vcc
	s_and_saveexec_b64 s[10:11], s[36:37]
	s_cbranch_execz .LBB53_24
; %bb.23:                               ;   in Loop: Header=BB53_3 Depth=1
	v_add_co_u32_e32 v63, vcc, v30, v20
	v_addc_co_u32_e32 v64, vcc, v31, v21, vcc
	global_load_dword v10, v[63:64], off
	v_add_co_u32_e32 v63, vcc, v32, v20
	v_addc_co_u32_e32 v64, vcc, v33, v21, vcc
	global_load_dword v18, v[63:64], off
.LBB53_24:                              ;   in Loop: Header=BB53_3 Depth=1
	s_or_b64 exec, exec, s[10:11]
	s_waitcnt vmcnt(1)
	ds_bpermute_b32 v57, v59, v62
	s_waitcnt vmcnt(0)
	ds_bpermute_b32 v63, v59, v61
	ds_bpermute_b32 v65, v59, v62 offset:4
	ds_bpermute_b32 v66, v59, v61 offset:4
	v_add_f32_e32 v64, v19, v3
	s_waitcnt lgkmcnt(3)
	v_sub_f32_e32 v11, v11, v57
	v_mul_f32_e32 v3, v3, v11
	s_waitcnt lgkmcnt(2)
	v_fma_f32 v57, v3, v63, v60
	s_waitcnt lgkmcnt(1)
	v_sub_f32_e32 v3, v12, v65
	ds_bpermute_b32 v11, v59, v62 offset:8
	v_mul_f32_e32 v3, v4, v3
	s_waitcnt lgkmcnt(1)
	v_fmac_f32_e32 v57, v3, v66
	ds_bpermute_b32 v3, v59, v61 offset:8
	ds_bpermute_b32 v12, v59, v62 offset:12
	s_waitcnt lgkmcnt(2)
	v_sub_f32_e32 v11, v13, v11
	v_mul_f32_e32 v11, v5, v11
	v_add_f32_e32 v4, v4, v64
	s_waitcnt lgkmcnt(1)
	v_fmac_f32_e32 v57, v11, v3
	ds_bpermute_b32 v3, v59, v61 offset:12
	v_add_f32_e32 v4, v5, v4
	s_waitcnt lgkmcnt(1)
	v_sub_f32_e32 v5, v14, v12
	ds_bpermute_b32 v11, v59, v62 offset:16
	v_mul_f32_e32 v5, v6, v5
	s_waitcnt lgkmcnt(1)
	v_fmac_f32_e32 v57, v5, v3
	ds_bpermute_b32 v3, v59, v61 offset:16
	v_add_f32_e32 v4, v6, v4
	s_waitcnt lgkmcnt(1)
	v_sub_f32_e32 v5, v15, v11
	ds_bpermute_b32 v6, v59, v62 offset:20
	v_mul_f32_e32 v5, v7, v5
	s_waitcnt lgkmcnt(1)
	v_fmac_f32_e32 v57, v5, v3
	ds_bpermute_b32 v3, v59, v61 offset:20
	ds_bpermute_b32 v63, v59, v61 offset:28
	s_waitcnt lgkmcnt(2)
	v_sub_f32_e32 v5, v16, v6
	ds_bpermute_b32 v6, v59, v62 offset:24
	v_mul_f32_e32 v5, v8, v5
	s_waitcnt lgkmcnt(2)
	v_fmac_f32_e32 v57, v5, v3
	ds_bpermute_b32 v5, v59, v61 offset:24
	ds_bpermute_b32 v3, v59, v62 offset:28
	v_add_f32_e32 v4, v7, v4
	s_waitcnt lgkmcnt(2)
	v_sub_f32_e32 v6, v17, v6
	v_add_f32_e32 v4, v8, v4
	v_mul_f32_e32 v6, v9, v6
	s_waitcnt lgkmcnt(1)
	v_fmac_f32_e32 v57, v6, v5
	v_add_f32_e32 v4, v9, v4
	s_mov_b64 s[10:11], 0
.LBB53_25:                              ;   in Loop: Header=BB53_3 Depth=1
	s_and_b64 vcc, exec, s[10:11]
	s_cbranch_vccz .LBB53_40
; %bb.26:                               ;   in Loop: Header=BB53_3 Depth=1
	s_load_dword s10, s[26:27], 0x0
	v_mov_b32_e32 v57, 0
	v_mov_b32_e32 v61, 0
	s_waitcnt lgkmcnt(0)
	s_cmp_lt_u32 s6, s10
	s_cselect_b32 s10, 12, 18
	s_add_u32 s10, s26, s10
	s_addc_u32 s11, s27, 0
	global_load_ushort v3, v2, s[10:11]
	s_waitcnt vmcnt(0)
	v_mad_u32_u24 v3, v1, v3, v0
	v_and_b32_e32 v3, 63, v3
	v_cmp_gt_u32_e32 vcc, 8, v3
	s_and_saveexec_b64 s[10:11], vcc
	s_cbranch_execz .LBB53_30
; %bb.27:                               ;   in Loop: Header=BB53_3 Depth=1
	v_add_co_u32_e32 v3, vcc, v22, v3
	v_addc_co_u32_e32 v4, vcc, 0, v23, vcc
	v_cmp_gt_i64_e32 vcc, s[12:13], v[3:4]
	v_mov_b32_e32 v61, 0
	v_mov_b32_e32 v57, 0
	s_and_saveexec_b64 s[36:37], vcc
	s_cbranch_execz .LBB53_29
; %bb.28:                               ;   in Loop: Header=BB53_3 Depth=1
	v_lshlrev_b64 v[3:4], 2, v[3:4]
	v_mov_b32_e32 v6, s23
	v_add_co_u32_e32 v5, vcc, s22, v3
	v_addc_co_u32_e32 v6, vcc, v6, v4, vcc
	v_mov_b32_e32 v7, s21
	v_add_co_u32_e32 v3, vcc, s20, v3
	v_addc_co_u32_e32 v4, vcc, v7, v4, vcc
	global_load_dword v61, v[3:4], off
	global_load_dword v57, v[5:6], off
.LBB53_29:                              ;   in Loop: Header=BB53_3 Depth=1
	s_or_b64 exec, exec, s[36:37]
.LBB53_30:                              ;   in Loop: Header=BB53_3 Depth=1
	s_or_b64 exec, exec, s[10:11]
	v_mov_b32_e32 v9, v2
	v_mov_b32_e32 v3, v2
	;; [unrolled: 1-line block ×23, first 2 shown]
	s_and_saveexec_b64 s[10:11], s[2:3]
	s_cbranch_execnz .LBB53_42
; %bb.31:                               ;   in Loop: Header=BB53_3 Depth=1
	s_or_b64 exec, exec, s[10:11]
	s_and_saveexec_b64 s[10:11], s[2:3]
	s_cbranch_execnz .LBB53_43
.LBB53_32:                              ;   in Loop: Header=BB53_3 Depth=1
	s_or_b64 exec, exec, s[10:11]
	s_and_saveexec_b64 s[10:11], s[2:3]
	s_cbranch_execnz .LBB53_44
.LBB53_33:                              ;   in Loop: Header=BB53_3 Depth=1
	s_or_b64 exec, exec, s[10:11]
	s_and_saveexec_b64 s[10:11], s[2:3]
	s_cbranch_execnz .LBB53_45
.LBB53_34:                              ;   in Loop: Header=BB53_3 Depth=1
	s_or_b64 exec, exec, s[10:11]
	s_and_saveexec_b64 s[10:11], s[2:3]
	s_cbranch_execnz .LBB53_46
.LBB53_35:                              ;   in Loop: Header=BB53_3 Depth=1
	s_or_b64 exec, exec, s[10:11]
	s_and_saveexec_b64 s[10:11], s[2:3]
	s_cbranch_execnz .LBB53_47
.LBB53_36:                              ;   in Loop: Header=BB53_3 Depth=1
	s_or_b64 exec, exec, s[10:11]
	s_and_saveexec_b64 s[10:11], s[2:3]
	s_cbranch_execnz .LBB53_48
.LBB53_37:                              ;   in Loop: Header=BB53_3 Depth=1
	s_or_b64 exec, exec, s[10:11]
	s_and_saveexec_b64 s[10:11], s[2:3]
	s_cbranch_execz .LBB53_39
.LBB53_38:                              ;   in Loop: Header=BB53_3 Depth=1
	v_add_co_u32_e32 v22, vcc, v30, v20
	v_addc_co_u32_e32 v23, vcc, v31, v21, vcc
	global_load_dword v10, v[22:23], off
	v_add_co_u32_e32 v22, vcc, v32, v20
	v_addc_co_u32_e32 v23, vcc, v33, v21, vcc
	global_load_dword v18, v[22:23], off
.LBB53_39:                              ;   in Loop: Header=BB53_3 Depth=1
	s_or_b64 exec, exec, s[10:11]
	s_waitcnt vmcnt(1)
	ds_bpermute_b32 v22, v59, v61
	s_waitcnt vmcnt(0)
	ds_bpermute_b32 v23, v59, v57
	ds_bpermute_b32 v62, v59, v61 offset:4
	ds_bpermute_b32 v63, v59, v57 offset:4
	v_add_f32_e32 v19, v19, v3
	s_waitcnt lgkmcnt(3)
	v_sub_f32_e32 v11, v11, v22
	v_mul_f32_e32 v3, v3, v11
	s_waitcnt lgkmcnt(2)
	v_fmac_f32_e32 v60, v3, v23
	s_waitcnt lgkmcnt(1)
	v_sub_f32_e32 v3, v12, v62
	ds_bpermute_b32 v11, v59, v61 offset:8
	v_mul_f32_e32 v3, v4, v3
	s_waitcnt lgkmcnt(1)
	v_fmac_f32_e32 v60, v3, v63
	ds_bpermute_b32 v3, v59, v57 offset:8
	ds_bpermute_b32 v12, v59, v61 offset:12
	s_waitcnt lgkmcnt(2)
	v_sub_f32_e32 v11, v13, v11
	v_mul_f32_e32 v11, v5, v11
	v_add_f32_e32 v4, v4, v19
	s_waitcnt lgkmcnt(1)
	v_fmac_f32_e32 v60, v11, v3
	ds_bpermute_b32 v3, v59, v57 offset:12
	v_add_f32_e32 v4, v5, v4
	s_waitcnt lgkmcnt(1)
	v_sub_f32_e32 v5, v14, v12
	ds_bpermute_b32 v11, v59, v61 offset:16
	v_mul_f32_e32 v5, v6, v5
	s_waitcnt lgkmcnt(1)
	v_fmac_f32_e32 v60, v5, v3
	ds_bpermute_b32 v3, v59, v57 offset:16
	v_add_f32_e32 v4, v6, v4
	s_waitcnt lgkmcnt(1)
	v_sub_f32_e32 v5, v15, v11
	ds_bpermute_b32 v6, v59, v61 offset:20
	v_mul_f32_e32 v5, v7, v5
	s_waitcnt lgkmcnt(1)
	v_fmac_f32_e32 v60, v5, v3
	ds_bpermute_b32 v3, v59, v57 offset:20
	ds_bpermute_b32 v63, v59, v57 offset:28
	s_waitcnt lgkmcnt(2)
	v_sub_f32_e32 v5, v16, v6
	ds_bpermute_b32 v6, v59, v61 offset:24
	v_mul_f32_e32 v5, v8, v5
	s_waitcnt lgkmcnt(2)
	v_fmac_f32_e32 v60, v5, v3
	ds_bpermute_b32 v5, v59, v57 offset:24
	ds_bpermute_b32 v3, v59, v61 offset:28
	s_waitcnt lgkmcnt(2)
	v_sub_f32_e32 v6, v17, v6
	v_add_f32_e32 v4, v7, v4
	v_mul_f32_e32 v6, v9, v6
	v_add_f32_e32 v4, v8, v4
	s_waitcnt lgkmcnt(1)
	v_fmac_f32_e32 v60, v6, v5
	v_add_f32_e32 v4, v9, v4
	v_mov_b32_e32 v57, v60
.LBB53_40:                              ;   in Loop: Header=BB53_3 Depth=1
	s_waitcnt lgkmcnt(0)
	v_sub_f32_e32 v3, v18, v3
	v_mul_f32_e32 v3, v10, v3
	v_fmac_f32_e32 v57, v3, v63
	v_mov_b32_e32 v3, s29
	v_add_co_u32_e32 v26, vcc, s28, v26
	v_addc_co_u32_e32 v27, vcc, v27, v3, vcc
	v_add_co_u32_e32 v28, vcc, s28, v28
	v_addc_co_u32_e32 v29, vcc, v29, v3, vcc
	v_add_co_u32_e32 v30, vcc, s28, v30
	v_addc_co_u32_e32 v31, vcc, v31, v3, vcc
	v_add_co_u32_e32 v32, vcc, s28, v32
	v_addc_co_u32_e32 v33, vcc, v33, v3, vcc
	v_add_co_u32_e32 v34, vcc, s28, v34
	v_addc_co_u32_e32 v35, vcc, v35, v3, vcc
	v_add_co_u32_e32 v36, vcc, s28, v36
	v_addc_co_u32_e32 v37, vcc, v37, v3, vcc
	v_add_co_u32_e32 v38, vcc, s28, v38
	v_addc_co_u32_e32 v39, vcc, v39, v3, vcc
	v_add_co_u32_e32 v40, vcc, s28, v40
	v_addc_co_u32_e32 v41, vcc, v41, v3, vcc
	v_add_co_u32_e32 v42, vcc, s28, v42
	v_addc_co_u32_e32 v43, vcc, v43, v3, vcc
	v_add_co_u32_e32 v44, vcc, s28, v44
	v_addc_co_u32_e32 v45, vcc, v45, v3, vcc
	v_add_co_u32_e32 v46, vcc, s28, v46
	v_addc_co_u32_e32 v47, vcc, v47, v3, vcc
	v_add_co_u32_e32 v48, vcc, s28, v48
	v_addc_co_u32_e32 v49, vcc, v49, v3, vcc
	v_add_co_u32_e32 v50, vcc, s28, v50
	v_addc_co_u32_e32 v51, vcc, v51, v3, vcc
	v_add_co_u32_e32 v52, vcc, s28, v52
	v_addc_co_u32_e32 v53, vcc, v53, v3, vcc
	v_add_co_u32_e32 v54, vcc, s28, v54
	v_addc_co_u32_e32 v55, vcc, v55, v3, vcc
	v_add_co_u32_e32 v56, vcc, s28, v56
	v_addc_co_u32_e32 v58, vcc, v58, v3, vcc
	v_add_f32_e32 v19, v4, v10
	s_add_u32 s34, s34, s9
	v_add_co_u32_e32 v24, vcc, s9, v24
	v_mov_b32_e32 v3, s12
	s_addc_u32 s35, s35, 0
	v_addc_co_u32_e32 v25, vcc, 0, v25, vcc
	v_mov_b32_e32 v4, s13
	v_cmp_lt_i64_e32 vcc, s[34:35], v[3:4]
	s_add_u32 s30, s30, s9
	s_addc_u32 s31, 0, s31
	s_cbranch_vccz .LBB53_50
; %bb.41:                               ;   in Loop: Header=BB53_3 Depth=1
	v_mov_b32_e32 v60, v57
	s_branch .LBB53_3
.LBB53_42:                              ;   in Loop: Header=BB53_3 Depth=1
	v_add_co_u32_e32 v3, vcc, v26, v20
	v_addc_co_u32_e32 v4, vcc, v27, v21, vcc
	global_load_dword v3, v[3:4], off
	v_add_co_u32_e32 v4, vcc, v28, v20
	v_addc_co_u32_e32 v5, vcc, v29, v21, vcc
	global_load_dword v11, v[4:5], off
	v_mov_b32_e32 v4, v2
	v_mov_b32_e32 v5, v2
	v_mov_b32_e32 v6, v2
	v_mov_b32_e32 v7, v2
	v_mov_b32_e32 v8, v2
	v_mov_b32_e32 v9, v2
	v_mov_b32_e32 v10, v2
	v_mov_b32_e32 v12, v2
	v_mov_b32_e32 v13, v2
	v_mov_b32_e32 v14, v2
	v_mov_b32_e32 v15, v2
	v_mov_b32_e32 v16, v2
	v_mov_b32_e32 v17, v2
	v_mov_b32_e32 v18, v2
	s_or_b64 exec, exec, s[10:11]
	s_and_saveexec_b64 s[10:11], s[2:3]
	s_cbranch_execz .LBB53_32
.LBB53_43:                              ;   in Loop: Header=BB53_3 Depth=1
	v_add_co_u32_e32 v22, vcc, v54, v20
	v_addc_co_u32_e32 v23, vcc, v55, v21, vcc
	global_load_dword v4, v[22:23], off
	v_add_co_u32_e32 v22, vcc, v56, v20
	v_addc_co_u32_e32 v23, vcc, v58, v21, vcc
	global_load_dword v12, v[22:23], off
	s_or_b64 exec, exec, s[10:11]
	s_and_saveexec_b64 s[10:11], s[2:3]
	s_cbranch_execz .LBB53_33
.LBB53_44:                              ;   in Loop: Header=BB53_3 Depth=1
	v_add_co_u32_e32 v22, vcc, v50, v20
	v_addc_co_u32_e32 v23, vcc, v51, v21, vcc
	global_load_dword v5, v[22:23], off
	v_add_co_u32_e32 v22, vcc, v52, v20
	v_addc_co_u32_e32 v23, vcc, v53, v21, vcc
	global_load_dword v13, v[22:23], off
	s_or_b64 exec, exec, s[10:11]
	s_and_saveexec_b64 s[10:11], s[2:3]
	s_cbranch_execz .LBB53_34
.LBB53_45:                              ;   in Loop: Header=BB53_3 Depth=1
	v_add_co_u32_e32 v22, vcc, v46, v20
	v_addc_co_u32_e32 v23, vcc, v47, v21, vcc
	global_load_dword v6, v[22:23], off
	v_add_co_u32_e32 v22, vcc, v48, v20
	v_addc_co_u32_e32 v23, vcc, v49, v21, vcc
	global_load_dword v14, v[22:23], off
	s_or_b64 exec, exec, s[10:11]
	s_and_saveexec_b64 s[10:11], s[2:3]
	s_cbranch_execz .LBB53_35
.LBB53_46:                              ;   in Loop: Header=BB53_3 Depth=1
	v_add_co_u32_e32 v22, vcc, v42, v20
	v_addc_co_u32_e32 v23, vcc, v43, v21, vcc
	global_load_dword v7, v[22:23], off
	v_add_co_u32_e32 v22, vcc, v44, v20
	v_addc_co_u32_e32 v23, vcc, v45, v21, vcc
	global_load_dword v15, v[22:23], off
	s_or_b64 exec, exec, s[10:11]
	s_and_saveexec_b64 s[10:11], s[2:3]
	s_cbranch_execz .LBB53_36
.LBB53_47:                              ;   in Loop: Header=BB53_3 Depth=1
	v_add_co_u32_e32 v22, vcc, v38, v20
	v_addc_co_u32_e32 v23, vcc, v39, v21, vcc
	global_load_dword v8, v[22:23], off
	v_add_co_u32_e32 v22, vcc, v40, v20
	v_addc_co_u32_e32 v23, vcc, v41, v21, vcc
	global_load_dword v16, v[22:23], off
	s_or_b64 exec, exec, s[10:11]
	s_and_saveexec_b64 s[10:11], s[2:3]
	s_cbranch_execz .LBB53_37
.LBB53_48:                              ;   in Loop: Header=BB53_3 Depth=1
	v_add_co_u32_e32 v22, vcc, v34, v20
	v_addc_co_u32_e32 v23, vcc, v35, v21, vcc
	global_load_dword v9, v[22:23], off
	v_add_co_u32_e32 v22, vcc, v36, v20
	v_addc_co_u32_e32 v23, vcc, v37, v21, vcc
	global_load_dword v17, v[22:23], off
	s_or_b64 exec, exec, s[10:11]
	s_and_saveexec_b64 s[10:11], s[2:3]
	s_cbranch_execnz .LBB53_38
	s_branch .LBB53_39
.LBB53_49:
                                        ; implicit-def: $vgpr19
                                        ; implicit-def: $vgpr57
	s_branch .LBB53_51
.LBB53_50:
	s_cbranch_execnz .LBB53_82
.LBB53_51:
	v_mov_b32_e32 v19, 0
	s_and_b64 vcc, exec, s[0:1]
	v_mov_b32_e32 v57, 0
	s_cbranch_vccnz .LBB53_82
; %bb.52:
	v_lshlrev_b32_e32 v52, 3, v1
	v_add_co_u32_e32 v8, vcc, s24, v52
	v_addc_co_u32_e64 v9, s[0:1], 0, 0, vcc
	v_mul_lo_u32 v4, s15, v8
	v_mul_lo_u32 v5, s14, v9
	v_mad_u64_u32 v[2:3], s[0:1], s14, v8, 0
	v_mov_b32_e32 v6, s17
	s_add_u32 s2, s4, 64
	v_add3_u32 v3, v3, v5, v4
	v_lshlrev_b64 v[4:5], 2, v[2:3]
	s_addc_u32 s3, s5, 0
	v_add_co_u32_e32 v53, vcc, s16, v4
	v_addc_co_u32_e32 v54, vcc, v6, v5, vcc
	v_mov_b32_e32 v6, s19
	v_add_co_u32_e32 v55, vcc, s18, v4
	v_addc_co_u32_e32 v56, vcc, v6, v5, vcc
	v_lshlrev_b32_e32 v4, 5, v1
	s_lshl_b64 s[0:1], s[24:25], 2
	v_mov_b32_e32 v5, s1
	v_add_co_u32_e32 v10, vcc, s0, v4
	v_addc_co_u32_e32 v11, vcc, 0, v5, vcc
	v_add_co_u32_e32 v12, vcc, 4, v10
	v_addc_co_u32_e32 v6, vcc, 0, v11, vcc
	v_mov_b32_e32 v4, s16
	v_mul_lo_u32 v14, s14, v6
	v_mov_b32_e32 v6, s18
	v_mov_b32_e32 v5, s17
	;; [unrolled: 1-line block ×3, first 2 shown]
	v_mad_u64_u32 v[20:21], s[0:1], s14, v12, v[4:5]
	v_mul_lo_u32 v15, s15, v12
	v_mad_u64_u32 v[22:23], s[0:1], s14, v12, v[6:7]
	v_add_co_u32_e32 v12, vcc, 8, v10
	v_addc_co_u32_e32 v16, vcc, 0, v11, vcc
	v_mov_b32_e32 v13, s15
	v_add_co_u32_e32 v2, vcc, s14, v2
	v_addc_co_u32_e32 v3, vcc, v3, v13, vcc
	v_mul_lo_u32 v17, s15, v12
	v_mad_u64_u32 v[24:25], s[0:1], s14, v12, v[4:5]
	v_mad_u64_u32 v[26:27], s[0:1], s14, v12, v[6:7]
	v_add_co_u32_e32 v12, vcc, 12, v10
	v_addc_co_u32_e32 v13, vcc, 0, v11, vcc
	v_add3_u32 v21, v15, v21, v14
	v_add3_u32 v23, v15, v23, v14
	v_mul_lo_u32 v13, s14, v13
	v_mul_lo_u32 v14, s15, v12
	v_mad_u64_u32 v[28:29], s[0:1], s14, v12, v[4:5]
	v_mad_u64_u32 v[30:31], s[0:1], s14, v12, v[6:7]
	v_add_co_u32_e32 v12, vcc, 16, v10
	v_mul_lo_u32 v16, s14, v16
	v_addc_co_u32_e32 v15, vcc, 0, v11, vcc
	v_mul_lo_u32 v18, s15, v12
	v_mad_u64_u32 v[32:33], s[0:1], s14, v12, v[4:5]
	v_mad_u64_u32 v[34:35], s[0:1], s14, v12, v[6:7]
	v_add_co_u32_e32 v12, vcc, 20, v10
	v_add3_u32 v29, v14, v29, v13
	v_add3_u32 v31, v14, v31, v13
	v_addc_co_u32_e32 v13, vcc, 0, v11, vcc
	v_mul_lo_u32 v14, s15, v12
	v_mad_u64_u32 v[36:37], s[0:1], s14, v12, v[4:5]
	v_mad_u64_u32 v[38:39], s[0:1], s14, v12, v[6:7]
	v_add_co_u32_e32 v12, vcc, 24, v10
	v_add3_u32 v25, v17, v25, v16
	v_add3_u32 v27, v17, v27, v16
	v_addc_co_u32_e32 v16, vcc, 0, v11, vcc
	v_add_co_u32_e32 v10, vcc, 28, v10
	v_addc_co_u32_e32 v11, vcc, 0, v11, vcc
	v_mad_u64_u32 v[40:41], s[0:1], s14, v12, v[4:5]
	v_mad_u64_u32 v[44:45], s[0:1], s14, v10, v[4:5]
	v_add_co_u32_e32 v4, vcc, 7, v8
	v_addc_co_u32_e32 v5, vcc, 0, v9, vcc
	v_mad_u64_u32 v[42:43], s[0:1], s14, v12, v[6:7]
	v_mad_u64_u32 v[46:47], s[0:1], s14, v10, v[6:7]
	v_mul_lo_u32 v6, s15, v10
	v_mul_lo_u32 v7, s14, v5
	;; [unrolled: 1-line block ×3, first 2 shown]
	v_mad_u64_u32 v[4:5], s[0:1], s14, v4, 0
	v_mul_lo_u32 v11, s14, v11
	v_mul_lo_u32 v17, s15, v12
	v_add3_u32 v5, v5, v7, v10
	v_lshlrev_b64 v[4:5], 2, v[4:5]
	v_add3_u32 v45, v6, v45, v11
	v_add3_u32 v47, v6, v47, v11
	v_mov_b32_e32 v6, s17
	v_add_co_u32_e32 v58, vcc, s16, v4
	v_addc_co_u32_e32 v59, vcc, v6, v5, vcc
	v_add_co_u32_e32 v6, vcc, 6, v8
	v_addc_co_u32_e32 v7, vcc, 0, v9, vcc
	v_mul_lo_u32 v11, s14, v7
	v_mul_lo_u32 v12, s15, v6
	v_mad_u64_u32 v[6:7], s[0:1], s14, v6, 0
	v_mov_b32_e32 v10, s19
	v_add_co_u32_e32 v60, vcc, s18, v4
	v_add3_u32 v7, v7, v11, v12
	v_addc_co_u32_e32 v61, vcc, v10, v5, vcc
	v_lshlrev_b64 v[4:5], 2, v[6:7]
	v_mov_b32_e32 v6, s17
	v_add_co_u32_e32 v62, vcc, s16, v4
	v_addc_co_u32_e32 v63, vcc, v6, v5, vcc
	v_add_co_u32_e32 v6, vcc, 5, v8
	v_addc_co_u32_e32 v7, vcc, 0, v9, vcc
	v_mul_lo_u32 v11, s14, v7
	v_mul_lo_u32 v12, s15, v6
	v_mad_u64_u32 v[6:7], s[0:1], s14, v6, 0
	v_add_co_u32_e32 v64, vcc, s18, v4
	v_add3_u32 v7, v7, v11, v12
	v_addc_co_u32_e32 v65, vcc, v10, v5, vcc
	v_lshlrev_b64 v[4:5], 2, v[6:7]
	v_mov_b32_e32 v6, s17
	v_add_co_u32_e32 v66, vcc, s16, v4
	v_addc_co_u32_e32 v67, vcc, v6, v5, vcc
	v_add_co_u32_e32 v6, vcc, 4, v8
	v_addc_co_u32_e32 v7, vcc, 0, v9, vcc
	v_mul_lo_u32 v11, s14, v7
	v_mul_lo_u32 v12, s15, v6
	v_mad_u64_u32 v[6:7], s[0:1], s14, v6, 0
	;; [unrolled: 12-line block ×4, first 2 shown]
	v_add_co_u32_e32 v76, vcc, s18, v4
	v_add3_u32 v7, v7, v8, v9
	v_addc_co_u32_e32 v77, vcc, v10, v5, vcc
	v_lshlrev_b64 v[4:5], 2, v[6:7]
	v_mov_b32_e32 v6, s17
	v_add_co_u32_e32 v78, vcc, s16, v4
	v_addc_co_u32_e32 v79, vcc, v6, v5, vcc
	v_mov_b32_e32 v6, s19
	v_add_co_u32_e32 v80, vcc, s18, v4
	v_lshlrev_b64 v[2:3], 2, v[2:3]
	v_addc_co_u32_e32 v81, vcc, v6, v5, vcc
	s_load_dword s0, s[4:5], 0x44
	v_mov_b32_e32 v4, s17
	v_add_co_u32_e32 v82, vcc, s16, v2
	v_addc_co_u32_e32 v83, vcc, v4, v3, vcc
	v_mov_b32_e32 v4, s19
	v_add_co_u32_e32 v84, vcc, s18, v2
	v_mov_b32_e32 v2, 0
	v_mul_lo_u32 v15, s14, v15
	v_mul_lo_u32 v13, s14, v13
	;; [unrolled: 1-line block ×3, first 2 shown]
	v_addc_co_u32_e32 v85, vcc, v4, v3, vcc
	v_add_u32_e32 v3, s7, v0
	v_mov_b32_e32 v4, v2
	s_waitcnt lgkmcnt(0)
	s_lshl_b32 s7, s0, 3
	v_lshlrev_b64 v[48:49], 2, v[3:4]
	v_mbcnt_lo_u32_b32 v3, -1, 0
	s_mul_i32 s0, s15, s7
	s_mul_hi_u32 s1, s14, s7
	v_mbcnt_hi_u32_b32 v3, -1, v3
	s_add_i32 s1, s1, s0
	s_mul_i32 s0, s14, s7
	v_lshlrev_b32_e32 v3, 2, v3
	v_add3_u32 v33, v18, v33, v15
	v_add3_u32 v35, v18, v35, v15
	;; [unrolled: 1-line block ×6, first 2 shown]
	s_lshl_b64 s[10:11], s[0:1], 2
	s_mov_b64 s[16:17], 7
	v_and_b32_e32 v86, 0x100, v3
	s_mov_b64 s[18:19], s[24:25]
	v_mov_b32_e32 v87, v2
	v_mov_b32_e32 v57, 0
	;; [unrolled: 1-line block ×3, first 2 shown]
	s_branch .LBB53_56
.LBB53_53:                              ;   in Loop: Header=BB53_56 Depth=1
	s_or_b64 exec, exec, s[26:27]
.LBB53_54:                              ;   in Loop: Header=BB53_56 Depth=1
	s_or_b64 exec, exec, s[0:1]
	v_add_co_u32_e32 v3, vcc, v53, v48
	v_addc_co_u32_e32 v4, vcc, v54, v49, vcc
	global_load_dword v9, v[3:4], off
	v_add_co_u32_e32 v3, vcc, v55, v48
	v_addc_co_u32_e32 v4, vcc, v56, v49, vcc
	global_load_dword v11, v[3:4], off
	;; [unrolled: 3-line block ×14, first 2 shown]
	v_add_co_u32_e32 v3, vcc, v44, v48
	v_addc_co_u32_e32 v4, vcc, v45, v49, vcc
	v_add_co_u32_e32 v7, vcc, v46, v48
	v_addc_co_u32_e32 v8, vcc, v47, v49, vcc
	global_load_dword v91, v[7:8], off
	global_load_dword v10, v[3:4], off
	s_waitcnt vmcnt(17)
	ds_bpermute_b32 v3, v86, v6
	s_waitcnt vmcnt(16)
	ds_bpermute_b32 v4, v86, v5
	ds_bpermute_b32 v7, v86, v6 offset:4
	ds_bpermute_b32 v8, v86, v6 offset:8
	s_waitcnt vmcnt(14) lgkmcnt(3)
	v_sub_f32_e32 v3, v11, v3
	v_mul_f32_e32 v3, v9, v3
	s_waitcnt lgkmcnt(2)
	v_fmac_f32_e32 v57, v3, v4
	ds_bpermute_b32 v3, v86, v5 offset:4
	v_add_f32_e32 v4, v19, v9
	s_waitcnt vmcnt(13)
	v_add_f32_e32 v4, v4, v12
	s_waitcnt vmcnt(12) lgkmcnt(2)
	v_sub_f32_e32 v7, v13, v7
	v_mul_f32_e32 v7, v12, v7
	s_waitcnt lgkmcnt(0)
	v_fmac_f32_e32 v57, v7, v3
	ds_bpermute_b32 v3, v86, v5 offset:8
	s_waitcnt vmcnt(11)
	v_add_f32_e32 v4, v4, v14
	s_waitcnt vmcnt(10)
	v_sub_f32_e32 v7, v15, v8
	ds_bpermute_b32 v8, v86, v6 offset:12
	v_mul_f32_e32 v7, v14, v7
	s_waitcnt lgkmcnt(1)
	v_fmac_f32_e32 v57, v7, v3
	ds_bpermute_b32 v3, v86, v5 offset:12
	s_waitcnt vmcnt(9)
	v_add_f32_e32 v4, v4, v16
	s_waitcnt vmcnt(8) lgkmcnt(1)
	v_sub_f32_e32 v7, v17, v8
	ds_bpermute_b32 v8, v86, v6 offset:16
	v_mul_f32_e32 v7, v16, v7
	s_waitcnt lgkmcnt(1)
	v_fmac_f32_e32 v57, v7, v3
	ds_bpermute_b32 v3, v86, v5 offset:16
	s_waitcnt vmcnt(7)
	v_add_f32_e32 v4, v4, v18
	s_waitcnt vmcnt(6) lgkmcnt(1)
	v_sub_f32_e32 v7, v50, v8
	ds_bpermute_b32 v8, v86, v6 offset:20
	v_mul_f32_e32 v7, v18, v7
	s_waitcnt lgkmcnt(1)
	v_fmac_f32_e32 v57, v7, v3
	ds_bpermute_b32 v3, v86, v5 offset:20
	s_waitcnt vmcnt(4) lgkmcnt(1)
	v_sub_f32_e32 v7, v88, v8
	ds_bpermute_b32 v8, v86, v6 offset:24
	v_mul_f32_e32 v7, v51, v7
	s_waitcnt lgkmcnt(1)
	v_fmac_f32_e32 v57, v7, v3
	v_add_f32_e32 v3, v4, v51
	ds_bpermute_b32 v4, v86, v5 offset:24
	ds_bpermute_b32 v6, v86, v6 offset:28
	;; [unrolled: 1-line block ×3, first 2 shown]
	s_waitcnt vmcnt(2) lgkmcnt(3)
	v_sub_f32_e32 v7, v90, v8
	v_mul_f32_e32 v7, v89, v7
	s_waitcnt lgkmcnt(2)
	v_fmac_f32_e32 v57, v7, v4
	v_add_f32_e32 v4, v3, v89
	s_waitcnt vmcnt(1) lgkmcnt(1)
	v_sub_f32_e32 v3, v91, v6
	s_waitcnt vmcnt(0)
	v_mul_f32_e32 v3, v10, v3
	s_waitcnt lgkmcnt(0)
	v_mul_f32_e32 v5, v3, v5
	v_mov_b32_e32 v3, v57
.LBB53_55:                              ;   in Loop: Header=BB53_56 Depth=1
	v_add_f32_e32 v57, v3, v5
	v_mov_b32_e32 v3, s11
	v_add_co_u32_e32 v53, vcc, s10, v53
	v_addc_co_u32_e32 v54, vcc, v54, v3, vcc
	v_add_co_u32_e32 v55, vcc, s10, v55
	v_addc_co_u32_e32 v56, vcc, v56, v3, vcc
	;; [unrolled: 2-line block ×30, first 2 shown]
	v_add_co_u32_e32 v84, vcc, s10, v84
	v_add_f32_e32 v19, v4, v10
	s_add_u32 s18, s18, s7
	v_addc_co_u32_e32 v85, vcc, v85, v3, vcc
	v_mov_b32_e32 v3, s12
	s_addc_u32 s19, s19, 0
	v_mov_b32_e32 v4, s13
	v_cmp_ge_i64_e32 vcc, s[18:19], v[3:4]
	s_add_u32 s16, s16, s7
	s_addc_u32 s17, 0, s17
	s_cbranch_vccnz .LBB53_82
.LBB53_56:                              ; =>This Inner Loop Header: Depth=1
	s_add_u32 s0, s24, s16
	v_mov_b32_e32 v3, s12
	s_addc_u32 s1, 0, s17
	v_mov_b32_e32 v4, s13
	v_cmp_ge_i64_e32 vcc, s[0:1], v[3:4]
	v_add_co_u32_e64 v50, s[0:1], s24, v52
	v_addc_co_u32_e64 v51, s[0:1], 0, v87, s[0:1]
	s_mov_b64 s[0:1], -1
	s_and_b64 vcc, exec, vcc
                                        ; implicit-def: $vgpr10
                                        ; implicit-def: $vgpr5
                                        ; implicit-def: $vgpr4
                                        ; implicit-def: $vgpr3
	s_cbranch_vccz .LBB53_78
; %bb.57:                               ;   in Loop: Header=BB53_56 Depth=1
	s_load_dword s0, s[2:3], 0xc
	v_mov_b32_e32 v88, 0
	v_mov_b32_e32 v89, 0
	s_waitcnt lgkmcnt(0)
	s_and_b32 s0, s0, 0xffff
	v_mad_u32_u24 v3, v1, s0, v0
	v_and_b32_e32 v3, 63, v3
	v_cmp_gt_u32_e32 vcc, 8, v3
	s_and_saveexec_b64 s[0:1], vcc
	s_cbranch_execz .LBB53_61
; %bb.58:                               ;   in Loop: Header=BB53_56 Depth=1
	v_add_co_u32_e32 v3, vcc, v50, v3
	v_addc_co_u32_e32 v4, vcc, 0, v51, vcc
	v_cmp_gt_i64_e32 vcc, s[12:13], v[3:4]
	v_mov_b32_e32 v89, 0
	v_mov_b32_e32 v88, 0
	s_and_saveexec_b64 s[26:27], vcc
	s_cbranch_execz .LBB53_60
; %bb.59:                               ;   in Loop: Header=BB53_56 Depth=1
	v_lshlrev_b64 v[3:4], 2, v[3:4]
	v_mov_b32_e32 v6, s23
	v_add_co_u32_e32 v5, vcc, s22, v3
	v_addc_co_u32_e32 v6, vcc, v6, v4, vcc
	v_mov_b32_e32 v7, s21
	v_add_co_u32_e32 v3, vcc, s20, v3
	v_addc_co_u32_e32 v4, vcc, v7, v4, vcc
	global_load_dword v89, v[3:4], off
	global_load_dword v88, v[5:6], off
.LBB53_60:                              ;   in Loop: Header=BB53_56 Depth=1
	s_or_b64 exec, exec, s[26:27]
.LBB53_61:                              ;   in Loop: Header=BB53_56 Depth=1
	s_or_b64 exec, exec, s[0:1]
	v_mov_b32_e32 v9, v2
	v_mov_b32_e32 v3, v2
	;; [unrolled: 1-line block ×8, first 2 shown]
	v_cmp_gt_i64_e32 vcc, s[12:13], v[50:51]
	v_mov_b32_e32 v17, v8
	v_mov_b32_e32 v16, v7
	;; [unrolled: 1-line block ×15, first 2 shown]
	s_and_saveexec_b64 s[0:1], vcc
	s_cbranch_execz .LBB53_63
; %bb.62:                               ;   in Loop: Header=BB53_56 Depth=1
	v_add_co_u32_e32 v3, vcc, v53, v48
	v_addc_co_u32_e32 v4, vcc, v54, v49, vcc
	global_load_dword v3, v[3:4], off
	v_add_co_u32_e32 v4, vcc, v55, v48
	v_addc_co_u32_e32 v5, vcc, v56, v49, vcc
	global_load_dword v11, v[4:5], off
	v_mov_b32_e32 v4, v2
	v_mov_b32_e32 v5, v2
	;; [unrolled: 1-line block ×14, first 2 shown]
.LBB53_63:                              ;   in Loop: Header=BB53_56 Depth=1
	s_or_b64 exec, exec, s[0:1]
	v_add_co_u32_e32 v90, vcc, 1, v50
	v_addc_co_u32_e32 v91, vcc, 0, v51, vcc
	v_cmp_gt_i64_e32 vcc, s[12:13], v[90:91]
	s_and_saveexec_b64 s[0:1], vcc
	s_cbranch_execz .LBB53_65
; %bb.64:                               ;   in Loop: Header=BB53_56 Depth=1
	v_add_co_u32_e32 v90, vcc, v82, v48
	v_addc_co_u32_e32 v91, vcc, v83, v49, vcc
	global_load_dword v4, v[90:91], off
	v_add_co_u32_e32 v90, vcc, v84, v48
	v_addc_co_u32_e32 v91, vcc, v85, v49, vcc
	global_load_dword v12, v[90:91], off
.LBB53_65:                              ;   in Loop: Header=BB53_56 Depth=1
	s_or_b64 exec, exec, s[0:1]
	v_add_co_u32_e32 v90, vcc, 2, v50
	v_addc_co_u32_e32 v91, vcc, 0, v51, vcc
	v_cmp_gt_i64_e32 vcc, s[12:13], v[90:91]
	s_and_saveexec_b64 s[0:1], vcc
	s_cbranch_execz .LBB53_67
; %bb.66:                               ;   in Loop: Header=BB53_56 Depth=1
	v_add_co_u32_e32 v90, vcc, v78, v48
	v_addc_co_u32_e32 v91, vcc, v79, v49, vcc
	global_load_dword v5, v[90:91], off
	v_add_co_u32_e32 v90, vcc, v80, v48
	v_addc_co_u32_e32 v91, vcc, v81, v49, vcc
	global_load_dword v13, v[90:91], off
.LBB53_67:                              ;   in Loop: Header=BB53_56 Depth=1
	;; [unrolled: 14-line block ×7, first 2 shown]
	s_or_b64 exec, exec, s[0:1]
	s_waitcnt vmcnt(1)
	ds_bpermute_b32 v90, v86, v89
	ds_bpermute_b32 v93, v86, v89 offset:4
	s_waitcnt vmcnt(0)
	ds_bpermute_b32 v91, v86, v88
	ds_bpermute_b32 v94, v86, v88 offset:4
	v_add_f32_e32 v92, v19, v3
	s_waitcnt lgkmcnt(3)
	v_sub_f32_e32 v11, v11, v90
	v_mul_f32_e32 v3, v3, v11
	s_waitcnt lgkmcnt(2)
	v_sub_f32_e32 v11, v12, v93
	ds_bpermute_b32 v12, v86, v89 offset:8
	s_waitcnt lgkmcnt(2)
	v_fma_f32 v3, v3, v91, v57
	v_mul_f32_e32 v11, v4, v11
	s_waitcnt lgkmcnt(1)
	v_fmac_f32_e32 v3, v11, v94
	ds_bpermute_b32 v11, v86, v88 offset:8
	s_waitcnt lgkmcnt(1)
	v_sub_f32_e32 v12, v13, v12
	ds_bpermute_b32 v13, v86, v89 offset:12
	v_mul_f32_e32 v12, v5, v12
	v_add_f32_e32 v4, v4, v92
	s_waitcnt lgkmcnt(1)
	v_fmac_f32_e32 v3, v12, v11
	ds_bpermute_b32 v11, v86, v88 offset:12
	v_add_f32_e32 v4, v5, v4
	s_waitcnt lgkmcnt(1)
	v_sub_f32_e32 v5, v14, v13
	ds_bpermute_b32 v12, v86, v89 offset:16
	v_mul_f32_e32 v5, v6, v5
	s_waitcnt lgkmcnt(1)
	v_fmac_f32_e32 v3, v5, v11
	ds_bpermute_b32 v5, v86, v88 offset:16
	v_add_f32_e32 v4, v6, v4
	s_waitcnt lgkmcnt(1)
	v_sub_f32_e32 v6, v15, v12
	ds_bpermute_b32 v11, v86, v89 offset:20
	v_mul_f32_e32 v6, v7, v6
	s_waitcnt lgkmcnt(1)
	v_fmac_f32_e32 v3, v6, v5
	ds_bpermute_b32 v5, v86, v88 offset:20
	v_add_f32_e32 v4, v7, v4
	ds_bpermute_b32 v7, v86, v89 offset:24
	s_waitcnt lgkmcnt(2)
	v_sub_f32_e32 v6, v16, v11
	v_mul_f32_e32 v6, v8, v6
	s_waitcnt lgkmcnt(1)
	v_fmac_f32_e32 v3, v6, v5
	ds_bpermute_b32 v5, v86, v88 offset:24
	s_waitcnt lgkmcnt(1)
	v_sub_f32_e32 v6, v17, v7
	ds_bpermute_b32 v7, v86, v89 offset:28
	v_add_f32_e32 v4, v8, v4
	ds_bpermute_b32 v8, v86, v88 offset:28
	v_mul_f32_e32 v6, v9, v6
	s_waitcnt lgkmcnt(2)
	v_fmac_f32_e32 v3, v6, v5
	s_waitcnt lgkmcnt(1)
	v_sub_f32_e32 v5, v18, v7
	v_mul_f32_e32 v5, v10, v5
	v_add_f32_e32 v4, v9, v4
	s_waitcnt lgkmcnt(0)
	v_mul_f32_e32 v5, v5, v8
	s_mov_b64 s[0:1], 0
.LBB53_78:                              ;   in Loop: Header=BB53_56 Depth=1
	s_and_b64 vcc, exec, s[0:1]
	s_cbranch_vccz .LBB53_55
; %bb.79:                               ;   in Loop: Header=BB53_56 Depth=1
	s_load_dword s0, s[2:3], 0x0
	v_mov_b32_e32 v5, 0
	v_mov_b32_e32 v6, 0
	s_waitcnt lgkmcnt(0)
	s_cmp_lt_u32 s6, s0
	s_cselect_b32 s0, 12, 18
	s_add_u32 s0, s2, s0
	s_addc_u32 s1, s3, 0
	global_load_ushort v3, v2, s[0:1]
	s_waitcnt vmcnt(0)
	v_mad_u32_u24 v3, v1, v3, v0
	v_and_b32_e32 v3, 63, v3
	v_cmp_gt_u32_e32 vcc, 8, v3
	s_and_saveexec_b64 s[0:1], vcc
	s_cbranch_execz .LBB53_54
; %bb.80:                               ;   in Loop: Header=BB53_56 Depth=1
	v_add_co_u32_e32 v3, vcc, v50, v3
	v_addc_co_u32_e32 v4, vcc, 0, v51, vcc
	v_cmp_gt_i64_e32 vcc, s[12:13], v[3:4]
	v_mov_b32_e32 v6, 0
	v_mov_b32_e32 v5, 0
	s_and_saveexec_b64 s[26:27], vcc
	s_cbranch_execz .LBB53_53
; %bb.81:                               ;   in Loop: Header=BB53_56 Depth=1
	v_lshlrev_b64 v[3:4], 2, v[3:4]
	v_mov_b32_e32 v5, s23
	v_add_co_u32_e32 v7, vcc, s22, v3
	v_addc_co_u32_e32 v8, vcc, v5, v4, vcc
	v_mov_b32_e32 v5, s21
	v_add_co_u32_e32 v3, vcc, s20, v3
	v_addc_co_u32_e32 v4, vcc, v5, v4, vcc
	global_load_dword v6, v[3:4], off
	global_load_dword v5, v[7:8], off
	s_branch .LBB53_53
.LBB53_82:
	s_mov_b32 s7, 0
	s_lshl_b64 s[0:1], s[6:7], 6
	v_or_b32_e32 v4, s0, v0
	v_mov_b32_e32 v5, s1
	v_cmp_gt_i64_e32 vcc, s[14:15], v[4:5]
	s_and_saveexec_b64 s[0:1], vcc
	s_cbranch_execz .LBB53_87
; %bb.83:
	s_load_dword s0, s[4:5], 0x4c
	v_mov_b32_e32 v2, 0
	v_mov_b32_e32 v0, s8
	s_waitcnt lgkmcnt(0)
	s_lshr_b32 s0, s0, 16
	v_mad_u64_u32 v[2:3], s[0:1], s0, v0, v[1:2]
	s_load_dwordx4 s[0:3], s[4:5], 0x30
	v_lshlrev_b64 v[0:1], 2, v[4:5]
	v_mul_lo_u32 v3, v3, s14
	v_mul_lo_u32 v6, v2, s15
	s_waitcnt lgkmcnt(0)
	s_cmp_eq_u64 s[0:1], 0
	s_cbranch_scc1 .LBB53_85
; %bb.84:
	v_mad_u64_u32 v[4:5], s[4:5], v2, s14, 0
	v_mov_b32_e32 v7, s1
	v_add3_u32 v5, v5, v6, v3
	v_lshlrev_b64 v[4:5], 2, v[4:5]
	v_add_co_u32_e32 v4, vcc, s0, v4
	v_addc_co_u32_e32 v5, vcc, v7, v5, vcc
	v_add_co_u32_e32 v4, vcc, v4, v0
	v_addc_co_u32_e32 v5, vcc, v5, v1, vcc
	global_store_dword v[4:5], v57, off
.LBB53_85:
	s_cmp_eq_u64 s[2:3], 0
	s_cbranch_scc1 .LBB53_87
; %bb.86:
	v_mad_u64_u32 v[4:5], s[0:1], v2, s14, 0
	v_mov_b32_e32 v7, s3
	v_add3_u32 v5, v5, v6, v3
	v_lshlrev_b64 v[2:3], 2, v[4:5]
	v_add_co_u32_e32 v2, vcc, s2, v2
	v_addc_co_u32_e32 v3, vcc, v7, v3, vcc
	v_add_co_u32_e32 v0, vcc, v2, v0
	v_addc_co_u32_e32 v1, vcc, v3, v1, vcc
	global_store_dword v[0:1], v19, off
.LBB53_87:
	s_endpgm
	.section	.rodata,"a",@progbits
	.p2align	6, 0x0
	.amdhsa_kernel _ZN2at6native12_GLOBAL__N_135GammaBetaBackwardCUDAKernelTemplateIffLj64ELj1ELj8ELb1ELb0ELb0EEEvllPKT_S5_PKT0_S8_PS3_S9_
		.amdhsa_group_segment_fixed_size 0
		.amdhsa_private_segment_fixed_size 0
		.amdhsa_kernarg_size 320
		.amdhsa_user_sgpr_count 6
		.amdhsa_user_sgpr_private_segment_buffer 1
		.amdhsa_user_sgpr_dispatch_ptr 0
		.amdhsa_user_sgpr_queue_ptr 0
		.amdhsa_user_sgpr_kernarg_segment_ptr 1
		.amdhsa_user_sgpr_dispatch_id 0
		.amdhsa_user_sgpr_flat_scratch_init 0
		.amdhsa_user_sgpr_private_segment_size 0
		.amdhsa_uses_dynamic_stack 0
		.amdhsa_system_sgpr_private_segment_wavefront_offset 0
		.amdhsa_system_sgpr_workgroup_id_x 1
		.amdhsa_system_sgpr_workgroup_id_y 1
		.amdhsa_system_sgpr_workgroup_id_z 0
		.amdhsa_system_sgpr_workgroup_info 0
		.amdhsa_system_vgpr_workitem_id 1
		.amdhsa_next_free_vgpr 95
		.amdhsa_next_free_sgpr 38
		.amdhsa_reserve_vcc 1
		.amdhsa_reserve_flat_scratch 0
		.amdhsa_float_round_mode_32 0
		.amdhsa_float_round_mode_16_64 0
		.amdhsa_float_denorm_mode_32 3
		.amdhsa_float_denorm_mode_16_64 3
		.amdhsa_dx10_clamp 1
		.amdhsa_ieee_mode 1
		.amdhsa_fp16_overflow 0
		.amdhsa_exception_fp_ieee_invalid_op 0
		.amdhsa_exception_fp_denorm_src 0
		.amdhsa_exception_fp_ieee_div_zero 0
		.amdhsa_exception_fp_ieee_overflow 0
		.amdhsa_exception_fp_ieee_underflow 0
		.amdhsa_exception_fp_ieee_inexact 0
		.amdhsa_exception_int_div_zero 0
	.end_amdhsa_kernel
	.section	.text._ZN2at6native12_GLOBAL__N_135GammaBetaBackwardCUDAKernelTemplateIffLj64ELj1ELj8ELb1ELb0ELb0EEEvllPKT_S5_PKT0_S8_PS3_S9_,"axG",@progbits,_ZN2at6native12_GLOBAL__N_135GammaBetaBackwardCUDAKernelTemplateIffLj64ELj1ELj8ELb1ELb0ELb0EEEvllPKT_S5_PKT0_S8_PS3_S9_,comdat
.Lfunc_end53:
	.size	_ZN2at6native12_GLOBAL__N_135GammaBetaBackwardCUDAKernelTemplateIffLj64ELj1ELj8ELb1ELb0ELb0EEEvllPKT_S5_PKT0_S8_PS3_S9_, .Lfunc_end53-_ZN2at6native12_GLOBAL__N_135GammaBetaBackwardCUDAKernelTemplateIffLj64ELj1ELj8ELb1ELb0ELb0EEEvllPKT_S5_PKT0_S8_PS3_S9_
                                        ; -- End function
	.set _ZN2at6native12_GLOBAL__N_135GammaBetaBackwardCUDAKernelTemplateIffLj64ELj1ELj8ELb1ELb0ELb0EEEvllPKT_S5_PKT0_S8_PS3_S9_.num_vgpr, 95
	.set _ZN2at6native12_GLOBAL__N_135GammaBetaBackwardCUDAKernelTemplateIffLj64ELj1ELj8ELb1ELb0ELb0EEEvllPKT_S5_PKT0_S8_PS3_S9_.num_agpr, 0
	.set _ZN2at6native12_GLOBAL__N_135GammaBetaBackwardCUDAKernelTemplateIffLj64ELj1ELj8ELb1ELb0ELb0EEEvllPKT_S5_PKT0_S8_PS3_S9_.numbered_sgpr, 38
	.set _ZN2at6native12_GLOBAL__N_135GammaBetaBackwardCUDAKernelTemplateIffLj64ELj1ELj8ELb1ELb0ELb0EEEvllPKT_S5_PKT0_S8_PS3_S9_.num_named_barrier, 0
	.set _ZN2at6native12_GLOBAL__N_135GammaBetaBackwardCUDAKernelTemplateIffLj64ELj1ELj8ELb1ELb0ELb0EEEvllPKT_S5_PKT0_S8_PS3_S9_.private_seg_size, 0
	.set _ZN2at6native12_GLOBAL__N_135GammaBetaBackwardCUDAKernelTemplateIffLj64ELj1ELj8ELb1ELb0ELb0EEEvllPKT_S5_PKT0_S8_PS3_S9_.uses_vcc, 1
	.set _ZN2at6native12_GLOBAL__N_135GammaBetaBackwardCUDAKernelTemplateIffLj64ELj1ELj8ELb1ELb0ELb0EEEvllPKT_S5_PKT0_S8_PS3_S9_.uses_flat_scratch, 0
	.set _ZN2at6native12_GLOBAL__N_135GammaBetaBackwardCUDAKernelTemplateIffLj64ELj1ELj8ELb1ELb0ELb0EEEvllPKT_S5_PKT0_S8_PS3_S9_.has_dyn_sized_stack, 0
	.set _ZN2at6native12_GLOBAL__N_135GammaBetaBackwardCUDAKernelTemplateIffLj64ELj1ELj8ELb1ELb0ELb0EEEvllPKT_S5_PKT0_S8_PS3_S9_.has_recursion, 0
	.set _ZN2at6native12_GLOBAL__N_135GammaBetaBackwardCUDAKernelTemplateIffLj64ELj1ELj8ELb1ELb0ELb0EEEvllPKT_S5_PKT0_S8_PS3_S9_.has_indirect_call, 0
	.section	.AMDGPU.csdata,"",@progbits
; Kernel info:
; codeLenInByte = 6628
; TotalNumSgprs: 42
; NumVgprs: 95
; ScratchSize: 0
; MemoryBound: 0
; FloatMode: 240
; IeeeMode: 1
; LDSByteSize: 0 bytes/workgroup (compile time only)
; SGPRBlocks: 5
; VGPRBlocks: 23
; NumSGPRsForWavesPerEU: 42
; NumVGPRsForWavesPerEU: 95
; Occupancy: 2
; WaveLimiterHint : 0
; COMPUTE_PGM_RSRC2:SCRATCH_EN: 0
; COMPUTE_PGM_RSRC2:USER_SGPR: 6
; COMPUTE_PGM_RSRC2:TRAP_HANDLER: 0
; COMPUTE_PGM_RSRC2:TGID_X_EN: 1
; COMPUTE_PGM_RSRC2:TGID_Y_EN: 1
; COMPUTE_PGM_RSRC2:TGID_Z_EN: 0
; COMPUTE_PGM_RSRC2:TIDIG_COMP_CNT: 1
	.section	.text._ZN2at6native12_GLOBAL__N_135GammaBetaBackwardCUDAKernelTemplateIffLj64ELj8ELj64ELb0ELb1ELb0EEEvllPKT_S5_PKT0_S8_PS3_S9_,"axG",@progbits,_ZN2at6native12_GLOBAL__N_135GammaBetaBackwardCUDAKernelTemplateIffLj64ELj8ELj64ELb0ELb1ELb0EEEvllPKT_S5_PKT0_S8_PS3_S9_,comdat
	.globl	_ZN2at6native12_GLOBAL__N_135GammaBetaBackwardCUDAKernelTemplateIffLj64ELj8ELj64ELb0ELb1ELb0EEEvllPKT_S5_PKT0_S8_PS3_S9_ ; -- Begin function _ZN2at6native12_GLOBAL__N_135GammaBetaBackwardCUDAKernelTemplateIffLj64ELj8ELj64ELb0ELb1ELb0EEEvllPKT_S5_PKT0_S8_PS3_S9_
	.p2align	8
	.type	_ZN2at6native12_GLOBAL__N_135GammaBetaBackwardCUDAKernelTemplateIffLj64ELj8ELj64ELb0ELb1ELb0EEEvllPKT_S5_PKT0_S8_PS3_S9_,@function
_ZN2at6native12_GLOBAL__N_135GammaBetaBackwardCUDAKernelTemplateIffLj64ELj8ELj64ELb0ELb1ELb0EEEvllPKT_S5_PKT0_S8_PS3_S9_: ; @_ZN2at6native12_GLOBAL__N_135GammaBetaBackwardCUDAKernelTemplateIffLj64ELj8ELj64ELb0ELb1ELb0EEEvllPKT_S5_PKT0_S8_PS3_S9_
; %bb.0:
	s_load_dwordx4 s[20:23], s[4:5], 0x0
	s_lshl_b32 s24, s7, 6
	s_mov_b32 s25, 0
	v_mov_b32_e32 v2, s24
	v_mov_b32_e32 v3, s25
	s_waitcnt lgkmcnt(0)
	v_cmp_gt_i64_e32 vcc, s[20:21], v[2:3]
	s_cbranch_vccnz .LBB54_2
; %bb.1:
	s_mov_b64 s[0:1], 0
	s_branch .LBB54_3
.LBB54_2:
	s_mov_b64 s[0:1], -1
.LBB54_3:
	s_load_dwordx4 s[16:19], s[4:5], 0x30
	v_mov_b32_e32 v18, 0
	s_andn2_b64 vcc, exec, s[0:1]
	v_mbcnt_lo_u32_b32 v8, -1, 0
	v_mov_b32_e32 v3, 0
	s_cbranch_vccnz .LBB54_10
; %bb.4:
	s_load_dword s0, s[4:5], 0x4c
	s_load_dword s2, s[4:5], 0x44
	s_load_dwordx8 s[8:15], s[4:5], 0x10
	v_lshlrev_b32_e32 v4, 3, v1
	v_mbcnt_hi_u32_b32 v6, -1, v8
	v_add_co_u32_e32 v4, vcc, s24, v4
	v_lshlrev_b32_e32 v6, 2, v6
	s_waitcnt lgkmcnt(0)
	s_lshl_b32 s4, s2, 6
	v_addc_co_u32_e64 v17, s[2:3], 0, 0, vcc
	v_and_b32_e32 v9, 0x100, v6
	v_mul_lo_u32 v18, s23, v4
	v_mul_lo_u32 v19, s22, v17
	v_mad_u64_u32 v[6:7], s[2:3], s22, v4, 0
	s_and_b32 s0, s0, 0xffff
	v_mad_u32_u24 v2, v1, s0, v0
	v_and_b32_e32 v5, 63, v2
	v_mov_b32_e32 v3, 0
	v_lshl_add_u32 v2, s6, 6, v0
	v_add_co_u32_e32 v4, vcc, v4, v5
	v_add3_u32 v7, v7, v19, v18
	v_cmp_gt_u32_e64 s[0:1], 8, v5
	v_addc_co_u32_e32 v5, vcc, 0, v17, vcc
	v_lshlrev_b64 v[6:7], 2, v[6:7]
	v_lshlrev_b64 v[17:18], 2, v[2:3]
	s_mul_i32 s2, s23, s4
	v_add_co_u32_e32 v2, vcc, v6, v17
	s_mul_hi_u32 s3, s22, s4
	s_mov_b32 s5, 0
	v_addc_co_u32_e32 v17, vcc, v7, v18, vcc
	v_lshlrev_b64 v[6:7], 2, v[4:5]
	s_add_i32 s3, s3, s2
	s_mul_i32 s2, s22, s4
	v_or_b32_e32 v10, 4, v9
	v_or_b32_e32 v11, 8, v9
	;; [unrolled: 1-line block ×7, first 2 shown]
	s_lshl_b64 s[26:27], s[4:5], 2
	s_lshl_b64 s[28:29], s[2:3], 2
	s_lshl_b64 s[22:23], s[22:23], 2
	v_mov_b32_e32 v18, v3
	s_branch .LBB54_7
.LBB54_5:                               ;   in Loop: Header=BB54_7 Depth=1
	s_or_b64 exec, exec, s[30:31]
.LBB54_6:                               ;   in Loop: Header=BB54_7 Depth=1
	s_or_b64 exec, exec, s[2:3]
	v_mov_b32_e32 v22, s9
	v_add_co_u32_e32 v21, vcc, s8, v2
	v_addc_co_u32_e32 v22, vcc, v22, v17, vcc
	v_mov_b32_e32 v24, s11
	v_add_co_u32_e32 v23, vcc, s10, v2
	v_addc_co_u32_e32 v24, vcc, v24, v17, vcc
	global_load_dword v28, v[23:24], off
	global_load_dword v29, v[21:22], off
	v_mov_b32_e32 v27, s23
	v_add_co_u32_e32 v25, vcc, s22, v23
	v_addc_co_u32_e32 v26, vcc, v24, v27, vcc
	v_add_co_u32_e32 v23, vcc, s22, v21
	s_waitcnt vmcnt(3)
	ds_bpermute_b32 v21, v9, v20
	v_addc_co_u32_e32 v24, vcc, v22, v27, vcc
	s_waitcnt vmcnt(2)
	ds_bpermute_b32 v22, v9, v19
	global_load_dword v30, v[23:24], off
	s_add_u32 s24, s24, s4
	s_addc_u32 s25, s25, 0
	v_add_co_u32_e64 v2, s[2:3], s28, v2
	s_waitcnt vmcnt(2) lgkmcnt(1)
	v_sub_f32_e32 v21, v28, v21
	global_load_dword v28, v[25:26], off
	s_waitcnt vmcnt(2)
	v_mul_f32_e32 v21, v29, v21
	s_waitcnt lgkmcnt(0)
	v_fmac_f32_e32 v3, v21, v22
	v_add_co_u32_e32 v21, vcc, s22, v25
	v_addc_co_u32_e32 v22, vcc, v26, v27, vcc
	v_add_co_u32_e32 v25, vcc, s22, v23
	ds_bpermute_b32 v23, v10, v20
	v_addc_co_u32_e32 v26, vcc, v24, v27, vcc
	ds_bpermute_b32 v24, v10, v19
	global_load_dword v31, v[25:26], off
	v_add_f32_e32 v18, v18, v29
	s_waitcnt vmcnt(2)
	v_add_f32_e32 v18, v18, v30
	s_waitcnt vmcnt(1) lgkmcnt(1)
	v_sub_f32_e32 v23, v28, v23
	global_load_dword v28, v[21:22], off
	v_mul_f32_e32 v23, v30, v23
	s_waitcnt lgkmcnt(0)
	v_fmac_f32_e32 v3, v23, v24
	v_add_co_u32_e32 v23, vcc, s22, v21
	v_addc_co_u32_e32 v24, vcc, v22, v27, vcc
	v_add_co_u32_e32 v21, vcc, s22, v25
	ds_bpermute_b32 v25, v11, v20
	v_addc_co_u32_e32 v22, vcc, v26, v27, vcc
	ds_bpermute_b32 v26, v11, v19
	global_load_dword v32, v[21:22], off
	s_waitcnt vmcnt(2)
	v_add_f32_e32 v18, v18, v31
	s_waitcnt vmcnt(1) lgkmcnt(1)
	v_sub_f32_e32 v25, v28, v25
	global_load_dword v28, v[23:24], off
	v_mul_f32_e32 v25, v31, v25
	s_waitcnt lgkmcnt(0)
	v_fmac_f32_e32 v3, v25, v26
	v_add_co_u32_e32 v25, vcc, s22, v23
	v_addc_co_u32_e32 v26, vcc, v24, v27, vcc
	v_add_co_u32_e32 v23, vcc, s22, v21
	ds_bpermute_b32 v21, v12, v20
	v_addc_co_u32_e32 v24, vcc, v22, v27, vcc
	ds_bpermute_b32 v22, v12, v19
	global_load_dword v33, v[23:24], off
	s_waitcnt vmcnt(2)
	v_add_f32_e32 v18, v18, v32
	s_waitcnt vmcnt(1) lgkmcnt(1)
	v_sub_f32_e32 v21, v28, v21
	global_load_dword v28, v[25:26], off
	v_mul_f32_e32 v21, v32, v21
	s_waitcnt lgkmcnt(0)
	v_fmac_f32_e32 v3, v21, v22
	v_add_co_u32_e32 v21, vcc, s22, v25
	v_addc_co_u32_e32 v22, vcc, v26, v27, vcc
	v_add_co_u32_e32 v25, vcc, s22, v23
	ds_bpermute_b32 v23, v13, v20
	v_addc_co_u32_e32 v26, vcc, v24, v27, vcc
	global_load_dword v34, v[25:26], off
	ds_bpermute_b32 v24, v13, v19
	s_waitcnt vmcnt(2)
	v_add_f32_e32 v18, v18, v33
	s_waitcnt vmcnt(1) lgkmcnt(1)
	v_sub_f32_e32 v23, v28, v23
	global_load_dword v28, v[21:22], off
	v_mul_f32_e32 v23, v33, v23
	s_waitcnt lgkmcnt(0)
	v_fmac_f32_e32 v3, v23, v24
	v_add_co_u32_e32 v23, vcc, s22, v21
	v_addc_co_u32_e32 v24, vcc, v22, v27, vcc
	v_add_co_u32_e32 v21, vcc, s22, v25
	ds_bpermute_b32 v25, v14, v20
	v_addc_co_u32_e32 v22, vcc, v26, v27, vcc
	ds_bpermute_b32 v26, v14, v19
	s_waitcnt vmcnt(1)
	v_add_f32_e32 v18, v18, v34
	s_waitcnt vmcnt(0) lgkmcnt(1)
	v_sub_f32_e32 v25, v28, v25
	v_mul_f32_e32 v25, v34, v25
	s_waitcnt lgkmcnt(0)
	v_fmac_f32_e32 v3, v25, v26
	v_add_co_u32_e32 v25, vcc, s22, v23
	v_addc_co_u32_e32 v26, vcc, v24, v27, vcc
	global_load_dword v28, v[23:24], off
	v_add_co_u32_e32 v23, vcc, s22, v21
	global_load_dword v21, v[21:22], off
	v_addc_co_u32_e32 v24, vcc, v22, v27, vcc
	ds_bpermute_b32 v22, v15, v20
	ds_bpermute_b32 v27, v15, v19
	;; [unrolled: 1-line block ×4, first 2 shown]
	v_add_co_u32_e32 v6, vcc, s26, v6
	s_waitcnt vmcnt(1) lgkmcnt(3)
	v_sub_f32_e32 v22, v28, v22
	s_waitcnt vmcnt(0)
	v_mul_f32_e32 v22, v21, v22
	s_waitcnt lgkmcnt(2)
	v_fmac_f32_e32 v3, v22, v27
	global_load_dword v22, v[25:26], off
	global_load_dword v27, v[23:24], off
	v_add_f32_e32 v18, v18, v21
	v_mov_b32_e32 v21, s29
	v_addc_co_u32_e64 v17, s[2:3], v17, v21, s[2:3]
	s_waitcnt vmcnt(1) lgkmcnt(1)
	v_sub_f32_e32 v20, v22, v20
	s_waitcnt vmcnt(0)
	v_mul_f32_e32 v20, v27, v20
	s_waitcnt lgkmcnt(0)
	v_fmac_f32_e32 v3, v20, v19
	v_mov_b32_e32 v19, s27
	v_addc_co_u32_e32 v7, vcc, v7, v19, vcc
	v_add_co_u32_e32 v4, vcc, s4, v4
	v_mov_b32_e32 v19, s20
	v_addc_co_u32_e32 v5, vcc, 0, v5, vcc
	v_mov_b32_e32 v20, s21
	v_cmp_lt_i64_e32 vcc, s[24:25], v[19:20]
	v_add_f32_e32 v18, v18, v27
	s_cbranch_vccz .LBB54_10
.LBB54_7:                               ; =>This Inner Loop Header: Depth=1
	v_mov_b32_e32 v19, 0
	v_mov_b32_e32 v20, 0
	s_and_saveexec_b64 s[2:3], s[0:1]
	s_cbranch_execz .LBB54_6
; %bb.8:                                ;   in Loop: Header=BB54_7 Depth=1
	v_cmp_gt_i64_e32 vcc, s[20:21], v[4:5]
	v_mov_b32_e32 v20, 0
	v_mov_b32_e32 v19, 0
	s_and_saveexec_b64 s[30:31], vcc
	s_cbranch_execz .LBB54_5
; %bb.9:                                ;   in Loop: Header=BB54_7 Depth=1
	v_mov_b32_e32 v19, s15
	v_add_co_u32_e32 v21, vcc, s14, v6
	v_addc_co_u32_e32 v22, vcc, v19, v7, vcc
	v_mov_b32_e32 v19, s13
	v_add_co_u32_e32 v23, vcc, s12, v6
	v_addc_co_u32_e32 v24, vcc, v19, v7, vcc
	global_load_dword v20, v[23:24], off
	global_load_dword v19, v[21:22], off
	s_branch .LBB54_5
.LBB54_10:
	s_movk_i32 s0, 0x41
	v_mad_u32_u24 v2, v1, s0, v0
	v_lshl_add_u32 v2, v2, 2, 0
	ds_write_b32 v2, v3
	ds_write_b32 v2, v18 offset:2080
	v_lshrrev_b32_e32 v2, 6, v0
	v_add_u32_e32 v2, v2, v1
	v_cmp_gt_u32_e32 vcc, 64, v2
	s_waitcnt lgkmcnt(0)
	s_barrier
	s_and_saveexec_b64 s[0:1], vcc
	s_cbranch_execz .LBB54_74
; %bb.11:
	v_and_b32_e32 v1, 63, v0
	v_cmp_gt_u32_e64 s[0:1], 8, v1
	v_mul_u32_u24_e32 v3, 0x41, v1
                                        ; implicit-def: $vgpr1
                                        ; implicit-def: $vgpr5
	s_and_saveexec_b64 s[2:3], s[0:1]
	s_cbranch_execz .LBB54_13
; %bb.12:
	v_add_u32_e32 v1, v2, v3
	v_lshl_add_u32 v1, v1, 2, 0
	ds_read_b32 v5, v1
	ds_read_b32 v1, v1 offset:2080
.LBB54_13:
	s_or_b64 exec, exec, s[2:3]
	v_mbcnt_hi_u32_b32 v6, -1, v8
	v_and_b32_e32 v4, 64, v6
	v_add_u32_e32 v7, 64, v4
	v_xor_b32_e32 v4, 4, v6
	v_cmp_lt_i32_e32 vcc, v4, v7
	v_cndmask_b32_e32 v4, v6, v4, vcc
	v_lshlrev_b32_e32 v4, 2, v4
	s_waitcnt lgkmcnt(1)
	ds_bpermute_b32 v8, v4, v5
	s_waitcnt lgkmcnt(1)
	ds_bpermute_b32 v9, v4, v1
	v_cmp_eq_u32_e64 s[2:3], 0, v0
	s_mov_b32 s7, 0
	s_lshl_b64 s[4:5], s[6:7], 6
	s_waitcnt lgkmcnt(1)
	v_add_f32_e32 v8, v5, v8
	v_xor_b32_e32 v5, 2, v6
	v_cmp_lt_i32_e32 vcc, v5, v7
	v_cndmask_b32_e32 v5, v6, v5, vcc
	v_lshlrev_b32_e32 v5, 2, v5
	s_waitcnt lgkmcnt(0)
	v_add_f32_e32 v1, v1, v9
	ds_bpermute_b32 v9, v5, v8
	ds_bpermute_b32 v10, v5, v1
	s_cmp_lg_u64 s[16:17], 0
	s_cselect_b64 s[8:9], -1, 0
	s_cmp_lg_u64 s[18:19], 0
	s_waitcnt lgkmcnt(1)
	v_add_f32_e32 v0, v8, v9
	v_xor_b32_e32 v8, 1, v6
	v_cmp_lt_i32_e32 vcc, v8, v7
	v_cndmask_b32_e32 v6, v6, v8, vcc
	s_waitcnt lgkmcnt(0)
	v_add_f32_e32 v1, v1, v10
	v_lshlrev_b32_e32 v6, 2, v6
	ds_bpermute_b32 v7, v6, v0
	ds_bpermute_b32 v8, v6, v1
	s_cselect_b64 s[6:7], -1, 0
	s_waitcnt lgkmcnt(1)
	v_add_f32_e32 v7, v0, v7
	s_waitcnt lgkmcnt(0)
	v_add_f32_e32 v8, v1, v8
	s_and_saveexec_b64 s[10:11], s[2:3]
	s_cbranch_execz .LBB54_18
; %bb.14:
	v_mov_b32_e32 v1, s5
	v_or_b32_e32 v0, s4, v2
	v_lshlrev_b64 v[0:1], 2, v[0:1]
	s_andn2_b64 vcc, exec, s[8:9]
	s_cbranch_vccnz .LBB54_16
; %bb.15:
	v_mov_b32_e32 v10, s17
	v_add_co_u32_e32 v9, vcc, s16, v0
	v_addc_co_u32_e32 v10, vcc, v10, v1, vcc
	global_store_dword v[9:10], v7, off
.LBB54_16:
	s_andn2_b64 vcc, exec, s[6:7]
	s_cbranch_vccnz .LBB54_18
; %bb.17:
	v_mov_b32_e32 v9, s19
	v_add_co_u32_e32 v0, vcc, s18, v0
	v_addc_co_u32_e32 v1, vcc, v9, v1, vcc
	global_store_dword v[0:1], v8, off
.LBB54_18:
	s_or_b64 exec, exec, s[10:11]
	v_cmp_gt_u32_e32 vcc, 56, v2
	s_and_b64 exec, exec, vcc
	s_cbranch_execz .LBB54_74
; %bb.19:
	s_and_saveexec_b64 s[10:11], s[0:1]
	s_cbranch_execz .LBB54_21
; %bb.20:
	v_add_u32_e32 v0, v2, v3
	v_lshl_add_u32 v0, v0, 2, 0
	ds_read_b32 v7, v0 offset:32
	ds_read_b32 v8, v0 offset:2112
.LBB54_21:
	s_or_b64 exec, exec, s[10:11]
	s_waitcnt lgkmcnt(1)
	ds_bpermute_b32 v0, v4, v7
	s_waitcnt lgkmcnt(1)
	ds_bpermute_b32 v1, v4, v8
	s_waitcnt lgkmcnt(1)
	v_add_f32_e32 v0, v7, v0
	s_waitcnt lgkmcnt(0)
	v_add_f32_e32 v1, v8, v1
	ds_bpermute_b32 v7, v5, v0
	ds_bpermute_b32 v8, v5, v1
	s_waitcnt lgkmcnt(1)
	v_add_f32_e32 v0, v0, v7
	s_waitcnt lgkmcnt(0)
	v_add_f32_e32 v1, v1, v8
	ds_bpermute_b32 v7, v6, v0
	ds_bpermute_b32 v8, v6, v1
	s_waitcnt lgkmcnt(1)
	v_add_f32_e32 v0, v0, v7
	s_waitcnt lgkmcnt(0)
	v_add_f32_e32 v1, v1, v8
	s_and_saveexec_b64 s[10:11], s[2:3]
	s_cbranch_execz .LBB54_26
; %bb.22:
	s_andn2_b64 vcc, exec, s[8:9]
	s_cbranch_vccnz .LBB54_24
; %bb.23:
	v_mov_b32_e32 v8, s5
	v_add_co_u32_e32 v7, vcc, s4, v2
	v_addc_co_u32_e32 v8, vcc, 0, v8, vcc
	v_lshlrev_b64 v[7:8], 2, v[7:8]
	v_mov_b32_e32 v9, s17
	v_add_co_u32_e32 v7, vcc, s16, v7
	v_addc_co_u32_e32 v8, vcc, v9, v8, vcc
	global_store_dword v[7:8], v0, off offset:32
.LBB54_24:
	s_andn2_b64 vcc, exec, s[6:7]
	s_cbranch_vccnz .LBB54_26
; %bb.25:
	v_mov_b32_e32 v8, s5
	v_add_co_u32_e32 v7, vcc, s4, v2
	v_addc_co_u32_e32 v8, vcc, 0, v8, vcc
	v_lshlrev_b64 v[7:8], 2, v[7:8]
	v_mov_b32_e32 v9, s19
	v_add_co_u32_e32 v7, vcc, s18, v7
	v_addc_co_u32_e32 v8, vcc, v9, v8, vcc
	global_store_dword v[7:8], v1, off offset:32
.LBB54_26:
	s_or_b64 exec, exec, s[10:11]
	v_cmp_gt_u32_e32 vcc, 48, v2
	s_and_b64 exec, exec, vcc
	s_cbranch_execz .LBB54_74
; %bb.27:
	s_and_saveexec_b64 s[10:11], s[0:1]
	s_cbranch_execz .LBB54_29
; %bb.28:
	v_add_u32_e32 v0, v2, v3
	v_lshl_add_u32 v1, v0, 2, 0
	ds_read_b32 v0, v1 offset:64
	ds_read_b32 v1, v1 offset:2144
.LBB54_29:
	s_or_b64 exec, exec, s[10:11]
	s_waitcnt lgkmcnt(1)
	ds_bpermute_b32 v7, v4, v0
	s_waitcnt lgkmcnt(1)
	ds_bpermute_b32 v8, v4, v1
	s_waitcnt lgkmcnt(1)
	v_add_f32_e32 v0, v0, v7
	s_waitcnt lgkmcnt(0)
	v_add_f32_e32 v1, v1, v8
	ds_bpermute_b32 v7, v5, v0
	ds_bpermute_b32 v8, v5, v1
	s_waitcnt lgkmcnt(1)
	v_add_f32_e32 v0, v0, v7
	s_waitcnt lgkmcnt(0)
	v_add_f32_e32 v1, v1, v8
	ds_bpermute_b32 v7, v6, v0
	ds_bpermute_b32 v8, v6, v1
	s_waitcnt lgkmcnt(1)
	v_add_f32_e32 v0, v0, v7
	s_waitcnt lgkmcnt(0)
	v_add_f32_e32 v1, v1, v8
	s_and_saveexec_b64 s[10:11], s[2:3]
	s_cbranch_execz .LBB54_34
; %bb.30:
	s_andn2_b64 vcc, exec, s[8:9]
	s_cbranch_vccnz .LBB54_32
; %bb.31:
	v_mov_b32_e32 v8, s5
	v_add_co_u32_e32 v7, vcc, s4, v2
	v_addc_co_u32_e32 v8, vcc, 0, v8, vcc
	v_lshlrev_b64 v[7:8], 2, v[7:8]
	v_mov_b32_e32 v9, s17
	v_add_co_u32_e32 v7, vcc, s16, v7
	v_addc_co_u32_e32 v8, vcc, v9, v8, vcc
	global_store_dword v[7:8], v0, off offset:64
.LBB54_32:
	s_andn2_b64 vcc, exec, s[6:7]
	s_cbranch_vccnz .LBB54_34
; %bb.33:
	v_mov_b32_e32 v8, s5
	v_add_co_u32_e32 v7, vcc, s4, v2
	v_addc_co_u32_e32 v8, vcc, 0, v8, vcc
	v_lshlrev_b64 v[7:8], 2, v[7:8]
	v_mov_b32_e32 v9, s19
	v_add_co_u32_e32 v7, vcc, s18, v7
	v_addc_co_u32_e32 v8, vcc, v9, v8, vcc
	global_store_dword v[7:8], v1, off offset:64
.LBB54_34:
	;; [unrolled: 61-line block ×6, first 2 shown]
	s_or_b64 exec, exec, s[10:11]
	v_cmp_gt_u32_e32 vcc, 8, v2
	s_and_b64 exec, exec, vcc
	s_cbranch_execz .LBB54_74
; %bb.67:
	s_and_saveexec_b64 s[10:11], s[0:1]
	s_cbranch_execz .LBB54_69
; %bb.68:
	v_add_u32_e32 v0, v2, v3
	v_lshl_add_u32 v1, v0, 2, 0
	ds_read_b32 v0, v1 offset:224
	ds_read_b32 v1, v1 offset:2304
.LBB54_69:
	s_or_b64 exec, exec, s[10:11]
	s_waitcnt lgkmcnt(1)
	ds_bpermute_b32 v3, v4, v0
	s_waitcnt lgkmcnt(1)
	ds_bpermute_b32 v4, v4, v1
	s_waitcnt lgkmcnt(1)
	v_add_f32_e32 v0, v0, v3
	s_waitcnt lgkmcnt(0)
	v_add_f32_e32 v1, v1, v4
	ds_bpermute_b32 v3, v5, v0
	ds_bpermute_b32 v4, v5, v1
	s_waitcnt lgkmcnt(1)
	v_add_f32_e32 v3, v0, v3
	s_waitcnt lgkmcnt(0)
	v_add_f32_e32 v0, v1, v4
	ds_bpermute_b32 v4, v6, v3
	ds_bpermute_b32 v1, v6, v0
	s_and_b64 exec, exec, s[2:3]
	s_cbranch_execz .LBB54_74
; %bb.70:
	s_andn2_b64 vcc, exec, s[8:9]
	s_cbranch_vccnz .LBB54_72
; %bb.71:
	s_waitcnt lgkmcnt(1)
	v_add_f32_e32 v5, v3, v4
	v_mov_b32_e32 v4, s5
	v_add_co_u32_e32 v3, vcc, s4, v2
	v_addc_co_u32_e32 v4, vcc, 0, v4, vcc
	v_lshlrev_b64 v[3:4], 2, v[3:4]
	v_mov_b32_e32 v6, s17
	v_add_co_u32_e32 v3, vcc, s16, v3
	v_addc_co_u32_e32 v4, vcc, v6, v4, vcc
	global_store_dword v[3:4], v5, off offset:224
.LBB54_72:
	s_andn2_b64 vcc, exec, s[6:7]
	s_cbranch_vccnz .LBB54_74
; %bb.73:
	s_waitcnt lgkmcnt(0)
	v_add_f32_e32 v3, v0, v1
	v_mov_b32_e32 v1, s5
	v_add_co_u32_e32 v0, vcc, s4, v2
	v_addc_co_u32_e32 v1, vcc, 0, v1, vcc
	v_lshlrev_b64 v[0:1], 2, v[0:1]
	v_mov_b32_e32 v2, s19
	v_add_co_u32_e32 v0, vcc, s18, v0
	v_addc_co_u32_e32 v1, vcc, v2, v1, vcc
	global_store_dword v[0:1], v3, off offset:224
.LBB54_74:
	s_endpgm
	.section	.rodata,"a",@progbits
	.p2align	6, 0x0
	.amdhsa_kernel _ZN2at6native12_GLOBAL__N_135GammaBetaBackwardCUDAKernelTemplateIffLj64ELj8ELj64ELb0ELb1ELb0EEEvllPKT_S5_PKT0_S8_PS3_S9_
		.amdhsa_group_segment_fixed_size 0
		.amdhsa_private_segment_fixed_size 0
		.amdhsa_kernarg_size 320
		.amdhsa_user_sgpr_count 6
		.amdhsa_user_sgpr_private_segment_buffer 1
		.amdhsa_user_sgpr_dispatch_ptr 0
		.amdhsa_user_sgpr_queue_ptr 0
		.amdhsa_user_sgpr_kernarg_segment_ptr 1
		.amdhsa_user_sgpr_dispatch_id 0
		.amdhsa_user_sgpr_flat_scratch_init 0
		.amdhsa_user_sgpr_private_segment_size 0
		.amdhsa_uses_dynamic_stack 0
		.amdhsa_system_sgpr_private_segment_wavefront_offset 0
		.amdhsa_system_sgpr_workgroup_id_x 1
		.amdhsa_system_sgpr_workgroup_id_y 1
		.amdhsa_system_sgpr_workgroup_id_z 0
		.amdhsa_system_sgpr_workgroup_info 0
		.amdhsa_system_vgpr_workitem_id 1
		.amdhsa_next_free_vgpr 35
		.amdhsa_next_free_sgpr 32
		.amdhsa_reserve_vcc 1
		.amdhsa_reserve_flat_scratch 0
		.amdhsa_float_round_mode_32 0
		.amdhsa_float_round_mode_16_64 0
		.amdhsa_float_denorm_mode_32 3
		.amdhsa_float_denorm_mode_16_64 3
		.amdhsa_dx10_clamp 1
		.amdhsa_ieee_mode 1
		.amdhsa_fp16_overflow 0
		.amdhsa_exception_fp_ieee_invalid_op 0
		.amdhsa_exception_fp_denorm_src 0
		.amdhsa_exception_fp_ieee_div_zero 0
		.amdhsa_exception_fp_ieee_overflow 0
		.amdhsa_exception_fp_ieee_underflow 0
		.amdhsa_exception_fp_ieee_inexact 0
		.amdhsa_exception_int_div_zero 0
	.end_amdhsa_kernel
	.section	.text._ZN2at6native12_GLOBAL__N_135GammaBetaBackwardCUDAKernelTemplateIffLj64ELj8ELj64ELb0ELb1ELb0EEEvllPKT_S5_PKT0_S8_PS3_S9_,"axG",@progbits,_ZN2at6native12_GLOBAL__N_135GammaBetaBackwardCUDAKernelTemplateIffLj64ELj8ELj64ELb0ELb1ELb0EEEvllPKT_S5_PKT0_S8_PS3_S9_,comdat
.Lfunc_end54:
	.size	_ZN2at6native12_GLOBAL__N_135GammaBetaBackwardCUDAKernelTemplateIffLj64ELj8ELj64ELb0ELb1ELb0EEEvllPKT_S5_PKT0_S8_PS3_S9_, .Lfunc_end54-_ZN2at6native12_GLOBAL__N_135GammaBetaBackwardCUDAKernelTemplateIffLj64ELj8ELj64ELb0ELb1ELb0EEEvllPKT_S5_PKT0_S8_PS3_S9_
                                        ; -- End function
	.set _ZN2at6native12_GLOBAL__N_135GammaBetaBackwardCUDAKernelTemplateIffLj64ELj8ELj64ELb0ELb1ELb0EEEvllPKT_S5_PKT0_S8_PS3_S9_.num_vgpr, 35
	.set _ZN2at6native12_GLOBAL__N_135GammaBetaBackwardCUDAKernelTemplateIffLj64ELj8ELj64ELb0ELb1ELb0EEEvllPKT_S5_PKT0_S8_PS3_S9_.num_agpr, 0
	.set _ZN2at6native12_GLOBAL__N_135GammaBetaBackwardCUDAKernelTemplateIffLj64ELj8ELj64ELb0ELb1ELb0EEEvllPKT_S5_PKT0_S8_PS3_S9_.numbered_sgpr, 32
	.set _ZN2at6native12_GLOBAL__N_135GammaBetaBackwardCUDAKernelTemplateIffLj64ELj8ELj64ELb0ELb1ELb0EEEvllPKT_S5_PKT0_S8_PS3_S9_.num_named_barrier, 0
	.set _ZN2at6native12_GLOBAL__N_135GammaBetaBackwardCUDAKernelTemplateIffLj64ELj8ELj64ELb0ELb1ELb0EEEvllPKT_S5_PKT0_S8_PS3_S9_.private_seg_size, 0
	.set _ZN2at6native12_GLOBAL__N_135GammaBetaBackwardCUDAKernelTemplateIffLj64ELj8ELj64ELb0ELb1ELb0EEEvllPKT_S5_PKT0_S8_PS3_S9_.uses_vcc, 1
	.set _ZN2at6native12_GLOBAL__N_135GammaBetaBackwardCUDAKernelTemplateIffLj64ELj8ELj64ELb0ELb1ELb0EEEvllPKT_S5_PKT0_S8_PS3_S9_.uses_flat_scratch, 0
	.set _ZN2at6native12_GLOBAL__N_135GammaBetaBackwardCUDAKernelTemplateIffLj64ELj8ELj64ELb0ELb1ELb0EEEvllPKT_S5_PKT0_S8_PS3_S9_.has_dyn_sized_stack, 0
	.set _ZN2at6native12_GLOBAL__N_135GammaBetaBackwardCUDAKernelTemplateIffLj64ELj8ELj64ELb0ELb1ELb0EEEvllPKT_S5_PKT0_S8_PS3_S9_.has_recursion, 0
	.set _ZN2at6native12_GLOBAL__N_135GammaBetaBackwardCUDAKernelTemplateIffLj64ELj8ELj64ELb0ELb1ELb0EEEvllPKT_S5_PKT0_S8_PS3_S9_.has_indirect_call, 0
	.section	.AMDGPU.csdata,"",@progbits
; Kernel info:
; codeLenInByte = 3364
; TotalNumSgprs: 36
; NumVgprs: 35
; ScratchSize: 0
; MemoryBound: 0
; FloatMode: 240
; IeeeMode: 1
; LDSByteSize: 0 bytes/workgroup (compile time only)
; SGPRBlocks: 4
; VGPRBlocks: 8
; NumSGPRsForWavesPerEU: 36
; NumVGPRsForWavesPerEU: 35
; Occupancy: 7
; WaveLimiterHint : 0
; COMPUTE_PGM_RSRC2:SCRATCH_EN: 0
; COMPUTE_PGM_RSRC2:USER_SGPR: 6
; COMPUTE_PGM_RSRC2:TRAP_HANDLER: 0
; COMPUTE_PGM_RSRC2:TGID_X_EN: 1
; COMPUTE_PGM_RSRC2:TGID_Y_EN: 1
; COMPUTE_PGM_RSRC2:TGID_Z_EN: 0
; COMPUTE_PGM_RSRC2:TIDIG_COMP_CNT: 1
	.section	.text._ZN2at6native12_GLOBAL__N_135GammaBetaBackwardCUDAKernelTemplateIffLj64ELj8ELj64ELb0ELb0ELb0EEEvllPKT_S5_PKT0_S8_PS3_S9_,"axG",@progbits,_ZN2at6native12_GLOBAL__N_135GammaBetaBackwardCUDAKernelTemplateIffLj64ELj8ELj64ELb0ELb0ELb0EEEvllPKT_S5_PKT0_S8_PS3_S9_,comdat
	.globl	_ZN2at6native12_GLOBAL__N_135GammaBetaBackwardCUDAKernelTemplateIffLj64ELj8ELj64ELb0ELb0ELb0EEEvllPKT_S5_PKT0_S8_PS3_S9_ ; -- Begin function _ZN2at6native12_GLOBAL__N_135GammaBetaBackwardCUDAKernelTemplateIffLj64ELj8ELj64ELb0ELb0ELb0EEEvllPKT_S5_PKT0_S8_PS3_S9_
	.p2align	8
	.type	_ZN2at6native12_GLOBAL__N_135GammaBetaBackwardCUDAKernelTemplateIffLj64ELj8ELj64ELb0ELb0ELb0EEEvllPKT_S5_PKT0_S8_PS3_S9_,@function
_ZN2at6native12_GLOBAL__N_135GammaBetaBackwardCUDAKernelTemplateIffLj64ELj8ELj64ELb0ELb0ELb0EEEvllPKT_S5_PKT0_S8_PS3_S9_: ; @_ZN2at6native12_GLOBAL__N_135GammaBetaBackwardCUDAKernelTemplateIffLj64ELj8ELj64ELb0ELb0ELb0EEEvllPKT_S5_PKT0_S8_PS3_S9_
; %bb.0:
	s_load_dwordx8 s[12:19], s[4:5], 0x0
	s_load_dwordx4 s[20:23], s[4:5], 0x20
	s_lshl_b32 s10, s7, 6
	s_lshl_b32 s33, s6, 6
	s_mov_b32 s11, 0
	v_mov_b32_e32 v2, s10
	s_or_b32 s0, s33, 63
	v_mov_b32_e32 v3, s11
	v_mov_b32_e32 v18, s0
	;; [unrolled: 1-line block ×3, first 2 shown]
	s_waitcnt lgkmcnt(0)
	v_cmp_gt_i64_e64 s[0:1], s[12:13], v[2:3]
	v_cmp_le_i64_e32 vcc, s[14:15], v[18:19]
	v_cndmask_b32_e64 v2, 0, 1, s[0:1]
	v_cmp_ne_u32_e64 s[0:1], 1, v2
	s_cbranch_vccz .LBB55_49
; %bb.1:
	s_and_b64 vcc, exec, s[0:1]
	v_mov_b32_e32 v55, 0
	s_cbranch_vccnz .LBB55_50
; %bb.2:
	v_lshlrev_b32_e32 v22, 3, v1
	v_add_co_u32_e32 v9, vcc, s10, v22
	v_addc_co_u32_e64 v10, s[2:3], 0, 0, vcc
	v_mul_lo_u32 v7, s15, v9
	v_mul_lo_u32 v8, s14, v10
	v_mad_u64_u32 v[5:6], s[2:3], s14, v9, 0
	v_mov_b32_e32 v2, 0
	s_load_dword s7, s[4:5], 0x44
	v_add_u32_e32 v3, s33, v0
	v_mov_b32_e32 v4, v2
	v_add3_u32 v6, v6, v8, v7
	v_cmp_gt_i64_e64 s[2:3], s[14:15], v[3:4]
	v_lshlrev_b64 v[20:21], 2, v[3:4]
	v_lshlrev_b64 v[3:4], 2, v[5:6]
	s_add_u32 s24, s4, 64
	v_mov_b32_e32 v7, s17
	v_add_co_u32_e32 v23, vcc, s16, v3
	s_addc_u32 s25, s5, 0
	s_waitcnt lgkmcnt(0)
	s_lshl_b32 s7, s7, 6
	v_addc_co_u32_e32 v24, vcc, v7, v4, vcc
	s_mul_i32 s8, s15, s7
	s_mul_hi_u32 s9, s14, s7
	v_add_co_u32_e32 v7, vcc, 7, v9
	s_add_i32 s9, s9, s8
	s_mul_i32 s8, s14, s7
	v_addc_co_u32_e32 v8, vcc, 0, v10, vcc
	s_lshl_b64 s[26:27], s[8:9], 2
	v_mul_lo_u32 v12, s15, v7
	v_mul_lo_u32 v13, s14, v8
	v_mad_u64_u32 v[7:8], s[8:9], s14, v7, 0
	v_mov_b32_e32 v11, s19
	v_add_co_u32_e32 v25, vcc, s18, v3
	v_add3_u32 v8, v8, v13, v12
	v_addc_co_u32_e32 v26, vcc, v11, v4, vcc
	v_lshlrev_b64 v[3:4], 2, v[7:8]
	v_mov_b32_e32 v7, s17
	v_add_co_u32_e32 v27, vcc, s16, v3
	v_addc_co_u32_e32 v28, vcc, v7, v4, vcc
	v_add_co_u32_e32 v7, vcc, 6, v9
	v_addc_co_u32_e32 v8, vcc, 0, v10, vcc
	v_mul_lo_u32 v12, s15, v7
	v_mul_lo_u32 v13, s14, v8
	v_mad_u64_u32 v[7:8], s[8:9], s14, v7, 0
	v_add_co_u32_e32 v29, vcc, s18, v3
	v_add3_u32 v8, v8, v13, v12
	v_addc_co_u32_e32 v30, vcc, v11, v4, vcc
	v_lshlrev_b64 v[3:4], 2, v[7:8]
	v_mov_b32_e32 v7, s17
	v_add_co_u32_e32 v31, vcc, s16, v3
	v_addc_co_u32_e32 v32, vcc, v7, v4, vcc
	v_add_co_u32_e32 v7, vcc, 5, v9
	v_addc_co_u32_e32 v8, vcc, 0, v10, vcc
	v_mul_lo_u32 v12, s15, v7
	v_mul_lo_u32 v13, s14, v8
	v_mad_u64_u32 v[7:8], s[8:9], s14, v7, 0
	;; [unrolled: 12-line block ×5, first 2 shown]
	v_add_co_u32_e32 v45, vcc, s18, v3
	v_add3_u32 v8, v8, v10, v9
	v_addc_co_u32_e32 v46, vcc, v11, v4, vcc
	v_lshlrev_b64 v[3:4], 2, v[7:8]
	v_mov_b32_e32 v7, s17
	v_add_co_u32_e32 v47, vcc, s16, v3
	v_addc_co_u32_e32 v48, vcc, v7, v4, vcc
	v_mov_b32_e32 v7, s19
	v_add_co_u32_e32 v49, vcc, s18, v3
	v_addc_co_u32_e32 v50, vcc, v7, v4, vcc
	;; [unrolled: 3-line block ×3, first 2 shown]
	v_lshlrev_b64 v[3:4], 2, v[3:4]
	v_mov_b32_e32 v5, s17
	v_add_co_u32_e32 v51, vcc, s16, v3
	v_addc_co_u32_e32 v52, vcc, v5, v4, vcc
	v_add_co_u32_e32 v53, vcc, s18, v3
	v_mbcnt_lo_u32_b32 v3, -1, 0
	v_mbcnt_hi_u32_b32 v3, -1, v3
	v_mov_b32_e32 v5, s19
	s_add_u32 s28, s10, 63
	v_lshlrev_b32_e32 v3, 2, v3
	v_addc_co_u32_e32 v54, vcc, v5, v4, vcc
	s_addc_u32 s29, 0, 0
	v_and_b32_e32 v56, 0x100, v3
	v_mov_b32_e32 v57, 0
	v_mov_b32_e32 v19, 0
	s_mov_b64 s[30:31], s[10:11]
.LBB55_3:                               ; =>This Inner Loop Header: Depth=1
	v_mov_b32_e32 v3, s12
	v_mov_b32_e32 v4, s13
	v_cmp_ge_i64_e32 vcc, s[28:29], v[3:4]
	v_mov_b32_e32 v3, s29
	v_add_co_u32_e64 v58, s[8:9], s28, v22
	v_addc_co_u32_e64 v59, s[8:9], 0, v3, s[8:9]
	s_mov_b64 s[8:9], -1
	s_and_b64 vcc, exec, vcc
                                        ; implicit-def: $vgpr3_vgpr4_vgpr5_vgpr6_vgpr7_vgpr8_vgpr9_vgpr10
                                        ; implicit-def: $vgpr62
                                        ; implicit-def: $vgpr11_vgpr12_vgpr13_vgpr14_vgpr15_vgpr16_vgpr17_vgpr18
                                        ; implicit-def: $vgpr3
                                        ; implicit-def: $vgpr4
                                        ; implicit-def: $vgpr55
	s_cbranch_vccz .LBB55_25
; %bb.4:                                ;   in Loop: Header=BB55_3 Depth=1
	s_load_dword s8, s[24:25], 0xc
	v_mov_b32_e32 v60, 0
	v_mov_b32_e32 v61, 0
	s_waitcnt lgkmcnt(0)
	s_and_b32 s8, s8, 0xffff
	v_mad_u32_u24 v3, v1, s8, v0
	v_and_b32_e32 v3, 63, v3
	v_cmp_gt_u32_e32 vcc, 8, v3
	s_and_saveexec_b64 s[8:9], vcc
	s_cbranch_execz .LBB55_8
; %bb.5:                                ;   in Loop: Header=BB55_3 Depth=1
	v_add_co_u32_e32 v3, vcc, v58, v3
	v_addc_co_u32_e32 v4, vcc, 0, v59, vcc
	v_add_co_u32_e32 v3, vcc, 0xffffffc1, v3
	v_addc_co_u32_e32 v4, vcc, -1, v4, vcc
	v_cmp_gt_i64_e32 vcc, s[12:13], v[3:4]
	v_mov_b32_e32 v61, 0
	v_mov_b32_e32 v60, 0
	s_and_saveexec_b64 s[34:35], vcc
	s_cbranch_execz .LBB55_7
; %bb.6:                                ;   in Loop: Header=BB55_3 Depth=1
	v_lshlrev_b64 v[3:4], 2, v[3:4]
	v_mov_b32_e32 v6, s23
	v_add_co_u32_e32 v5, vcc, s22, v3
	v_addc_co_u32_e32 v6, vcc, v6, v4, vcc
	v_mov_b32_e32 v7, s21
	v_add_co_u32_e32 v3, vcc, s20, v3
	v_addc_co_u32_e32 v4, vcc, v7, v4, vcc
	global_load_dword v61, v[3:4], off
	global_load_dword v60, v[5:6], off
.LBB55_7:                               ;   in Loop: Header=BB55_3 Depth=1
	s_or_b64 exec, exec, s[34:35]
.LBB55_8:                               ;   in Loop: Header=BB55_3 Depth=1
	s_or_b64 exec, exec, s[8:9]
	v_add_co_u32_e32 v3, vcc, 0xffffffc1, v58
	v_addc_co_u32_e32 v4, vcc, -1, v59, vcc
	v_mov_b32_e32 v9, v2
	v_cmp_gt_i64_e32 vcc, s[12:13], v[3:4]
	v_mov_b32_e32 v3, v2
	v_mov_b32_e32 v4, v2
	;; [unrolled: 1-line block ×15, first 2 shown]
	s_and_b64 s[34:35], s[2:3], vcc
	v_mov_b32_e32 v9, v8
	v_mov_b32_e32 v8, v7
	;; [unrolled: 1-line block ×7, first 2 shown]
	s_and_saveexec_b64 s[8:9], s[34:35]
	s_cbranch_execz .LBB55_10
; %bb.9:                                ;   in Loop: Header=BB55_3 Depth=1
	v_add_co_u32_e32 v3, vcc, v23, v20
	v_addc_co_u32_e32 v4, vcc, v24, v21, vcc
	global_load_dword v3, v[3:4], off
	v_add_co_u32_e32 v4, vcc, v25, v20
	v_addc_co_u32_e32 v5, vcc, v26, v21, vcc
	global_load_dword v11, v[4:5], off
	v_mov_b32_e32 v4, v2
	v_mov_b32_e32 v5, v2
	;; [unrolled: 1-line block ×14, first 2 shown]
.LBB55_10:                              ;   in Loop: Header=BB55_3 Depth=1
	s_or_b64 exec, exec, s[8:9]
	v_add_co_u32_e32 v62, vcc, 0xffffffc2, v58
	v_addc_co_u32_e32 v63, vcc, -1, v59, vcc
	v_cmp_gt_i64_e32 vcc, s[12:13], v[62:63]
	s_and_b64 s[34:35], s[2:3], vcc
	s_and_saveexec_b64 s[8:9], s[34:35]
	s_cbranch_execz .LBB55_12
; %bb.11:                               ;   in Loop: Header=BB55_3 Depth=1
	v_add_co_u32_e32 v62, vcc, v51, v20
	v_addc_co_u32_e32 v63, vcc, v52, v21, vcc
	global_load_dword v4, v[62:63], off
	v_add_co_u32_e32 v62, vcc, v53, v20
	v_addc_co_u32_e32 v63, vcc, v54, v21, vcc
	global_load_dword v12, v[62:63], off
.LBB55_12:                              ;   in Loop: Header=BB55_3 Depth=1
	s_or_b64 exec, exec, s[8:9]
	v_add_co_u32_e32 v62, vcc, 0xffffffc3, v58
	v_addc_co_u32_e32 v63, vcc, -1, v59, vcc
	v_cmp_gt_i64_e32 vcc, s[12:13], v[62:63]
	s_and_b64 s[34:35], s[2:3], vcc
	s_and_saveexec_b64 s[8:9], s[34:35]
	s_cbranch_execz .LBB55_14
; %bb.13:                               ;   in Loop: Header=BB55_3 Depth=1
	v_add_co_u32_e32 v62, vcc, v47, v20
	v_addc_co_u32_e32 v63, vcc, v48, v21, vcc
	global_load_dword v5, v[62:63], off
	v_add_co_u32_e32 v62, vcc, v49, v20
	v_addc_co_u32_e32 v63, vcc, v50, v21, vcc
	global_load_dword v13, v[62:63], off
.LBB55_14:                              ;   in Loop: Header=BB55_3 Depth=1
	;; [unrolled: 15-line block ×7, first 2 shown]
	s_or_b64 exec, exec, s[8:9]
	s_waitcnt vmcnt(1)
	ds_bpermute_b32 v55, v56, v61
	s_waitcnt vmcnt(0)
	ds_bpermute_b32 v62, v56, v60
	ds_bpermute_b32 v64, v56, v61 offset:4
	ds_bpermute_b32 v65, v56, v60 offset:4
	v_add_f32_e32 v63, v19, v3
	s_waitcnt lgkmcnt(3)
	v_sub_f32_e32 v11, v11, v55
	v_mul_f32_e32 v3, v3, v11
	s_waitcnt lgkmcnt(2)
	v_fma_f32 v55, v3, v62, v57
	s_waitcnt lgkmcnt(1)
	v_sub_f32_e32 v3, v12, v64
	ds_bpermute_b32 v11, v56, v61 offset:8
	v_mul_f32_e32 v3, v4, v3
	s_waitcnt lgkmcnt(1)
	v_fmac_f32_e32 v55, v3, v65
	ds_bpermute_b32 v3, v56, v60 offset:8
	ds_bpermute_b32 v12, v56, v61 offset:12
	s_waitcnt lgkmcnt(2)
	v_sub_f32_e32 v11, v13, v11
	v_mul_f32_e32 v11, v5, v11
	v_add_f32_e32 v4, v4, v63
	s_waitcnt lgkmcnt(1)
	v_fmac_f32_e32 v55, v11, v3
	ds_bpermute_b32 v3, v56, v60 offset:12
	v_add_f32_e32 v4, v5, v4
	s_waitcnt lgkmcnt(1)
	v_sub_f32_e32 v5, v14, v12
	ds_bpermute_b32 v11, v56, v61 offset:16
	v_mul_f32_e32 v5, v6, v5
	s_waitcnt lgkmcnt(1)
	v_fmac_f32_e32 v55, v5, v3
	ds_bpermute_b32 v3, v56, v60 offset:16
	v_add_f32_e32 v4, v6, v4
	s_waitcnt lgkmcnt(1)
	v_sub_f32_e32 v5, v15, v11
	ds_bpermute_b32 v6, v56, v61 offset:20
	v_mul_f32_e32 v5, v7, v5
	s_waitcnt lgkmcnt(1)
	v_fmac_f32_e32 v55, v5, v3
	ds_bpermute_b32 v3, v56, v60 offset:20
	ds_bpermute_b32 v62, v56, v60 offset:28
	s_waitcnt lgkmcnt(2)
	v_sub_f32_e32 v5, v16, v6
	ds_bpermute_b32 v6, v56, v61 offset:24
	v_mul_f32_e32 v5, v8, v5
	s_waitcnt lgkmcnt(2)
	v_fmac_f32_e32 v55, v5, v3
	ds_bpermute_b32 v5, v56, v60 offset:24
	ds_bpermute_b32 v3, v56, v61 offset:28
	v_add_f32_e32 v4, v7, v4
	s_waitcnt lgkmcnt(2)
	v_sub_f32_e32 v6, v17, v6
	v_add_f32_e32 v4, v8, v4
	v_mul_f32_e32 v6, v9, v6
	s_waitcnt lgkmcnt(1)
	v_fmac_f32_e32 v55, v6, v5
	v_add_f32_e32 v4, v9, v4
	s_mov_b64 s[8:9], 0
.LBB55_25:                              ;   in Loop: Header=BB55_3 Depth=1
	s_and_b64 vcc, exec, s[8:9]
	s_cbranch_vccz .LBB55_40
; %bb.26:                               ;   in Loop: Header=BB55_3 Depth=1
	s_load_dword s8, s[24:25], 0x0
	v_mov_b32_e32 v55, 0
	v_mov_b32_e32 v60, 0
	s_waitcnt lgkmcnt(0)
	s_cmp_lt_u32 s6, s8
	s_cselect_b32 s8, 12, 18
	s_add_u32 s8, s24, s8
	s_addc_u32 s9, s25, 0
	global_load_ushort v3, v2, s[8:9]
	s_waitcnt vmcnt(0)
	v_mad_u32_u24 v3, v1, v3, v0
	v_and_b32_e32 v3, 63, v3
	v_cmp_gt_u32_e32 vcc, 8, v3
	s_and_saveexec_b64 s[8:9], vcc
	s_cbranch_execz .LBB55_30
; %bb.27:                               ;   in Loop: Header=BB55_3 Depth=1
	v_add_co_u32_e32 v3, vcc, v58, v3
	v_addc_co_u32_e32 v4, vcc, 0, v59, vcc
	v_add_co_u32_e32 v3, vcc, 0xffffffc1, v3
	v_addc_co_u32_e32 v4, vcc, -1, v4, vcc
	v_cmp_gt_i64_e32 vcc, s[12:13], v[3:4]
	v_mov_b32_e32 v60, 0
	v_mov_b32_e32 v55, 0
	s_and_saveexec_b64 s[34:35], vcc
	s_cbranch_execz .LBB55_29
; %bb.28:                               ;   in Loop: Header=BB55_3 Depth=1
	v_lshlrev_b64 v[3:4], 2, v[3:4]
	v_mov_b32_e32 v6, s23
	v_add_co_u32_e32 v5, vcc, s22, v3
	v_addc_co_u32_e32 v6, vcc, v6, v4, vcc
	v_mov_b32_e32 v7, s21
	v_add_co_u32_e32 v3, vcc, s20, v3
	v_addc_co_u32_e32 v4, vcc, v7, v4, vcc
	global_load_dword v60, v[3:4], off
	global_load_dword v55, v[5:6], off
.LBB55_29:                              ;   in Loop: Header=BB55_3 Depth=1
	s_or_b64 exec, exec, s[34:35]
.LBB55_30:                              ;   in Loop: Header=BB55_3 Depth=1
	s_or_b64 exec, exec, s[8:9]
	v_mov_b32_e32 v9, v2
	v_mov_b32_e32 v3, v2
	;; [unrolled: 1-line block ×23, first 2 shown]
	s_and_saveexec_b64 s[8:9], s[2:3]
	s_cbranch_execnz .LBB55_42
; %bb.31:                               ;   in Loop: Header=BB55_3 Depth=1
	s_or_b64 exec, exec, s[8:9]
	s_and_saveexec_b64 s[8:9], s[2:3]
	s_cbranch_execnz .LBB55_43
.LBB55_32:                              ;   in Loop: Header=BB55_3 Depth=1
	s_or_b64 exec, exec, s[8:9]
	s_and_saveexec_b64 s[8:9], s[2:3]
	s_cbranch_execnz .LBB55_44
.LBB55_33:                              ;   in Loop: Header=BB55_3 Depth=1
	s_or_b64 exec, exec, s[8:9]
	s_and_saveexec_b64 s[8:9], s[2:3]
	s_cbranch_execnz .LBB55_45
.LBB55_34:                              ;   in Loop: Header=BB55_3 Depth=1
	s_or_b64 exec, exec, s[8:9]
	s_and_saveexec_b64 s[8:9], s[2:3]
	s_cbranch_execnz .LBB55_46
.LBB55_35:                              ;   in Loop: Header=BB55_3 Depth=1
	s_or_b64 exec, exec, s[8:9]
	s_and_saveexec_b64 s[8:9], s[2:3]
	s_cbranch_execnz .LBB55_47
.LBB55_36:                              ;   in Loop: Header=BB55_3 Depth=1
	s_or_b64 exec, exec, s[8:9]
	s_and_saveexec_b64 s[8:9], s[2:3]
	s_cbranch_execnz .LBB55_48
.LBB55_37:                              ;   in Loop: Header=BB55_3 Depth=1
	s_or_b64 exec, exec, s[8:9]
	s_and_saveexec_b64 s[8:9], s[2:3]
	s_cbranch_execz .LBB55_39
.LBB55_38:                              ;   in Loop: Header=BB55_3 Depth=1
	v_add_co_u32_e32 v58, vcc, v27, v20
	v_addc_co_u32_e32 v59, vcc, v28, v21, vcc
	global_load_dword v10, v[58:59], off
	v_add_co_u32_e32 v58, vcc, v29, v20
	v_addc_co_u32_e32 v59, vcc, v30, v21, vcc
	global_load_dword v18, v[58:59], off
.LBB55_39:                              ;   in Loop: Header=BB55_3 Depth=1
	s_or_b64 exec, exec, s[8:9]
	s_waitcnt vmcnt(1)
	ds_bpermute_b32 v58, v56, v60
	s_waitcnt vmcnt(0)
	ds_bpermute_b32 v59, v56, v55
	ds_bpermute_b32 v61, v56, v60 offset:4
	ds_bpermute_b32 v62, v56, v55 offset:4
	v_add_f32_e32 v19, v19, v3
	s_waitcnt lgkmcnt(3)
	v_sub_f32_e32 v11, v11, v58
	v_mul_f32_e32 v3, v3, v11
	s_waitcnt lgkmcnt(2)
	v_fmac_f32_e32 v57, v3, v59
	s_waitcnt lgkmcnt(1)
	v_sub_f32_e32 v3, v12, v61
	ds_bpermute_b32 v11, v56, v60 offset:8
	v_mul_f32_e32 v3, v4, v3
	s_waitcnt lgkmcnt(1)
	v_fmac_f32_e32 v57, v3, v62
	ds_bpermute_b32 v3, v56, v55 offset:8
	ds_bpermute_b32 v12, v56, v60 offset:12
	s_waitcnt lgkmcnt(2)
	v_sub_f32_e32 v11, v13, v11
	v_mul_f32_e32 v11, v5, v11
	v_add_f32_e32 v4, v4, v19
	s_waitcnt lgkmcnt(1)
	v_fmac_f32_e32 v57, v11, v3
	ds_bpermute_b32 v3, v56, v55 offset:12
	v_add_f32_e32 v4, v5, v4
	s_waitcnt lgkmcnt(1)
	v_sub_f32_e32 v5, v14, v12
	ds_bpermute_b32 v11, v56, v60 offset:16
	v_mul_f32_e32 v5, v6, v5
	s_waitcnt lgkmcnt(1)
	v_fmac_f32_e32 v57, v5, v3
	ds_bpermute_b32 v3, v56, v55 offset:16
	v_add_f32_e32 v4, v6, v4
	s_waitcnt lgkmcnt(1)
	v_sub_f32_e32 v5, v15, v11
	ds_bpermute_b32 v6, v56, v60 offset:20
	v_mul_f32_e32 v5, v7, v5
	s_waitcnt lgkmcnt(1)
	v_fmac_f32_e32 v57, v5, v3
	ds_bpermute_b32 v3, v56, v55 offset:20
	ds_bpermute_b32 v62, v56, v55 offset:28
	s_waitcnt lgkmcnt(2)
	v_sub_f32_e32 v5, v16, v6
	ds_bpermute_b32 v6, v56, v60 offset:24
	v_mul_f32_e32 v5, v8, v5
	s_waitcnt lgkmcnt(2)
	v_fmac_f32_e32 v57, v5, v3
	ds_bpermute_b32 v5, v56, v55 offset:24
	ds_bpermute_b32 v3, v56, v60 offset:28
	s_waitcnt lgkmcnt(2)
	v_sub_f32_e32 v6, v17, v6
	v_add_f32_e32 v4, v7, v4
	v_mul_f32_e32 v6, v9, v6
	v_add_f32_e32 v4, v8, v4
	s_waitcnt lgkmcnt(1)
	v_fmac_f32_e32 v57, v6, v5
	v_add_f32_e32 v4, v9, v4
	v_mov_b32_e32 v55, v57
.LBB55_40:                              ;   in Loop: Header=BB55_3 Depth=1
	s_waitcnt lgkmcnt(0)
	v_sub_f32_e32 v3, v18, v3
	v_mul_f32_e32 v3, v10, v3
	v_fmac_f32_e32 v55, v3, v62
	v_mov_b32_e32 v3, s27
	v_add_co_u32_e32 v23, vcc, s26, v23
	v_addc_co_u32_e32 v24, vcc, v24, v3, vcc
	v_add_co_u32_e32 v25, vcc, s26, v25
	v_addc_co_u32_e32 v26, vcc, v26, v3, vcc
	;; [unrolled: 2-line block ×15, first 2 shown]
	v_add_co_u32_e32 v53, vcc, s26, v53
	v_add_f32_e32 v19, v4, v10
	s_add_u32 s30, s30, s7
	v_addc_co_u32_e32 v54, vcc, v54, v3, vcc
	v_mov_b32_e32 v3, s12
	s_addc_u32 s31, s31, 0
	v_mov_b32_e32 v4, s13
	v_cmp_lt_i64_e32 vcc, s[30:31], v[3:4]
	s_add_u32 s28, s28, s7
	s_addc_u32 s29, s29, 0
	s_cbranch_vccz .LBB55_50
; %bb.41:                               ;   in Loop: Header=BB55_3 Depth=1
	v_mov_b32_e32 v57, v55
	s_branch .LBB55_3
.LBB55_42:                              ;   in Loop: Header=BB55_3 Depth=1
	v_add_co_u32_e32 v3, vcc, v23, v20
	v_addc_co_u32_e32 v4, vcc, v24, v21, vcc
	global_load_dword v3, v[3:4], off
	v_add_co_u32_e32 v4, vcc, v25, v20
	v_addc_co_u32_e32 v5, vcc, v26, v21, vcc
	global_load_dword v11, v[4:5], off
	v_mov_b32_e32 v4, v2
	v_mov_b32_e32 v5, v2
	;; [unrolled: 1-line block ×14, first 2 shown]
	s_or_b64 exec, exec, s[8:9]
	s_and_saveexec_b64 s[8:9], s[2:3]
	s_cbranch_execz .LBB55_32
.LBB55_43:                              ;   in Loop: Header=BB55_3 Depth=1
	v_add_co_u32_e32 v58, vcc, v51, v20
	v_addc_co_u32_e32 v59, vcc, v52, v21, vcc
	global_load_dword v4, v[58:59], off
	v_add_co_u32_e32 v58, vcc, v53, v20
	v_addc_co_u32_e32 v59, vcc, v54, v21, vcc
	global_load_dword v12, v[58:59], off
	s_or_b64 exec, exec, s[8:9]
	s_and_saveexec_b64 s[8:9], s[2:3]
	s_cbranch_execz .LBB55_33
.LBB55_44:                              ;   in Loop: Header=BB55_3 Depth=1
	v_add_co_u32_e32 v58, vcc, v47, v20
	v_addc_co_u32_e32 v59, vcc, v48, v21, vcc
	global_load_dword v5, v[58:59], off
	v_add_co_u32_e32 v58, vcc, v49, v20
	v_addc_co_u32_e32 v59, vcc, v50, v21, vcc
	global_load_dword v13, v[58:59], off
	s_or_b64 exec, exec, s[8:9]
	s_and_saveexec_b64 s[8:9], s[2:3]
	s_cbranch_execz .LBB55_34
.LBB55_45:                              ;   in Loop: Header=BB55_3 Depth=1
	v_add_co_u32_e32 v58, vcc, v43, v20
	v_addc_co_u32_e32 v59, vcc, v44, v21, vcc
	global_load_dword v6, v[58:59], off
	v_add_co_u32_e32 v58, vcc, v45, v20
	v_addc_co_u32_e32 v59, vcc, v46, v21, vcc
	global_load_dword v14, v[58:59], off
	s_or_b64 exec, exec, s[8:9]
	s_and_saveexec_b64 s[8:9], s[2:3]
	s_cbranch_execz .LBB55_35
.LBB55_46:                              ;   in Loop: Header=BB55_3 Depth=1
	v_add_co_u32_e32 v58, vcc, v39, v20
	v_addc_co_u32_e32 v59, vcc, v40, v21, vcc
	global_load_dword v7, v[58:59], off
	v_add_co_u32_e32 v58, vcc, v41, v20
	v_addc_co_u32_e32 v59, vcc, v42, v21, vcc
	global_load_dword v15, v[58:59], off
	s_or_b64 exec, exec, s[8:9]
	s_and_saveexec_b64 s[8:9], s[2:3]
	s_cbranch_execz .LBB55_36
.LBB55_47:                              ;   in Loop: Header=BB55_3 Depth=1
	v_add_co_u32_e32 v58, vcc, v35, v20
	v_addc_co_u32_e32 v59, vcc, v36, v21, vcc
	global_load_dword v8, v[58:59], off
	v_add_co_u32_e32 v58, vcc, v37, v20
	v_addc_co_u32_e32 v59, vcc, v38, v21, vcc
	global_load_dword v16, v[58:59], off
	s_or_b64 exec, exec, s[8:9]
	s_and_saveexec_b64 s[8:9], s[2:3]
	s_cbranch_execz .LBB55_37
.LBB55_48:                              ;   in Loop: Header=BB55_3 Depth=1
	v_add_co_u32_e32 v58, vcc, v31, v20
	v_addc_co_u32_e32 v59, vcc, v32, v21, vcc
	global_load_dword v9, v[58:59], off
	v_add_co_u32_e32 v58, vcc, v33, v20
	v_addc_co_u32_e32 v59, vcc, v34, v21, vcc
	global_load_dword v17, v[58:59], off
	s_or_b64 exec, exec, s[8:9]
	s_and_saveexec_b64 s[8:9], s[2:3]
	s_cbranch_execnz .LBB55_38
	s_branch .LBB55_39
.LBB55_49:
                                        ; implicit-def: $vgpr19
                                        ; implicit-def: $vgpr55
	s_branch .LBB55_51
.LBB55_50:
	s_cbranch_execnz .LBB55_82
.LBB55_51:
	v_mov_b32_e32 v19, 0
	s_and_b64 vcc, exec, s[0:1]
	v_mov_b32_e32 v55, 0
	s_cbranch_vccnz .LBB55_82
; %bb.52:
	v_lshlrev_b32_e32 v50, 3, v1
	v_add_co_u32_e32 v6, vcc, s10, v50
	v_addc_co_u32_e64 v7, s[0:1], 0, 0, vcc
	s_load_dword s7, s[4:5], 0x44
	v_mul_lo_u32 v2, s15, v6
	v_mul_lo_u32 v3, s14, v7
	v_mad_u64_u32 v[4:5], s[0:1], s14, v6, 0
	s_add_u32 s2, s4, 64
	s_addc_u32 s3, s5, 0
	v_add3_u32 v5, v5, v3, v2
	s_waitcnt lgkmcnt(0)
	s_lshl_b32 s7, s7, 6
	v_lshlrev_b64 v[2:3], 2, v[4:5]
	s_mul_i32 s0, s15, s7
	s_mul_hi_u32 s1, s14, s7
	v_mov_b32_e32 v8, s17
	v_add_co_u32_e32 v51, vcc, s16, v2
	s_add_i32 s1, s1, s0
	s_mul_i32 s0, s14, s7
	v_addc_co_u32_e32 v52, vcc, v8, v3, vcc
	s_lshl_b64 s[8:9], s[0:1], 2
	v_mov_b32_e32 v8, s19
	v_add_co_u32_e32 v53, vcc, s18, v2
	s_add_u32 s24, s10, 63
	v_addc_co_u32_e32 v54, vcc, v8, v3, vcc
	s_addc_u32 s25, 0, 0
	v_lshlrev_b32_e32 v2, 5, v1
	s_lshl_b64 s[0:1], s[10:11], 2
	v_mov_b32_e32 v3, s1
	v_add_co_u32_e32 v8, vcc, s0, v2
	v_addc_co_u32_e32 v9, vcc, 0, v3, vcc
	v_add_co_u32_e32 v12, vcc, 4, v8
	v_addc_co_u32_e32 v10, vcc, 0, v9, vcc
	v_mov_b32_e32 v2, s16
	v_mul_lo_u32 v14, s14, v10
	v_mov_b32_e32 v10, s18
	v_mov_b32_e32 v3, s17
	;; [unrolled: 1-line block ×3, first 2 shown]
	v_mad_u64_u32 v[20:21], s[0:1], s14, v12, v[2:3]
	v_mul_lo_u32 v15, s15, v12
	v_mad_u64_u32 v[22:23], s[0:1], s14, v12, v[10:11]
	v_add_co_u32_e32 v12, vcc, 8, v8
	v_addc_co_u32_e32 v16, vcc, 0, v9, vcc
	v_mov_b32_e32 v13, s15
	v_add_co_u32_e32 v4, vcc, s14, v4
	v_addc_co_u32_e32 v5, vcc, v5, v13, vcc
	v_mul_lo_u32 v17, s15, v12
	v_mad_u64_u32 v[24:25], s[0:1], s14, v12, v[2:3]
	v_mad_u64_u32 v[26:27], s[0:1], s14, v12, v[10:11]
	v_add_co_u32_e32 v12, vcc, 12, v8
	v_addc_co_u32_e32 v13, vcc, 0, v9, vcc
	v_add3_u32 v21, v15, v21, v14
	v_add3_u32 v23, v15, v23, v14
	v_mul_lo_u32 v13, s14, v13
	v_mul_lo_u32 v14, s15, v12
	v_mad_u64_u32 v[28:29], s[0:1], s14, v12, v[2:3]
	v_mad_u64_u32 v[30:31], s[0:1], s14, v12, v[10:11]
	v_add_co_u32_e32 v12, vcc, 16, v8
	v_mul_lo_u32 v16, s14, v16
	v_addc_co_u32_e32 v15, vcc, 0, v9, vcc
	v_mul_lo_u32 v18, s15, v12
	v_mad_u64_u32 v[32:33], s[0:1], s14, v12, v[2:3]
	v_mad_u64_u32 v[34:35], s[0:1], s14, v12, v[10:11]
	v_add_co_u32_e32 v12, vcc, 20, v8
	v_add3_u32 v29, v14, v29, v13
	v_add3_u32 v31, v14, v31, v13
	v_addc_co_u32_e32 v13, vcc, 0, v9, vcc
	v_mul_lo_u32 v14, s15, v12
	v_mad_u64_u32 v[36:37], s[0:1], s14, v12, v[2:3]
	v_mad_u64_u32 v[38:39], s[0:1], s14, v12, v[10:11]
	v_add_co_u32_e32 v12, vcc, 24, v8
	v_add3_u32 v25, v17, v25, v16
	v_add3_u32 v27, v17, v27, v16
	v_addc_co_u32_e32 v16, vcc, 0, v9, vcc
	v_add_co_u32_e32 v8, vcc, 28, v8
	v_addc_co_u32_e32 v9, vcc, 0, v9, vcc
	v_mad_u64_u32 v[40:41], s[0:1], s14, v12, v[2:3]
	v_mad_u64_u32 v[44:45], s[0:1], s14, v8, v[2:3]
	v_add_co_u32_e32 v2, vcc, 7, v6
	v_addc_co_u32_e32 v3, vcc, 0, v7, vcc
	v_mad_u64_u32 v[42:43], s[0:1], s14, v12, v[10:11]
	v_mad_u64_u32 v[46:47], s[0:1], s14, v8, v[10:11]
	v_mul_lo_u32 v10, s14, v3
	v_mul_lo_u32 v11, s15, v2
	v_mad_u64_u32 v[2:3], s[0:1], s14, v2, 0
	v_mul_lo_u32 v9, s14, v9
	v_mul_lo_u32 v8, s15, v8
	v_add3_u32 v3, v3, v10, v11
	v_lshlrev_b64 v[2:3], 2, v[2:3]
	v_mul_lo_u32 v17, s15, v12
	v_add3_u32 v45, v8, v45, v9
	v_add3_u32 v47, v8, v47, v9
	v_mov_b32_e32 v8, s17
	v_add_co_u32_e32 v56, vcc, s16, v2
	v_addc_co_u32_e32 v57, vcc, v8, v3, vcc
	v_add_co_u32_e32 v8, vcc, 6, v6
	v_addc_co_u32_e32 v9, vcc, 0, v7, vcc
	v_mul_lo_u32 v11, s14, v9
	v_mul_lo_u32 v12, s15, v8
	v_mad_u64_u32 v[8:9], s[0:1], s14, v8, 0
	v_mov_b32_e32 v10, s19
	v_add_co_u32_e32 v58, vcc, s18, v2
	v_add3_u32 v9, v9, v11, v12
	v_addc_co_u32_e32 v59, vcc, v10, v3, vcc
	v_lshlrev_b64 v[2:3], 2, v[8:9]
	v_mov_b32_e32 v8, s17
	v_add_co_u32_e32 v60, vcc, s16, v2
	v_addc_co_u32_e32 v61, vcc, v8, v3, vcc
	v_add_co_u32_e32 v8, vcc, 5, v6
	v_addc_co_u32_e32 v9, vcc, 0, v7, vcc
	v_mul_lo_u32 v11, s14, v9
	v_mul_lo_u32 v12, s15, v8
	v_mad_u64_u32 v[8:9], s[0:1], s14, v8, 0
	v_add_co_u32_e32 v62, vcc, s18, v2
	v_add3_u32 v9, v9, v11, v12
	v_addc_co_u32_e32 v63, vcc, v10, v3, vcc
	v_lshlrev_b64 v[2:3], 2, v[8:9]
	v_mov_b32_e32 v8, s17
	v_add_co_u32_e32 v64, vcc, s16, v2
	v_addc_co_u32_e32 v65, vcc, v8, v3, vcc
	v_add_co_u32_e32 v8, vcc, 4, v6
	v_addc_co_u32_e32 v9, vcc, 0, v7, vcc
	v_mul_lo_u32 v11, s14, v9
	v_mul_lo_u32 v12, s15, v8
	v_mad_u64_u32 v[8:9], s[0:1], s14, v8, 0
	;; [unrolled: 12-line block ×4, first 2 shown]
	v_mov_b32_e32 v8, s19
	v_add_co_u32_e32 v74, vcc, s18, v2
	v_add3_u32 v7, v7, v9, v10
	v_addc_co_u32_e32 v75, vcc, v8, v3, vcc
	v_lshlrev_b64 v[2:3], 2, v[6:7]
	v_mov_b32_e32 v6, s17
	v_add_co_u32_e32 v76, vcc, s16, v2
	v_addc_co_u32_e32 v77, vcc, v6, v3, vcc
	v_mov_b32_e32 v6, s19
	v_add_co_u32_e32 v78, vcc, s18, v2
	v_addc_co_u32_e32 v79, vcc, v6, v3, vcc
	v_lshlrev_b64 v[2:3], 2, v[4:5]
	v_mov_b32_e32 v4, s17
	v_add_co_u32_e32 v80, vcc, s16, v2
	v_addc_co_u32_e32 v81, vcc, v4, v3, vcc
	v_mov_b32_e32 v4, s19
	v_add_co_u32_e32 v82, vcc, s18, v2
	v_mov_b32_e32 v2, 0
	v_mul_lo_u32 v15, s14, v15
	v_mul_lo_u32 v13, s14, v13
	;; [unrolled: 1-line block ×3, first 2 shown]
	v_addc_co_u32_e32 v83, vcc, v4, v3, vcc
	v_add_u32_e32 v3, s33, v0
	v_mov_b32_e32 v4, v2
	v_lshlrev_b64 v[48:49], 2, v[3:4]
	v_mbcnt_lo_u32_b32 v3, -1, 0
	v_mbcnt_hi_u32_b32 v3, -1, v3
	v_lshlrev_b32_e32 v3, 2, v3
	v_add3_u32 v33, v18, v33, v15
	v_add3_u32 v35, v18, v35, v15
	;; [unrolled: 1-line block ×6, first 2 shown]
	v_and_b32_e32 v84, 0x100, v3
	v_mov_b32_e32 v55, 0
	v_mov_b32_e32 v19, 0
	s_branch .LBB55_56
.LBB55_53:                              ;   in Loop: Header=BB55_56 Depth=1
	s_or_b64 exec, exec, s[16:17]
.LBB55_54:                              ;   in Loop: Header=BB55_56 Depth=1
	s_or_b64 exec, exec, s[0:1]
	v_add_co_u32_e32 v3, vcc, v51, v48
	v_addc_co_u32_e32 v4, vcc, v52, v49, vcc
	global_load_dword v9, v[3:4], off
	v_add_co_u32_e32 v3, vcc, v53, v48
	v_addc_co_u32_e32 v4, vcc, v54, v49, vcc
	global_load_dword v11, v[3:4], off
	v_add_co_u32_e32 v3, vcc, v20, v48
	v_addc_co_u32_e32 v4, vcc, v21, v49, vcc
	global_load_dword v12, v[3:4], off
	v_add_co_u32_e32 v3, vcc, v22, v48
	v_addc_co_u32_e32 v4, vcc, v23, v49, vcc
	global_load_dword v13, v[3:4], off
	v_add_co_u32_e32 v3, vcc, v24, v48
	v_addc_co_u32_e32 v4, vcc, v25, v49, vcc
	global_load_dword v14, v[3:4], off
	v_add_co_u32_e32 v3, vcc, v26, v48
	v_addc_co_u32_e32 v4, vcc, v27, v49, vcc
	global_load_dword v15, v[3:4], off
	v_add_co_u32_e32 v3, vcc, v28, v48
	v_addc_co_u32_e32 v4, vcc, v29, v49, vcc
	global_load_dword v16, v[3:4], off
	v_add_co_u32_e32 v3, vcc, v30, v48
	v_addc_co_u32_e32 v4, vcc, v31, v49, vcc
	global_load_dword v17, v[3:4], off
	v_add_co_u32_e32 v3, vcc, v32, v48
	v_addc_co_u32_e32 v4, vcc, v33, v49, vcc
	global_load_dword v18, v[3:4], off
	v_add_co_u32_e32 v3, vcc, v34, v48
	v_addc_co_u32_e32 v4, vcc, v35, v49, vcc
	global_load_dword v85, v[3:4], off
	v_add_co_u32_e32 v3, vcc, v36, v48
	v_addc_co_u32_e32 v4, vcc, v37, v49, vcc
	global_load_dword v86, v[3:4], off
	v_add_co_u32_e32 v3, vcc, v38, v48
	v_addc_co_u32_e32 v4, vcc, v39, v49, vcc
	global_load_dword v87, v[3:4], off
	v_add_co_u32_e32 v3, vcc, v40, v48
	v_addc_co_u32_e32 v4, vcc, v41, v49, vcc
	global_load_dword v88, v[3:4], off
	v_add_co_u32_e32 v3, vcc, v42, v48
	v_addc_co_u32_e32 v4, vcc, v43, v49, vcc
	global_load_dword v89, v[3:4], off
	v_add_co_u32_e32 v3, vcc, v44, v48
	v_addc_co_u32_e32 v4, vcc, v45, v49, vcc
	v_add_co_u32_e32 v7, vcc, v46, v48
	v_addc_co_u32_e32 v8, vcc, v47, v49, vcc
	global_load_dword v7, v[7:8], off
	s_nop 0
	global_load_dword v10, v[3:4], off
	s_waitcnt vmcnt(17)
	ds_bpermute_b32 v3, v84, v6
	s_waitcnt vmcnt(16)
	ds_bpermute_b32 v4, v84, v5
	ds_bpermute_b32 v8, v84, v6 offset:4
	s_waitcnt vmcnt(14) lgkmcnt(2)
	v_sub_f32_e32 v3, v11, v3
	v_mul_f32_e32 v3, v9, v3
	s_waitcnt lgkmcnt(1)
	v_fmac_f32_e32 v55, v3, v4
	ds_bpermute_b32 v3, v84, v5 offset:4
	v_add_f32_e32 v4, v19, v9
	ds_bpermute_b32 v9, v84, v6 offset:8
	s_waitcnt vmcnt(13)
	v_add_f32_e32 v4, v4, v12
	s_waitcnt vmcnt(12) lgkmcnt(2)
	v_sub_f32_e32 v8, v13, v8
	v_mul_f32_e32 v8, v12, v8
	s_waitcnt lgkmcnt(1)
	v_fmac_f32_e32 v55, v8, v3
	ds_bpermute_b32 v3, v84, v5 offset:8
	s_waitcnt vmcnt(11)
	v_add_f32_e32 v4, v4, v14
	s_waitcnt vmcnt(10) lgkmcnt(1)
	v_sub_f32_e32 v8, v15, v9
	ds_bpermute_b32 v9, v84, v6 offset:12
	v_mul_f32_e32 v8, v14, v8
	s_waitcnt lgkmcnt(1)
	v_fmac_f32_e32 v55, v8, v3
	ds_bpermute_b32 v3, v84, v5 offset:12
	s_waitcnt vmcnt(9)
	v_add_f32_e32 v4, v4, v16
	s_waitcnt vmcnt(8) lgkmcnt(1)
	v_sub_f32_e32 v8, v17, v9
	ds_bpermute_b32 v9, v84, v6 offset:16
	;; [unrolled: 9-line block ×3, first 2 shown]
	v_mul_f32_e32 v8, v18, v8
	s_waitcnt lgkmcnt(1)
	v_fmac_f32_e32 v55, v8, v3
	ds_bpermute_b32 v3, v84, v5 offset:20
	s_waitcnt vmcnt(4) lgkmcnt(1)
	v_sub_f32_e32 v8, v87, v9
	ds_bpermute_b32 v9, v84, v6 offset:24
	v_mul_f32_e32 v8, v86, v8
	s_waitcnt lgkmcnt(1)
	v_fmac_f32_e32 v55, v8, v3
	v_add_f32_e32 v3, v4, v86
	ds_bpermute_b32 v4, v84, v5 offset:24
	ds_bpermute_b32 v6, v84, v6 offset:28
	;; [unrolled: 1-line block ×3, first 2 shown]
	s_waitcnt vmcnt(2) lgkmcnt(3)
	v_sub_f32_e32 v8, v89, v9
	v_mul_f32_e32 v8, v88, v8
	s_waitcnt lgkmcnt(2)
	v_fmac_f32_e32 v55, v8, v4
	v_add_f32_e32 v4, v3, v88
	s_waitcnt vmcnt(1) lgkmcnt(1)
	v_sub_f32_e32 v3, v7, v6
	s_waitcnt vmcnt(0)
	v_mul_f32_e32 v3, v10, v3
	s_waitcnt lgkmcnt(0)
	v_mul_f32_e32 v5, v3, v5
	v_mov_b32_e32 v3, v55
.LBB55_55:                              ;   in Loop: Header=BB55_56 Depth=1
	v_add_f32_e32 v55, v3, v5
	v_mov_b32_e32 v5, s9
	v_add_co_u32_e32 v51, vcc, s8, v51
	v_addc_co_u32_e32 v52, vcc, v52, v5, vcc
	v_add_co_u32_e32 v53, vcc, s8, v53
	v_addc_co_u32_e32 v54, vcc, v54, v5, vcc
	;; [unrolled: 2-line block ×28, first 2 shown]
	v_add_f32_e32 v19, v4, v10
	s_add_u32 s10, s10, s7
	v_add_co_u32_e32 v80, vcc, s8, v80
	v_mov_b32_e32 v3, s12
	s_addc_u32 s11, s11, 0
	v_addc_co_u32_e32 v81, vcc, v81, v5, vcc
	v_mov_b32_e32 v4, s13
	v_cmp_ge_i64_e32 vcc, s[10:11], v[3:4]
	s_add_u32 s24, s24, s7
	v_add_co_u32_e64 v82, s[0:1], s8, v82
	s_addc_u32 s25, s25, 0
	v_addc_co_u32_e64 v83, s[0:1], v83, v5, s[0:1]
	s_cbranch_vccnz .LBB55_82
.LBB55_56:                              ; =>This Inner Loop Header: Depth=1
	v_mov_b32_e32 v3, s12
	v_mov_b32_e32 v4, s13
	v_cmp_ge_i64_e32 vcc, s[24:25], v[3:4]
	v_mov_b32_e32 v3, s25
	v_add_co_u32_e64 v85, s[0:1], s24, v50
	v_addc_co_u32_e64 v86, s[0:1], 0, v3, s[0:1]
	s_mov_b64 s[0:1], -1
	s_and_b64 vcc, exec, vcc
                                        ; implicit-def: $vgpr10
                                        ; implicit-def: $vgpr5
                                        ; implicit-def: $vgpr4
                                        ; implicit-def: $vgpr3
	s_cbranch_vccz .LBB55_78
; %bb.57:                               ;   in Loop: Header=BB55_56 Depth=1
	s_load_dword s0, s[2:3], 0xc
	v_mov_b32_e32 v87, 0
	v_mov_b32_e32 v88, 0
	s_waitcnt lgkmcnt(0)
	s_and_b32 s0, s0, 0xffff
	v_mad_u32_u24 v3, v1, s0, v0
	v_and_b32_e32 v3, 63, v3
	v_cmp_gt_u32_e32 vcc, 8, v3
	s_and_saveexec_b64 s[0:1], vcc
	s_cbranch_execz .LBB55_61
; %bb.58:                               ;   in Loop: Header=BB55_56 Depth=1
	v_add_co_u32_e32 v3, vcc, v85, v3
	v_addc_co_u32_e32 v4, vcc, 0, v86, vcc
	v_add_co_u32_e32 v3, vcc, 0xffffffc1, v3
	v_addc_co_u32_e32 v4, vcc, -1, v4, vcc
	v_cmp_gt_i64_e32 vcc, s[12:13], v[3:4]
	v_mov_b32_e32 v88, 0
	v_mov_b32_e32 v87, 0
	s_and_saveexec_b64 s[16:17], vcc
	s_cbranch_execz .LBB55_60
; %bb.59:                               ;   in Loop: Header=BB55_56 Depth=1
	v_lshlrev_b64 v[3:4], 2, v[3:4]
	v_mov_b32_e32 v6, s23
	v_add_co_u32_e32 v5, vcc, s22, v3
	v_addc_co_u32_e32 v6, vcc, v6, v4, vcc
	v_mov_b32_e32 v7, s21
	v_add_co_u32_e32 v3, vcc, s20, v3
	v_addc_co_u32_e32 v4, vcc, v7, v4, vcc
	global_load_dword v88, v[3:4], off
	global_load_dword v87, v[5:6], off
.LBB55_60:                              ;   in Loop: Header=BB55_56 Depth=1
	s_or_b64 exec, exec, s[16:17]
.LBB55_61:                              ;   in Loop: Header=BB55_56 Depth=1
	s_or_b64 exec, exec, s[0:1]
	v_add_co_u32_e32 v3, vcc, 0xffffffc1, v85
	v_addc_co_u32_e32 v4, vcc, -1, v86, vcc
	v_mov_b32_e32 v9, v2
	v_cmp_gt_i64_e32 vcc, s[12:13], v[3:4]
	v_mov_b32_e32 v3, v2
	v_mov_b32_e32 v4, v2
	;; [unrolled: 1-line block ×22, first 2 shown]
	s_and_saveexec_b64 s[0:1], vcc
	s_cbranch_execz .LBB55_63
; %bb.62:                               ;   in Loop: Header=BB55_56 Depth=1
	v_add_co_u32_e32 v3, vcc, v51, v48
	v_addc_co_u32_e32 v4, vcc, v52, v49, vcc
	global_load_dword v3, v[3:4], off
	v_add_co_u32_e32 v4, vcc, v53, v48
	v_addc_co_u32_e32 v5, vcc, v54, v49, vcc
	global_load_dword v11, v[4:5], off
	v_mov_b32_e32 v4, v2
	v_mov_b32_e32 v5, v2
	;; [unrolled: 1-line block ×14, first 2 shown]
.LBB55_63:                              ;   in Loop: Header=BB55_56 Depth=1
	s_or_b64 exec, exec, s[0:1]
	v_add_co_u32_e32 v89, vcc, 0xffffffc2, v85
	v_addc_co_u32_e32 v90, vcc, -1, v86, vcc
	v_cmp_gt_i64_e32 vcc, s[12:13], v[89:90]
	s_and_saveexec_b64 s[0:1], vcc
	s_cbranch_execz .LBB55_65
; %bb.64:                               ;   in Loop: Header=BB55_56 Depth=1
	v_add_co_u32_e32 v89, vcc, v80, v48
	v_addc_co_u32_e32 v90, vcc, v81, v49, vcc
	global_load_dword v4, v[89:90], off
	v_add_co_u32_e32 v89, vcc, v82, v48
	v_addc_co_u32_e32 v90, vcc, v83, v49, vcc
	global_load_dword v12, v[89:90], off
.LBB55_65:                              ;   in Loop: Header=BB55_56 Depth=1
	s_or_b64 exec, exec, s[0:1]
	v_add_co_u32_e32 v89, vcc, 0xffffffc3, v85
	v_addc_co_u32_e32 v90, vcc, -1, v86, vcc
	v_cmp_gt_i64_e32 vcc, s[12:13], v[89:90]
	s_and_saveexec_b64 s[0:1], vcc
	s_cbranch_execz .LBB55_67
; %bb.66:                               ;   in Loop: Header=BB55_56 Depth=1
	v_add_co_u32_e32 v89, vcc, v76, v48
	v_addc_co_u32_e32 v90, vcc, v77, v49, vcc
	global_load_dword v5, v[89:90], off
	v_add_co_u32_e32 v89, vcc, v78, v48
	v_addc_co_u32_e32 v90, vcc, v79, v49, vcc
	global_load_dword v13, v[89:90], off
.LBB55_67:                              ;   in Loop: Header=BB55_56 Depth=1
	;; [unrolled: 14-line block ×7, first 2 shown]
	s_or_b64 exec, exec, s[0:1]
	s_waitcnt vmcnt(1)
	ds_bpermute_b32 v89, v84, v88
	ds_bpermute_b32 v92, v84, v88 offset:4
	s_waitcnt vmcnt(0)
	ds_bpermute_b32 v90, v84, v87
	ds_bpermute_b32 v93, v84, v87 offset:4
	v_add_f32_e32 v91, v19, v3
	s_waitcnt lgkmcnt(3)
	v_sub_f32_e32 v11, v11, v89
	v_mul_f32_e32 v3, v3, v11
	s_waitcnt lgkmcnt(2)
	v_sub_f32_e32 v11, v12, v92
	ds_bpermute_b32 v12, v84, v88 offset:8
	s_waitcnt lgkmcnt(2)
	v_fma_f32 v3, v3, v90, v55
	v_mul_f32_e32 v11, v4, v11
	s_waitcnt lgkmcnt(1)
	v_fmac_f32_e32 v3, v11, v93
	ds_bpermute_b32 v11, v84, v87 offset:8
	s_waitcnt lgkmcnt(1)
	v_sub_f32_e32 v12, v13, v12
	ds_bpermute_b32 v13, v84, v88 offset:12
	v_mul_f32_e32 v12, v5, v12
	v_add_f32_e32 v4, v4, v91
	s_waitcnt lgkmcnt(1)
	v_fmac_f32_e32 v3, v12, v11
	ds_bpermute_b32 v11, v84, v87 offset:12
	v_add_f32_e32 v4, v5, v4
	s_waitcnt lgkmcnt(1)
	v_sub_f32_e32 v5, v14, v13
	ds_bpermute_b32 v12, v84, v88 offset:16
	v_mul_f32_e32 v5, v6, v5
	s_waitcnt lgkmcnt(1)
	v_fmac_f32_e32 v3, v5, v11
	ds_bpermute_b32 v5, v84, v87 offset:16
	v_add_f32_e32 v4, v6, v4
	s_waitcnt lgkmcnt(1)
	v_sub_f32_e32 v6, v15, v12
	ds_bpermute_b32 v11, v84, v88 offset:20
	v_mul_f32_e32 v6, v7, v6
	s_waitcnt lgkmcnt(1)
	v_fmac_f32_e32 v3, v6, v5
	ds_bpermute_b32 v5, v84, v87 offset:20
	v_add_f32_e32 v4, v7, v4
	ds_bpermute_b32 v7, v84, v88 offset:24
	s_waitcnt lgkmcnt(2)
	v_sub_f32_e32 v6, v16, v11
	v_mul_f32_e32 v6, v8, v6
	s_waitcnt lgkmcnt(1)
	v_fmac_f32_e32 v3, v6, v5
	ds_bpermute_b32 v5, v84, v87 offset:24
	s_waitcnt lgkmcnt(1)
	v_sub_f32_e32 v6, v17, v7
	ds_bpermute_b32 v7, v84, v88 offset:28
	v_add_f32_e32 v4, v8, v4
	ds_bpermute_b32 v8, v84, v87 offset:28
	v_mul_f32_e32 v6, v9, v6
	s_waitcnt lgkmcnt(2)
	v_fmac_f32_e32 v3, v6, v5
	s_waitcnt lgkmcnt(1)
	v_sub_f32_e32 v5, v18, v7
	v_mul_f32_e32 v5, v10, v5
	v_add_f32_e32 v4, v9, v4
	s_waitcnt lgkmcnt(0)
	v_mul_f32_e32 v5, v5, v8
	s_mov_b64 s[0:1], 0
.LBB55_78:                              ;   in Loop: Header=BB55_56 Depth=1
	s_and_b64 vcc, exec, s[0:1]
	s_cbranch_vccz .LBB55_55
; %bb.79:                               ;   in Loop: Header=BB55_56 Depth=1
	s_load_dword s0, s[2:3], 0x0
	v_mov_b32_e32 v5, 0
	v_mov_b32_e32 v6, 0
	s_waitcnt lgkmcnt(0)
	s_cmp_lt_u32 s6, s0
	s_cselect_b32 s0, 12, 18
	s_add_u32 s0, s2, s0
	s_addc_u32 s1, s3, 0
	global_load_ushort v3, v2, s[0:1]
	s_waitcnt vmcnt(0)
	v_mad_u32_u24 v3, v1, v3, v0
	v_and_b32_e32 v3, 63, v3
	v_cmp_gt_u32_e32 vcc, 8, v3
	s_and_saveexec_b64 s[0:1], vcc
	s_cbranch_execz .LBB55_54
; %bb.80:                               ;   in Loop: Header=BB55_56 Depth=1
	v_add_co_u32_e32 v3, vcc, v85, v3
	v_addc_co_u32_e32 v4, vcc, 0, v86, vcc
	v_add_co_u32_e32 v3, vcc, 0xffffffc1, v3
	v_addc_co_u32_e32 v4, vcc, -1, v4, vcc
	v_cmp_gt_i64_e32 vcc, s[12:13], v[3:4]
	v_mov_b32_e32 v6, 0
	v_mov_b32_e32 v5, 0
	s_and_saveexec_b64 s[16:17], vcc
	s_cbranch_execz .LBB55_53
; %bb.81:                               ;   in Loop: Header=BB55_56 Depth=1
	v_lshlrev_b64 v[3:4], 2, v[3:4]
	v_mov_b32_e32 v5, s23
	v_add_co_u32_e32 v7, vcc, s22, v3
	v_addc_co_u32_e32 v8, vcc, v5, v4, vcc
	v_mov_b32_e32 v5, s21
	v_add_co_u32_e32 v3, vcc, s20, v3
	v_addc_co_u32_e32 v4, vcc, v5, v4, vcc
	global_load_dword v6, v[3:4], off
	global_load_dword v5, v[7:8], off
	s_branch .LBB55_53
.LBB55_82:
	s_movk_i32 s0, 0x41
	v_mad_u32_u24 v2, v1, s0, v0
	v_lshl_add_u32 v2, v2, 2, 0
	ds_write_b32 v2, v55
	ds_write_b32 v2, v19 offset:2080
	v_lshrrev_b32_e32 v2, 6, v0
	v_add_u32_e32 v2, v2, v1
	v_cmp_gt_u32_e32 vcc, 64, v2
	s_waitcnt lgkmcnt(0)
	s_barrier
	s_and_saveexec_b64 s[0:1], vcc
	s_cbranch_execz .LBB55_146
; %bb.83:
	s_load_dwordx4 s[8:11], s[4:5], 0x30
	v_and_b32_e32 v1, 63, v0
	v_cmp_gt_u32_e64 s[0:1], 8, v1
	v_mul_u32_u24_e32 v3, 0x41, v1
                                        ; implicit-def: $vgpr1
                                        ; implicit-def: $vgpr5
	s_and_saveexec_b64 s[2:3], s[0:1]
	s_cbranch_execz .LBB55_85
; %bb.84:
	v_add_u32_e32 v1, v2, v3
	v_lshl_add_u32 v1, v1, 2, 0
	ds_read_b32 v5, v1
	ds_read_b32 v1, v1 offset:2080
.LBB55_85:
	s_or_b64 exec, exec, s[2:3]
	v_mbcnt_lo_u32_b32 v4, -1, 0
	v_mbcnt_hi_u32_b32 v6, -1, v4
	v_and_b32_e32 v4, 64, v6
	v_add_u32_e32 v7, 64, v4
	v_xor_b32_e32 v4, 4, v6
	v_cmp_lt_i32_e32 vcc, v4, v7
	v_cndmask_b32_e32 v4, v6, v4, vcc
	v_lshlrev_b32_e32 v4, 2, v4
	s_waitcnt lgkmcnt(0)
	ds_bpermute_b32 v8, v4, v5
	ds_bpermute_b32 v9, v4, v1
	v_cmp_eq_u32_e64 s[2:3], 0, v0
	s_mov_b32 s7, 0
	s_lshl_b64 s[4:5], s[6:7], 6
	s_waitcnt lgkmcnt(1)
	v_add_f32_e32 v8, v5, v8
	v_xor_b32_e32 v5, 2, v6
	v_cmp_lt_i32_e32 vcc, v5, v7
	v_cndmask_b32_e32 v5, v6, v5, vcc
	v_lshlrev_b32_e32 v5, 2, v5
	ds_bpermute_b32 v10, v5, v8
	s_waitcnt lgkmcnt(1)
	v_add_f32_e32 v0, v1, v9
	v_xor_b32_e32 v9, 1, v6
	v_cmp_lt_i32_e32 vcc, v9, v7
	v_cndmask_b32_e32 v6, v6, v9, vcc
	s_waitcnt lgkmcnt(0)
	v_add_f32_e32 v1, v8, v10
	ds_bpermute_b32 v8, v5, v0
	v_lshlrev_b32_e32 v6, 2, v6
	ds_bpermute_b32 v7, v6, v1
	s_cmp_lg_u64 s[8:9], 0
	s_cselect_b64 s[12:13], -1, 0
	s_waitcnt lgkmcnt(1)
	v_add_f32_e32 v8, v0, v8
	ds_bpermute_b32 v9, v6, v8
	s_waitcnt lgkmcnt(1)
	v_add_f32_e32 v7, v1, v7
	v_or_b32_e32 v0, s4, v2
	v_mov_b32_e32 v1, s5
	v_cmp_gt_i64_e32 vcc, s[14:15], v[0:1]
	s_cmp_lg_u64 s[10:11], 0
	s_cselect_b64 s[6:7], -1, 0
	s_waitcnt lgkmcnt(0)
	v_add_f32_e32 v8, v8, v9
	s_and_b64 s[18:19], s[2:3], vcc
	s_and_saveexec_b64 s[16:17], s[18:19]
	s_cbranch_execz .LBB55_90
; %bb.86:
	v_lshlrev_b64 v[0:1], 2, v[0:1]
	s_andn2_b64 vcc, exec, s[12:13]
	s_cbranch_vccnz .LBB55_88
; %bb.87:
	v_mov_b32_e32 v10, s9
	v_add_co_u32_e32 v9, vcc, s8, v0
	v_addc_co_u32_e32 v10, vcc, v10, v1, vcc
	global_store_dword v[9:10], v7, off
.LBB55_88:
	s_andn2_b64 vcc, exec, s[6:7]
	s_cbranch_vccnz .LBB55_90
; %bb.89:
	v_mov_b32_e32 v9, s11
	v_add_co_u32_e32 v0, vcc, s10, v0
	v_addc_co_u32_e32 v1, vcc, v9, v1, vcc
	global_store_dword v[0:1], v8, off
.LBB55_90:
	s_or_b64 exec, exec, s[16:17]
	v_cmp_gt_u32_e32 vcc, 56, v2
	s_and_b64 exec, exec, vcc
	s_cbranch_execz .LBB55_146
; %bb.91:
	s_and_saveexec_b64 s[16:17], s[0:1]
	s_cbranch_execz .LBB55_93
; %bb.92:
	v_add_u32_e32 v0, v2, v3
	v_lshl_add_u32 v0, v0, 2, 0
	ds_read_b32 v7, v0 offset:32
	ds_read_b32 v8, v0 offset:2112
.LBB55_93:
	s_or_b64 exec, exec, s[16:17]
	s_waitcnt lgkmcnt(1)
	ds_bpermute_b32 v0, v4, v7
	s_waitcnt lgkmcnt(1)
	ds_bpermute_b32 v1, v4, v8
	v_add_u32_e32 v9, 8, v2
	v_mov_b32_e32 v10, s5
	s_waitcnt lgkmcnt(1)
	v_add_f32_e32 v0, v7, v0
	s_waitcnt lgkmcnt(0)
	v_add_f32_e32 v1, v8, v1
	ds_bpermute_b32 v7, v5, v0
	ds_bpermute_b32 v8, v5, v1
	s_waitcnt lgkmcnt(1)
	v_add_f32_e32 v7, v0, v7
	s_waitcnt lgkmcnt(0)
	v_add_f32_e32 v8, v1, v8
	ds_bpermute_b32 v11, v6, v7
	ds_bpermute_b32 v12, v6, v8
	v_add_co_u32_e32 v0, vcc, s4, v9
	v_addc_co_u32_e32 v1, vcc, 0, v10, vcc
	v_cmp_gt_i64_e32 vcc, s[14:15], v[0:1]
	s_waitcnt lgkmcnt(1)
	v_add_f32_e32 v0, v7, v11
	s_waitcnt lgkmcnt(0)
	v_add_f32_e32 v1, v8, v12
	s_and_b64 s[18:19], s[2:3], vcc
	s_and_saveexec_b64 s[16:17], s[18:19]
	s_cbranch_execz .LBB55_98
; %bb.94:
	s_andn2_b64 vcc, exec, s[12:13]
	s_cbranch_vccnz .LBB55_96
; %bb.95:
	v_mov_b32_e32 v8, s5
	v_add_co_u32_e32 v7, vcc, s4, v2
	v_addc_co_u32_e32 v8, vcc, 0, v8, vcc
	v_lshlrev_b64 v[7:8], 2, v[7:8]
	v_mov_b32_e32 v9, s9
	v_add_co_u32_e32 v7, vcc, s8, v7
	v_addc_co_u32_e32 v8, vcc, v9, v8, vcc
	global_store_dword v[7:8], v0, off offset:32
.LBB55_96:
	s_andn2_b64 vcc, exec, s[6:7]
	s_cbranch_vccnz .LBB55_98
; %bb.97:
	v_mov_b32_e32 v8, s5
	v_add_co_u32_e32 v7, vcc, s4, v2
	v_addc_co_u32_e32 v8, vcc, 0, v8, vcc
	v_lshlrev_b64 v[7:8], 2, v[7:8]
	v_mov_b32_e32 v9, s11
	v_add_co_u32_e32 v7, vcc, s10, v7
	v_addc_co_u32_e32 v8, vcc, v9, v8, vcc
	global_store_dword v[7:8], v1, off offset:32
.LBB55_98:
	s_or_b64 exec, exec, s[16:17]
	v_cmp_gt_u32_e32 vcc, 48, v2
	s_and_b64 exec, exec, vcc
	s_cbranch_execz .LBB55_146
; %bb.99:
	s_and_saveexec_b64 s[16:17], s[0:1]
	s_cbranch_execz .LBB55_101
; %bb.100:
	v_add_u32_e32 v0, v2, v3
	v_lshl_add_u32 v1, v0, 2, 0
	ds_read_b32 v0, v1 offset:64
	ds_read_b32 v1, v1 offset:2144
.LBB55_101:
	s_or_b64 exec, exec, s[16:17]
	s_waitcnt lgkmcnt(1)
	ds_bpermute_b32 v7, v4, v0
	s_waitcnt lgkmcnt(1)
	ds_bpermute_b32 v8, v4, v1
	v_add_u32_e32 v9, 16, v2
	v_mov_b32_e32 v10, s5
	s_waitcnt lgkmcnt(1)
	v_add_f32_e32 v0, v0, v7
	s_waitcnt lgkmcnt(0)
	v_add_f32_e32 v1, v1, v8
	ds_bpermute_b32 v7, v5, v0
	ds_bpermute_b32 v8, v5, v1
	s_waitcnt lgkmcnt(1)
	v_add_f32_e32 v7, v0, v7
	s_waitcnt lgkmcnt(0)
	v_add_f32_e32 v8, v1, v8
	ds_bpermute_b32 v11, v6, v7
	ds_bpermute_b32 v12, v6, v8
	v_add_co_u32_e32 v0, vcc, s4, v9
	v_addc_co_u32_e32 v1, vcc, 0, v10, vcc
	v_cmp_gt_i64_e32 vcc, s[14:15], v[0:1]
	s_waitcnt lgkmcnt(1)
	v_add_f32_e32 v0, v7, v11
	s_waitcnt lgkmcnt(0)
	v_add_f32_e32 v1, v8, v12
	s_and_b64 s[18:19], s[2:3], vcc
	s_and_saveexec_b64 s[16:17], s[18:19]
	s_cbranch_execz .LBB55_106
; %bb.102:
	s_andn2_b64 vcc, exec, s[12:13]
	s_cbranch_vccnz .LBB55_104
; %bb.103:
	v_mov_b32_e32 v8, s5
	v_add_co_u32_e32 v7, vcc, s4, v2
	v_addc_co_u32_e32 v8, vcc, 0, v8, vcc
	v_lshlrev_b64 v[7:8], 2, v[7:8]
	v_mov_b32_e32 v9, s9
	v_add_co_u32_e32 v7, vcc, s8, v7
	v_addc_co_u32_e32 v8, vcc, v9, v8, vcc
	global_store_dword v[7:8], v0, off offset:64
.LBB55_104:
	s_andn2_b64 vcc, exec, s[6:7]
	s_cbranch_vccnz .LBB55_106
; %bb.105:
	v_mov_b32_e32 v8, s5
	v_add_co_u32_e32 v7, vcc, s4, v2
	v_addc_co_u32_e32 v8, vcc, 0, v8, vcc
	v_lshlrev_b64 v[7:8], 2, v[7:8]
	v_mov_b32_e32 v9, s11
	v_add_co_u32_e32 v7, vcc, s10, v7
	v_addc_co_u32_e32 v8, vcc, v9, v8, vcc
	global_store_dword v[7:8], v1, off offset:64
.LBB55_106:
	s_or_b64 exec, exec, s[16:17]
	v_cmp_gt_u32_e32 vcc, 40, v2
	s_and_b64 exec, exec, vcc
	s_cbranch_execz .LBB55_146
; %bb.107:
	s_and_saveexec_b64 s[16:17], s[0:1]
	s_cbranch_execz .LBB55_109
; %bb.108:
	v_add_u32_e32 v0, v2, v3
	v_lshl_add_u32 v1, v0, 2, 0
	ds_read_b32 v0, v1 offset:96
	ds_read_b32 v1, v1 offset:2176
.LBB55_109:
	s_or_b64 exec, exec, s[16:17]
	s_waitcnt lgkmcnt(1)
	ds_bpermute_b32 v7, v4, v0
	s_waitcnt lgkmcnt(1)
	ds_bpermute_b32 v8, v4, v1
	v_add_u32_e32 v9, 24, v2
	v_mov_b32_e32 v10, s5
	s_waitcnt lgkmcnt(1)
	v_add_f32_e32 v0, v0, v7
	s_waitcnt lgkmcnt(0)
	v_add_f32_e32 v1, v1, v8
	ds_bpermute_b32 v7, v5, v0
	ds_bpermute_b32 v8, v5, v1
	s_waitcnt lgkmcnt(1)
	v_add_f32_e32 v7, v0, v7
	s_waitcnt lgkmcnt(0)
	v_add_f32_e32 v8, v1, v8
	ds_bpermute_b32 v11, v6, v7
	ds_bpermute_b32 v12, v6, v8
	v_add_co_u32_e32 v0, vcc, s4, v9
	v_addc_co_u32_e32 v1, vcc, 0, v10, vcc
	v_cmp_gt_i64_e32 vcc, s[14:15], v[0:1]
	s_waitcnt lgkmcnt(1)
	v_add_f32_e32 v0, v7, v11
	s_waitcnt lgkmcnt(0)
	v_add_f32_e32 v1, v8, v12
	s_and_b64 s[18:19], s[2:3], vcc
	s_and_saveexec_b64 s[16:17], s[18:19]
	s_cbranch_execz .LBB55_114
; %bb.110:
	s_andn2_b64 vcc, exec, s[12:13]
	s_cbranch_vccnz .LBB55_112
; %bb.111:
	v_mov_b32_e32 v8, s5
	v_add_co_u32_e32 v7, vcc, s4, v2
	v_addc_co_u32_e32 v8, vcc, 0, v8, vcc
	v_lshlrev_b64 v[7:8], 2, v[7:8]
	v_mov_b32_e32 v9, s9
	v_add_co_u32_e32 v7, vcc, s8, v7
	v_addc_co_u32_e32 v8, vcc, v9, v8, vcc
	global_store_dword v[7:8], v0, off offset:96
.LBB55_112:
	s_andn2_b64 vcc, exec, s[6:7]
	s_cbranch_vccnz .LBB55_114
; %bb.113:
	v_mov_b32_e32 v8, s5
	v_add_co_u32_e32 v7, vcc, s4, v2
	v_addc_co_u32_e32 v8, vcc, 0, v8, vcc
	v_lshlrev_b64 v[7:8], 2, v[7:8]
	v_mov_b32_e32 v9, s11
	v_add_co_u32_e32 v7, vcc, s10, v7
	v_addc_co_u32_e32 v8, vcc, v9, v8, vcc
	global_store_dword v[7:8], v1, off offset:96
.LBB55_114:
	s_or_b64 exec, exec, s[16:17]
	v_cmp_gt_u32_e32 vcc, 32, v2
	s_and_b64 exec, exec, vcc
	s_cbranch_execz .LBB55_146
; %bb.115:
	s_and_saveexec_b64 s[16:17], s[0:1]
	s_cbranch_execz .LBB55_117
; %bb.116:
	v_add_u32_e32 v0, v2, v3
	v_lshl_add_u32 v1, v0, 2, 0
	ds_read_b32 v0, v1 offset:128
	ds_read_b32 v1, v1 offset:2208
.LBB55_117:
	s_or_b64 exec, exec, s[16:17]
	s_waitcnt lgkmcnt(1)
	ds_bpermute_b32 v7, v4, v0
	s_waitcnt lgkmcnt(1)
	ds_bpermute_b32 v8, v4, v1
	v_add_u32_e32 v9, 32, v2
	s_waitcnt lgkmcnt(1)
	v_add_f32_e32 v0, v0, v7
	s_waitcnt lgkmcnt(0)
	v_add_f32_e32 v1, v1, v8
	ds_bpermute_b32 v7, v5, v0
	ds_bpermute_b32 v8, v5, v1
	s_waitcnt lgkmcnt(1)
	v_add_f32_e32 v7, v0, v7
	s_waitcnt lgkmcnt(0)
	v_add_f32_e32 v8, v1, v8
	ds_bpermute_b32 v10, v6, v7
	ds_bpermute_b32 v11, v6, v8
	v_mov_b32_e32 v1, s5
	v_or_b32_e32 v0, s4, v9
	v_cmp_gt_i64_e32 vcc, s[14:15], v[0:1]
	s_waitcnt lgkmcnt(1)
	v_add_f32_e32 v0, v7, v10
	s_waitcnt lgkmcnt(0)
	v_add_f32_e32 v1, v8, v11
	s_and_b64 s[18:19], s[2:3], vcc
	s_and_saveexec_b64 s[16:17], s[18:19]
	s_cbranch_execz .LBB55_122
; %bb.118:
	s_andn2_b64 vcc, exec, s[12:13]
	s_cbranch_vccnz .LBB55_120
; %bb.119:
	v_mov_b32_e32 v8, s5
	v_add_co_u32_e32 v7, vcc, s4, v2
	v_addc_co_u32_e32 v8, vcc, 0, v8, vcc
	v_lshlrev_b64 v[7:8], 2, v[7:8]
	v_mov_b32_e32 v9, s9
	v_add_co_u32_e32 v7, vcc, s8, v7
	v_addc_co_u32_e32 v8, vcc, v9, v8, vcc
	global_store_dword v[7:8], v0, off offset:128
.LBB55_120:
	s_andn2_b64 vcc, exec, s[6:7]
	s_cbranch_vccnz .LBB55_122
; %bb.121:
	v_mov_b32_e32 v8, s5
	v_add_co_u32_e32 v7, vcc, s4, v2
	v_addc_co_u32_e32 v8, vcc, 0, v8, vcc
	v_lshlrev_b64 v[7:8], 2, v[7:8]
	v_mov_b32_e32 v9, s11
	v_add_co_u32_e32 v7, vcc, s10, v7
	v_addc_co_u32_e32 v8, vcc, v9, v8, vcc
	global_store_dword v[7:8], v1, off offset:128
.LBB55_122:
	s_or_b64 exec, exec, s[16:17]
	v_cmp_gt_u32_e32 vcc, 24, v2
	s_and_b64 exec, exec, vcc
	s_cbranch_execz .LBB55_146
; %bb.123:
	s_and_saveexec_b64 s[16:17], s[0:1]
	s_cbranch_execz .LBB55_125
; %bb.124:
	v_add_u32_e32 v0, v2, v3
	v_lshl_add_u32 v1, v0, 2, 0
	ds_read_b32 v0, v1 offset:160
	ds_read_b32 v1, v1 offset:2240
.LBB55_125:
	s_or_b64 exec, exec, s[16:17]
	s_waitcnt lgkmcnt(1)
	ds_bpermute_b32 v7, v4, v0
	s_waitcnt lgkmcnt(1)
	ds_bpermute_b32 v8, v4, v1
	v_add_u32_e32 v9, 40, v2
	v_mov_b32_e32 v10, s5
	s_waitcnt lgkmcnt(1)
	v_add_f32_e32 v0, v0, v7
	s_waitcnt lgkmcnt(0)
	v_add_f32_e32 v1, v1, v8
	ds_bpermute_b32 v7, v5, v0
	ds_bpermute_b32 v8, v5, v1
	s_waitcnt lgkmcnt(1)
	v_add_f32_e32 v7, v0, v7
	s_waitcnt lgkmcnt(0)
	v_add_f32_e32 v8, v1, v8
	ds_bpermute_b32 v11, v6, v7
	ds_bpermute_b32 v12, v6, v8
	v_add_co_u32_e32 v0, vcc, s4, v9
	v_addc_co_u32_e32 v1, vcc, 0, v10, vcc
	v_cmp_gt_i64_e32 vcc, s[14:15], v[0:1]
	s_waitcnt lgkmcnt(1)
	v_add_f32_e32 v0, v7, v11
	s_waitcnt lgkmcnt(0)
	v_add_f32_e32 v1, v8, v12
	s_and_b64 s[18:19], s[2:3], vcc
	s_and_saveexec_b64 s[16:17], s[18:19]
	s_cbranch_execz .LBB55_130
; %bb.126:
	s_andn2_b64 vcc, exec, s[12:13]
	s_cbranch_vccnz .LBB55_128
; %bb.127:
	v_mov_b32_e32 v8, s5
	v_add_co_u32_e32 v7, vcc, s4, v2
	v_addc_co_u32_e32 v8, vcc, 0, v8, vcc
	v_lshlrev_b64 v[7:8], 2, v[7:8]
	v_mov_b32_e32 v9, s9
	v_add_co_u32_e32 v7, vcc, s8, v7
	v_addc_co_u32_e32 v8, vcc, v9, v8, vcc
	global_store_dword v[7:8], v0, off offset:160
.LBB55_128:
	s_andn2_b64 vcc, exec, s[6:7]
	s_cbranch_vccnz .LBB55_130
; %bb.129:
	v_mov_b32_e32 v8, s5
	v_add_co_u32_e32 v7, vcc, s4, v2
	v_addc_co_u32_e32 v8, vcc, 0, v8, vcc
	v_lshlrev_b64 v[7:8], 2, v[7:8]
	v_mov_b32_e32 v9, s11
	v_add_co_u32_e32 v7, vcc, s10, v7
	v_addc_co_u32_e32 v8, vcc, v9, v8, vcc
	global_store_dword v[7:8], v1, off offset:160
.LBB55_130:
	s_or_b64 exec, exec, s[16:17]
	v_cmp_gt_u32_e32 vcc, 16, v2
	s_and_b64 exec, exec, vcc
	s_cbranch_execz .LBB55_146
; %bb.131:
	s_and_saveexec_b64 s[16:17], s[0:1]
	s_cbranch_execz .LBB55_133
; %bb.132:
	v_add_u32_e32 v0, v2, v3
	v_lshl_add_u32 v1, v0, 2, 0
	ds_read_b32 v0, v1 offset:192
	ds_read_b32 v1, v1 offset:2272
.LBB55_133:
	s_or_b64 exec, exec, s[16:17]
	s_waitcnt lgkmcnt(1)
	ds_bpermute_b32 v7, v4, v0
	s_waitcnt lgkmcnt(1)
	ds_bpermute_b32 v8, v4, v1
	v_add_u32_e32 v9, 48, v2
	s_waitcnt lgkmcnt(1)
	v_add_f32_e32 v0, v0, v7
	s_waitcnt lgkmcnt(0)
	v_add_f32_e32 v1, v1, v8
	ds_bpermute_b32 v7, v5, v0
	ds_bpermute_b32 v8, v5, v1
	s_waitcnt lgkmcnt(1)
	v_add_f32_e32 v7, v0, v7
	s_waitcnt lgkmcnt(0)
	v_add_f32_e32 v8, v1, v8
	ds_bpermute_b32 v10, v6, v7
	ds_bpermute_b32 v11, v6, v8
	v_mov_b32_e32 v1, s5
	v_or_b32_e32 v0, s4, v9
	v_cmp_gt_i64_e32 vcc, s[14:15], v[0:1]
	s_waitcnt lgkmcnt(1)
	v_add_f32_e32 v0, v7, v10
	s_waitcnt lgkmcnt(0)
	v_add_f32_e32 v1, v8, v11
	s_and_b64 s[18:19], s[2:3], vcc
	s_and_saveexec_b64 s[16:17], s[18:19]
	s_cbranch_execz .LBB55_138
; %bb.134:
	s_andn2_b64 vcc, exec, s[12:13]
	s_cbranch_vccnz .LBB55_136
; %bb.135:
	v_mov_b32_e32 v8, s5
	v_add_co_u32_e32 v7, vcc, s4, v2
	v_addc_co_u32_e32 v8, vcc, 0, v8, vcc
	v_lshlrev_b64 v[7:8], 2, v[7:8]
	v_mov_b32_e32 v9, s9
	v_add_co_u32_e32 v7, vcc, s8, v7
	v_addc_co_u32_e32 v8, vcc, v9, v8, vcc
	global_store_dword v[7:8], v0, off offset:192
.LBB55_136:
	s_andn2_b64 vcc, exec, s[6:7]
	s_cbranch_vccnz .LBB55_138
; %bb.137:
	v_mov_b32_e32 v8, s5
	v_add_co_u32_e32 v7, vcc, s4, v2
	v_addc_co_u32_e32 v8, vcc, 0, v8, vcc
	v_lshlrev_b64 v[7:8], 2, v[7:8]
	v_mov_b32_e32 v9, s11
	v_add_co_u32_e32 v7, vcc, s10, v7
	v_addc_co_u32_e32 v8, vcc, v9, v8, vcc
	global_store_dword v[7:8], v1, off offset:192
.LBB55_138:
	s_or_b64 exec, exec, s[16:17]
	v_cmp_gt_u32_e32 vcc, 8, v2
	s_and_b64 exec, exec, vcc
	s_cbranch_execz .LBB55_146
; %bb.139:
	s_and_saveexec_b64 s[16:17], s[0:1]
	s_cbranch_execz .LBB55_141
; %bb.140:
	v_add_u32_e32 v0, v2, v3
	v_lshl_add_u32 v1, v0, 2, 0
	ds_read_b32 v0, v1 offset:224
	ds_read_b32 v1, v1 offset:2304
.LBB55_141:
	s_or_b64 exec, exec, s[16:17]
	s_waitcnt lgkmcnt(1)
	ds_bpermute_b32 v3, v4, v0
	s_waitcnt lgkmcnt(1)
	ds_bpermute_b32 v4, v4, v1
	s_waitcnt lgkmcnt(1)
	v_add_f32_e32 v0, v0, v3
	s_waitcnt lgkmcnt(0)
	v_add_f32_e32 v1, v1, v4
	ds_bpermute_b32 v3, v5, v0
	ds_bpermute_b32 v4, v5, v1
	v_add_u32_e32 v5, 56, v2
	v_or_b32_e32 v5, s4, v5
	s_waitcnt lgkmcnt(1)
	v_add_f32_e32 v3, v0, v3
	s_waitcnt lgkmcnt(0)
	v_add_f32_e32 v0, v1, v4
	ds_bpermute_b32 v4, v6, v3
	ds_bpermute_b32 v1, v6, v0
	v_mov_b32_e32 v6, s5
	v_cmp_gt_i64_e32 vcc, s[14:15], v[5:6]
	s_and_b64 s[0:1], s[2:3], vcc
	s_and_b64 exec, exec, s[0:1]
	s_cbranch_execz .LBB55_146
; %bb.142:
	s_andn2_b64 vcc, exec, s[12:13]
	s_cbranch_vccnz .LBB55_144
; %bb.143:
	s_waitcnt lgkmcnt(1)
	v_add_f32_e32 v5, v3, v4
	v_mov_b32_e32 v4, s5
	v_add_co_u32_e32 v3, vcc, s4, v2
	v_addc_co_u32_e32 v4, vcc, 0, v4, vcc
	v_lshlrev_b64 v[3:4], 2, v[3:4]
	v_mov_b32_e32 v6, s9
	v_add_co_u32_e32 v3, vcc, s8, v3
	v_addc_co_u32_e32 v4, vcc, v6, v4, vcc
	global_store_dword v[3:4], v5, off offset:224
.LBB55_144:
	s_andn2_b64 vcc, exec, s[6:7]
	s_cbranch_vccnz .LBB55_146
; %bb.145:
	s_waitcnt lgkmcnt(0)
	v_add_f32_e32 v3, v0, v1
	v_mov_b32_e32 v1, s5
	v_add_co_u32_e32 v0, vcc, s4, v2
	v_addc_co_u32_e32 v1, vcc, 0, v1, vcc
	v_lshlrev_b64 v[0:1], 2, v[0:1]
	v_mov_b32_e32 v2, s11
	v_add_co_u32_e32 v0, vcc, s10, v0
	v_addc_co_u32_e32 v1, vcc, v2, v1, vcc
	global_store_dword v[0:1], v3, off offset:224
.LBB55_146:
	s_endpgm
	.section	.rodata,"a",@progbits
	.p2align	6, 0x0
	.amdhsa_kernel _ZN2at6native12_GLOBAL__N_135GammaBetaBackwardCUDAKernelTemplateIffLj64ELj8ELj64ELb0ELb0ELb0EEEvllPKT_S5_PKT0_S8_PS3_S9_
		.amdhsa_group_segment_fixed_size 0
		.amdhsa_private_segment_fixed_size 0
		.amdhsa_kernarg_size 320
		.amdhsa_user_sgpr_count 6
		.amdhsa_user_sgpr_private_segment_buffer 1
		.amdhsa_user_sgpr_dispatch_ptr 0
		.amdhsa_user_sgpr_queue_ptr 0
		.amdhsa_user_sgpr_kernarg_segment_ptr 1
		.amdhsa_user_sgpr_dispatch_id 0
		.amdhsa_user_sgpr_flat_scratch_init 0
		.amdhsa_user_sgpr_private_segment_size 0
		.amdhsa_uses_dynamic_stack 0
		.amdhsa_system_sgpr_private_segment_wavefront_offset 0
		.amdhsa_system_sgpr_workgroup_id_x 1
		.amdhsa_system_sgpr_workgroup_id_y 1
		.amdhsa_system_sgpr_workgroup_id_z 0
		.amdhsa_system_sgpr_workgroup_info 0
		.amdhsa_system_vgpr_workitem_id 1
		.amdhsa_next_free_vgpr 94
		.amdhsa_next_free_sgpr 36
		.amdhsa_reserve_vcc 1
		.amdhsa_reserve_flat_scratch 0
		.amdhsa_float_round_mode_32 0
		.amdhsa_float_round_mode_16_64 0
		.amdhsa_float_denorm_mode_32 3
		.amdhsa_float_denorm_mode_16_64 3
		.amdhsa_dx10_clamp 1
		.amdhsa_ieee_mode 1
		.amdhsa_fp16_overflow 0
		.amdhsa_exception_fp_ieee_invalid_op 0
		.amdhsa_exception_fp_denorm_src 0
		.amdhsa_exception_fp_ieee_div_zero 0
		.amdhsa_exception_fp_ieee_overflow 0
		.amdhsa_exception_fp_ieee_underflow 0
		.amdhsa_exception_fp_ieee_inexact 0
		.amdhsa_exception_int_div_zero 0
	.end_amdhsa_kernel
	.section	.text._ZN2at6native12_GLOBAL__N_135GammaBetaBackwardCUDAKernelTemplateIffLj64ELj8ELj64ELb0ELb0ELb0EEEvllPKT_S5_PKT0_S8_PS3_S9_,"axG",@progbits,_ZN2at6native12_GLOBAL__N_135GammaBetaBackwardCUDAKernelTemplateIffLj64ELj8ELj64ELb0ELb0ELb0EEEvllPKT_S5_PKT0_S8_PS3_S9_,comdat
.Lfunc_end55:
	.size	_ZN2at6native12_GLOBAL__N_135GammaBetaBackwardCUDAKernelTemplateIffLj64ELj8ELj64ELb0ELb0ELb0EEEvllPKT_S5_PKT0_S8_PS3_S9_, .Lfunc_end55-_ZN2at6native12_GLOBAL__N_135GammaBetaBackwardCUDAKernelTemplateIffLj64ELj8ELj64ELb0ELb0ELb0EEEvllPKT_S5_PKT0_S8_PS3_S9_
                                        ; -- End function
	.set _ZN2at6native12_GLOBAL__N_135GammaBetaBackwardCUDAKernelTemplateIffLj64ELj8ELj64ELb0ELb0ELb0EEEvllPKT_S5_PKT0_S8_PS3_S9_.num_vgpr, 94
	.set _ZN2at6native12_GLOBAL__N_135GammaBetaBackwardCUDAKernelTemplateIffLj64ELj8ELj64ELb0ELb0ELb0EEEvllPKT_S5_PKT0_S8_PS3_S9_.num_agpr, 0
	.set _ZN2at6native12_GLOBAL__N_135GammaBetaBackwardCUDAKernelTemplateIffLj64ELj8ELj64ELb0ELb0ELb0EEEvllPKT_S5_PKT0_S8_PS3_S9_.numbered_sgpr, 36
	.set _ZN2at6native12_GLOBAL__N_135GammaBetaBackwardCUDAKernelTemplateIffLj64ELj8ELj64ELb0ELb0ELb0EEEvllPKT_S5_PKT0_S8_PS3_S9_.num_named_barrier, 0
	.set _ZN2at6native12_GLOBAL__N_135GammaBetaBackwardCUDAKernelTemplateIffLj64ELj8ELj64ELb0ELb0ELb0EEEvllPKT_S5_PKT0_S8_PS3_S9_.private_seg_size, 0
	.set _ZN2at6native12_GLOBAL__N_135GammaBetaBackwardCUDAKernelTemplateIffLj64ELj8ELj64ELb0ELb0ELb0EEEvllPKT_S5_PKT0_S8_PS3_S9_.uses_vcc, 1
	.set _ZN2at6native12_GLOBAL__N_135GammaBetaBackwardCUDAKernelTemplateIffLj64ELj8ELj64ELb0ELb0ELb0EEEvllPKT_S5_PKT0_S8_PS3_S9_.uses_flat_scratch, 0
	.set _ZN2at6native12_GLOBAL__N_135GammaBetaBackwardCUDAKernelTemplateIffLj64ELj8ELj64ELb0ELb0ELb0EEEvllPKT_S5_PKT0_S8_PS3_S9_.has_dyn_sized_stack, 0
	.set _ZN2at6native12_GLOBAL__N_135GammaBetaBackwardCUDAKernelTemplateIffLj64ELj8ELj64ELb0ELb0ELb0EEEvllPKT_S5_PKT0_S8_PS3_S9_.has_recursion, 0
	.set _ZN2at6native12_GLOBAL__N_135GammaBetaBackwardCUDAKernelTemplateIffLj64ELj8ELj64ELb0ELb0ELb0EEEvllPKT_S5_PKT0_S8_PS3_S9_.has_indirect_call, 0
	.section	.AMDGPU.csdata,"",@progbits
; Kernel info:
; codeLenInByte = 8952
; TotalNumSgprs: 40
; NumVgprs: 94
; ScratchSize: 0
; MemoryBound: 0
; FloatMode: 240
; IeeeMode: 1
; LDSByteSize: 0 bytes/workgroup (compile time only)
; SGPRBlocks: 4
; VGPRBlocks: 23
; NumSGPRsForWavesPerEU: 40
; NumVGPRsForWavesPerEU: 94
; Occupancy: 2
; WaveLimiterHint : 0
; COMPUTE_PGM_RSRC2:SCRATCH_EN: 0
; COMPUTE_PGM_RSRC2:USER_SGPR: 6
; COMPUTE_PGM_RSRC2:TRAP_HANDLER: 0
; COMPUTE_PGM_RSRC2:TGID_X_EN: 1
; COMPUTE_PGM_RSRC2:TGID_Y_EN: 1
; COMPUTE_PGM_RSRC2:TGID_Z_EN: 0
; COMPUTE_PGM_RSRC2:TIDIG_COMP_CNT: 1
	.section	.text._ZN2at6native12_GLOBAL__N_135GammaBetaBackwardCUDAKernelTemplateIffLj64ELj16ELj128ELb0ELb1ELb0EEEvllPKT_S5_PKT0_S8_PS3_S9_,"axG",@progbits,_ZN2at6native12_GLOBAL__N_135GammaBetaBackwardCUDAKernelTemplateIffLj64ELj16ELj128ELb0ELb1ELb0EEEvllPKT_S5_PKT0_S8_PS3_S9_,comdat
	.globl	_ZN2at6native12_GLOBAL__N_135GammaBetaBackwardCUDAKernelTemplateIffLj64ELj16ELj128ELb0ELb1ELb0EEEvllPKT_S5_PKT0_S8_PS3_S9_ ; -- Begin function _ZN2at6native12_GLOBAL__N_135GammaBetaBackwardCUDAKernelTemplateIffLj64ELj16ELj128ELb0ELb1ELb0EEEvllPKT_S5_PKT0_S8_PS3_S9_
	.p2align	8
	.type	_ZN2at6native12_GLOBAL__N_135GammaBetaBackwardCUDAKernelTemplateIffLj64ELj16ELj128ELb0ELb1ELb0EEEvllPKT_S5_PKT0_S8_PS3_S9_,@function
_ZN2at6native12_GLOBAL__N_135GammaBetaBackwardCUDAKernelTemplateIffLj64ELj16ELj128ELb0ELb1ELb0EEEvllPKT_S5_PKT0_S8_PS3_S9_: ; @_ZN2at6native12_GLOBAL__N_135GammaBetaBackwardCUDAKernelTemplateIffLj64ELj16ELj128ELb0ELb1ELb0EEEvllPKT_S5_PKT0_S8_PS3_S9_
; %bb.0:
	s_load_dwordx4 s[20:23], s[4:5], 0x0
	s_lshl_b32 s24, s7, 7
	s_mov_b32 s25, 0
	v_mov_b32_e32 v2, s24
	v_mov_b32_e32 v3, s25
	s_waitcnt lgkmcnt(0)
	v_cmp_gt_i64_e32 vcc, s[20:21], v[2:3]
	s_cbranch_vccnz .LBB56_2
; %bb.1:
	s_mov_b64 s[0:1], 0
	s_branch .LBB56_3
.LBB56_2:
	s_mov_b64 s[0:1], -1
.LBB56_3:
	s_load_dwordx4 s[16:19], s[4:5], 0x30
	v_mov_b32_e32 v18, 0
	s_andn2_b64 vcc, exec, s[0:1]
	v_mbcnt_lo_u32_b32 v8, -1, 0
	v_mov_b32_e32 v3, 0
	s_cbranch_vccnz .LBB56_10
; %bb.4:
	s_load_dword s0, s[4:5], 0x4c
	s_load_dword s2, s[4:5], 0x44
	s_load_dwordx8 s[8:15], s[4:5], 0x10
	v_lshlrev_b32_e32 v4, 3, v1
	v_mbcnt_hi_u32_b32 v6, -1, v8
	v_add_co_u32_e32 v4, vcc, s24, v4
	v_lshlrev_b32_e32 v6, 2, v6
	s_waitcnt lgkmcnt(0)
	s_lshl_b32 s4, s2, 7
	v_addc_co_u32_e64 v17, s[2:3], 0, 0, vcc
	v_and_b32_e32 v9, 0x100, v6
	v_mul_lo_u32 v18, s23, v4
	v_mul_lo_u32 v19, s22, v17
	v_mad_u64_u32 v[6:7], s[2:3], s22, v4, 0
	s_and_b32 s0, s0, 0xffff
	v_mad_u32_u24 v2, v1, s0, v0
	v_and_b32_e32 v5, 63, v2
	v_mov_b32_e32 v3, 0
	v_lshl_add_u32 v2, s6, 6, v0
	v_add_co_u32_e32 v4, vcc, v4, v5
	v_add3_u32 v7, v7, v19, v18
	v_cmp_gt_u32_e64 s[0:1], 8, v5
	v_addc_co_u32_e32 v5, vcc, 0, v17, vcc
	v_lshlrev_b64 v[6:7], 2, v[6:7]
	v_lshlrev_b64 v[17:18], 2, v[2:3]
	s_mul_i32 s2, s23, s4
	v_add_co_u32_e32 v2, vcc, v6, v17
	s_mul_hi_u32 s3, s22, s4
	s_mov_b32 s5, 0
	v_addc_co_u32_e32 v17, vcc, v7, v18, vcc
	v_lshlrev_b64 v[6:7], 2, v[4:5]
	s_add_i32 s3, s3, s2
	s_mul_i32 s2, s22, s4
	v_or_b32_e32 v10, 4, v9
	v_or_b32_e32 v11, 8, v9
	;; [unrolled: 1-line block ×7, first 2 shown]
	s_lshl_b64 s[26:27], s[4:5], 2
	s_lshl_b64 s[28:29], s[2:3], 2
	;; [unrolled: 1-line block ×3, first 2 shown]
	v_mov_b32_e32 v18, v3
	s_branch .LBB56_7
.LBB56_5:                               ;   in Loop: Header=BB56_7 Depth=1
	s_or_b64 exec, exec, s[30:31]
.LBB56_6:                               ;   in Loop: Header=BB56_7 Depth=1
	s_or_b64 exec, exec, s[2:3]
	v_mov_b32_e32 v21, s9
	v_add_co_u32_e32 v23, vcc, s8, v2
	v_addc_co_u32_e32 v24, vcc, v21, v17, vcc
	v_mov_b32_e32 v21, s11
	v_add_co_u32_e32 v25, vcc, s10, v2
	v_addc_co_u32_e32 v26, vcc, v21, v17, vcc
	global_load_dword v29, v[25:26], off
	global_load_dword v21, v[23:24], off
	v_mov_b32_e32 v22, s23
	v_add_co_u32_e32 v27, vcc, s22, v25
	v_addc_co_u32_e32 v28, vcc, v26, v22, vcc
	v_add_co_u32_e32 v25, vcc, s22, v23
	s_waitcnt vmcnt(3)
	ds_bpermute_b32 v23, v9, v20
	v_addc_co_u32_e32 v26, vcc, v24, v22, vcc
	s_waitcnt vmcnt(2)
	ds_bpermute_b32 v24, v9, v19
	s_add_u32 s24, s24, s4
	s_addc_u32 s25, s25, 0
	v_add_co_u32_e64 v2, s[2:3], s28, v2
	s_waitcnt vmcnt(1) lgkmcnt(1)
	v_sub_f32_e32 v23, v29, v23
	s_waitcnt vmcnt(0)
	v_mul_f32_e32 v23, v21, v23
	s_waitcnt lgkmcnt(0)
	v_fmac_f32_e32 v3, v23, v24
	global_load_dword v24, v[27:28], off
	global_load_dword v23, v[25:26], off
	v_add_co_u32_e32 v29, vcc, s22, v27
	v_addc_co_u32_e32 v30, vcc, v28, v22, vcc
	global_load_dword v31, v[29:30], off
	v_add_co_u32_e32 v27, vcc, s22, v25
	ds_bpermute_b32 v25, v10, v20
	v_addc_co_u32_e32 v28, vcc, v26, v22, vcc
	v_add_f32_e32 v18, v18, v21
	v_mov_b32_e32 v21, s29
	v_addc_co_u32_e64 v17, s[2:3], v17, v21, s[2:3]
	s_waitcnt vmcnt(2) lgkmcnt(0)
	v_sub_f32_e32 v24, v24, v25
	ds_bpermute_b32 v25, v10, v19
	s_waitcnt vmcnt(1)
	v_mul_f32_e32 v24, v23, v24
	v_add_f32_e32 v18, v18, v23
	s_waitcnt lgkmcnt(0)
	v_fmac_f32_e32 v3, v24, v25
	v_add_co_u32_e32 v25, vcc, s22, v29
	v_addc_co_u32_e32 v26, vcc, v30, v22, vcc
	global_load_dword v24, v[27:28], off
	v_add_co_u32_e32 v29, vcc, s22, v27
	v_addc_co_u32_e32 v30, vcc, v28, v22, vcc
	global_load_dword v32, v[29:30], off
	ds_bpermute_b32 v27, v11, v20
	ds_bpermute_b32 v28, v11, v19
	s_waitcnt vmcnt(2) lgkmcnt(1)
	v_sub_f32_e32 v27, v31, v27
	global_load_dword v31, v[25:26], off
	s_waitcnt vmcnt(2)
	v_mul_f32_e32 v27, v24, v27
	s_waitcnt lgkmcnt(0)
	v_fmac_f32_e32 v3, v27, v28
	v_add_co_u32_e32 v27, vcc, s22, v25
	v_addc_co_u32_e32 v28, vcc, v26, v22, vcc
	v_add_co_u32_e32 v25, vcc, s22, v29
	ds_bpermute_b32 v29, v12, v20
	v_addc_co_u32_e32 v26, vcc, v30, v22, vcc
	ds_bpermute_b32 v30, v12, v19
	global_load_dword v33, v[25:26], off
	s_waitcnt vmcnt(1) lgkmcnt(1)
	v_sub_f32_e32 v29, v31, v29
	global_load_dword v31, v[27:28], off
	v_mul_f32_e32 v29, v32, v29
	s_waitcnt lgkmcnt(0)
	v_fmac_f32_e32 v3, v29, v30
	v_add_co_u32_e32 v29, vcc, s22, v27
	v_addc_co_u32_e32 v30, vcc, v28, v22, vcc
	v_add_co_u32_e32 v27, vcc, s22, v25
	ds_bpermute_b32 v25, v13, v20
	v_addc_co_u32_e32 v28, vcc, v26, v22, vcc
	global_load_dword v34, v[27:28], off
	ds_bpermute_b32 v26, v13, v19
	v_add_f32_e32 v18, v18, v24
	v_add_f32_e32 v18, v18, v32
	s_waitcnt vmcnt(2)
	v_add_f32_e32 v18, v18, v33
	s_waitcnt vmcnt(1) lgkmcnt(1)
	v_sub_f32_e32 v25, v31, v25
	global_load_dword v31, v[29:30], off
	v_mul_f32_e32 v25, v33, v25
	s_waitcnt lgkmcnt(0)
	v_fmac_f32_e32 v3, v25, v26
	v_add_co_u32_e32 v25, vcc, s22, v29
	v_addc_co_u32_e32 v26, vcc, v30, v22, vcc
	v_add_co_u32_e32 v29, vcc, s22, v27
	ds_bpermute_b32 v27, v14, v20
	v_addc_co_u32_e32 v30, vcc, v28, v22, vcc
	ds_bpermute_b32 v28, v14, v19
	s_waitcnt vmcnt(1)
	v_add_f32_e32 v18, v18, v34
	s_waitcnt vmcnt(0) lgkmcnt(1)
	v_sub_f32_e32 v27, v31, v27
	v_mul_f32_e32 v27, v34, v27
	s_waitcnt lgkmcnt(0)
	v_fmac_f32_e32 v3, v27, v28
	v_add_co_u32_e32 v27, vcc, s22, v25
	v_addc_co_u32_e32 v28, vcc, v26, v22, vcc
	global_load_dword v31, v[25:26], off
	v_add_co_u32_e32 v25, vcc, s22, v29
	v_addc_co_u32_e32 v26, vcc, v30, v22, vcc
	global_load_dword v22, v[29:30], off
	s_nop 0
	global_load_dword v27, v[27:28], off
	s_nop 0
	global_load_dword v25, v[25:26], off
	ds_bpermute_b32 v29, v15, v20
	ds_bpermute_b32 v20, v16, v20
	;; [unrolled: 1-line block ×4, first 2 shown]
	v_add_co_u32_e32 v6, vcc, s26, v6
	s_waitcnt vmcnt(3) lgkmcnt(3)
	v_sub_f32_e32 v29, v31, v29
	s_waitcnt vmcnt(2)
	v_mul_f32_e32 v29, v22, v29
	s_waitcnt vmcnt(1) lgkmcnt(2)
	v_sub_f32_e32 v20, v27, v20
	s_waitcnt lgkmcnt(1)
	v_fmac_f32_e32 v3, v29, v30
	s_waitcnt vmcnt(0)
	v_mul_f32_e32 v20, v25, v20
	s_waitcnt lgkmcnt(0)
	v_fmac_f32_e32 v3, v20, v19
	v_mov_b32_e32 v19, s27
	v_addc_co_u32_e32 v7, vcc, v7, v19, vcc
	v_add_co_u32_e32 v4, vcc, s4, v4
	v_mov_b32_e32 v19, s20
	v_addc_co_u32_e32 v5, vcc, 0, v5, vcc
	v_mov_b32_e32 v20, s21
	v_cmp_lt_i64_e32 vcc, s[24:25], v[19:20]
	v_add_f32_e32 v18, v18, v22
	v_add_f32_e32 v18, v18, v25
	s_cbranch_vccz .LBB56_10
.LBB56_7:                               ; =>This Inner Loop Header: Depth=1
	v_mov_b32_e32 v19, 0
	v_mov_b32_e32 v20, 0
	s_and_saveexec_b64 s[2:3], s[0:1]
	s_cbranch_execz .LBB56_6
; %bb.8:                                ;   in Loop: Header=BB56_7 Depth=1
	v_cmp_gt_i64_e32 vcc, s[20:21], v[4:5]
	v_mov_b32_e32 v20, 0
	v_mov_b32_e32 v19, 0
	s_and_saveexec_b64 s[30:31], vcc
	s_cbranch_execz .LBB56_5
; %bb.9:                                ;   in Loop: Header=BB56_7 Depth=1
	v_mov_b32_e32 v19, s15
	v_add_co_u32_e32 v21, vcc, s14, v6
	v_addc_co_u32_e32 v22, vcc, v19, v7, vcc
	v_mov_b32_e32 v19, s13
	v_add_co_u32_e32 v23, vcc, s12, v6
	v_addc_co_u32_e32 v24, vcc, v19, v7, vcc
	global_load_dword v20, v[23:24], off
	global_load_dword v19, v[21:22], off
	s_branch .LBB56_5
.LBB56_10:
	s_movk_i32 s0, 0x41
	v_mad_u32_u24 v2, v1, s0, v0
	v_lshl_add_u32 v2, v2, 2, 0
	ds_write_b32 v2, v3
	ds_write_b32 v2, v18 offset:4160
	v_lshrrev_b32_e32 v2, 6, v0
	v_add_u32_e32 v2, v2, v1
	v_cmp_gt_u32_e32 vcc, 64, v2
	s_waitcnt lgkmcnt(0)
	s_barrier
	s_and_saveexec_b64 s[0:1], vcc
	s_cbranch_execz .LBB56_42
; %bb.11:
	v_and_b32_e32 v1, 63, v0
	v_cmp_gt_u32_e64 s[0:1], 16, v1
	v_mul_u32_u24_e32 v3, 0x41, v1
                                        ; implicit-def: $vgpr1
                                        ; implicit-def: $vgpr5
	s_and_saveexec_b64 s[2:3], s[0:1]
	s_cbranch_execz .LBB56_13
; %bb.12:
	v_add_u32_e32 v1, v2, v3
	v_lshl_add_u32 v1, v1, 2, 0
	ds_read_b32 v5, v1
	ds_read_b32 v1, v1 offset:4160
.LBB56_13:
	s_or_b64 exec, exec, s[2:3]
	v_mbcnt_hi_u32_b32 v7, -1, v8
	v_and_b32_e32 v4, 64, v7
	v_add_u32_e32 v8, 64, v4
	v_xor_b32_e32 v4, 8, v7
	v_cmp_lt_i32_e32 vcc, v4, v8
	v_cndmask_b32_e32 v4, v7, v4, vcc
	v_lshlrev_b32_e32 v4, 2, v4
	s_waitcnt lgkmcnt(1)
	ds_bpermute_b32 v6, v4, v5
	s_waitcnt lgkmcnt(1)
	ds_bpermute_b32 v9, v4, v1
	v_cmp_eq_u32_e64 s[2:3], 0, v0
	s_mov_b32 s7, 0
	s_lshl_b64 s[4:5], s[6:7], 6
	s_waitcnt lgkmcnt(1)
	v_add_f32_e32 v6, v5, v6
	v_xor_b32_e32 v5, 4, v7
	v_cmp_lt_i32_e32 vcc, v5, v8
	v_cndmask_b32_e32 v5, v7, v5, vcc
	v_lshlrev_b32_e32 v5, 2, v5
	s_waitcnt lgkmcnt(0)
	v_add_f32_e32 v1, v1, v9
	ds_bpermute_b32 v9, v5, v6
	ds_bpermute_b32 v10, v5, v1
	s_cmp_lg_u64 s[16:17], 0
	s_cselect_b64 s[8:9], -1, 0
	s_cmp_lg_u64 s[18:19], 0
	s_waitcnt lgkmcnt(1)
	v_add_f32_e32 v9, v6, v9
	v_xor_b32_e32 v6, 2, v7
	v_cmp_lt_i32_e32 vcc, v6, v8
	v_cndmask_b32_e32 v6, v7, v6, vcc
	v_lshlrev_b32_e32 v6, 2, v6
	s_waitcnt lgkmcnt(0)
	v_add_f32_e32 v1, v1, v10
	ds_bpermute_b32 v10, v6, v9
	ds_bpermute_b32 v11, v6, v1
	s_cselect_b64 s[6:7], -1, 0
	s_waitcnt lgkmcnt(1)
	v_add_f32_e32 v0, v9, v10
	v_xor_b32_e32 v9, 1, v7
	v_cmp_lt_i32_e32 vcc, v9, v8
	v_cndmask_b32_e32 v7, v7, v9, vcc
	s_waitcnt lgkmcnt(0)
	v_add_f32_e32 v1, v1, v11
	v_lshlrev_b32_e32 v7, 2, v7
	ds_bpermute_b32 v8, v7, v0
	ds_bpermute_b32 v9, v7, v1
	s_waitcnt lgkmcnt(1)
	v_add_f32_e32 v8, v0, v8
	s_waitcnt lgkmcnt(0)
	v_add_f32_e32 v9, v1, v9
	s_and_saveexec_b64 s[10:11], s[2:3]
	s_cbranch_execz .LBB56_18
; %bb.14:
	v_mov_b32_e32 v1, s5
	v_or_b32_e32 v0, s4, v2
	v_lshlrev_b64 v[0:1], 2, v[0:1]
	s_andn2_b64 vcc, exec, s[8:9]
	s_cbranch_vccnz .LBB56_16
; %bb.15:
	v_mov_b32_e32 v11, s17
	v_add_co_u32_e32 v10, vcc, s16, v0
	v_addc_co_u32_e32 v11, vcc, v11, v1, vcc
	global_store_dword v[10:11], v8, off
.LBB56_16:
	s_andn2_b64 vcc, exec, s[6:7]
	s_cbranch_vccnz .LBB56_18
; %bb.17:
	v_mov_b32_e32 v10, s19
	v_add_co_u32_e32 v0, vcc, s18, v0
	v_addc_co_u32_e32 v1, vcc, v10, v1, vcc
	global_store_dword v[0:1], v9, off
.LBB56_18:
	s_or_b64 exec, exec, s[10:11]
	v_cmp_gt_u32_e32 vcc, 48, v2
	s_and_b64 exec, exec, vcc
	s_cbranch_execz .LBB56_42
; %bb.19:
	s_and_saveexec_b64 s[10:11], s[0:1]
	s_cbranch_execz .LBB56_21
; %bb.20:
	v_add_u32_e32 v0, v2, v3
	v_lshl_add_u32 v0, v0, 2, 0
	ds_read_b32 v8, v0 offset:64
	ds_read_b32 v9, v0 offset:4224
.LBB56_21:
	s_or_b64 exec, exec, s[10:11]
	s_waitcnt lgkmcnt(1)
	ds_bpermute_b32 v0, v4, v8
	s_waitcnt lgkmcnt(1)
	ds_bpermute_b32 v1, v4, v9
	s_waitcnt lgkmcnt(1)
	v_add_f32_e32 v0, v8, v0
	s_waitcnt lgkmcnt(0)
	v_add_f32_e32 v1, v9, v1
	ds_bpermute_b32 v8, v5, v0
	ds_bpermute_b32 v9, v5, v1
	s_waitcnt lgkmcnt(1)
	v_add_f32_e32 v0, v0, v8
	s_waitcnt lgkmcnt(0)
	v_add_f32_e32 v1, v1, v9
	ds_bpermute_b32 v8, v6, v0
	;; [unrolled: 6-line block ×3, first 2 shown]
	ds_bpermute_b32 v9, v7, v1
	s_waitcnt lgkmcnt(1)
	v_add_f32_e32 v0, v0, v8
	s_waitcnt lgkmcnt(0)
	v_add_f32_e32 v1, v1, v9
	s_and_saveexec_b64 s[10:11], s[2:3]
	s_cbranch_execz .LBB56_26
; %bb.22:
	s_andn2_b64 vcc, exec, s[8:9]
	s_cbranch_vccnz .LBB56_24
; %bb.23:
	v_mov_b32_e32 v9, s5
	v_add_co_u32_e32 v8, vcc, s4, v2
	v_addc_co_u32_e32 v9, vcc, 0, v9, vcc
	v_lshlrev_b64 v[8:9], 2, v[8:9]
	v_mov_b32_e32 v10, s17
	v_add_co_u32_e32 v8, vcc, s16, v8
	v_addc_co_u32_e32 v9, vcc, v10, v9, vcc
	global_store_dword v[8:9], v0, off offset:64
.LBB56_24:
	s_andn2_b64 vcc, exec, s[6:7]
	s_cbranch_vccnz .LBB56_26
; %bb.25:
	v_mov_b32_e32 v9, s5
	v_add_co_u32_e32 v8, vcc, s4, v2
	v_addc_co_u32_e32 v9, vcc, 0, v9, vcc
	v_lshlrev_b64 v[8:9], 2, v[8:9]
	v_mov_b32_e32 v10, s19
	v_add_co_u32_e32 v8, vcc, s18, v8
	v_addc_co_u32_e32 v9, vcc, v10, v9, vcc
	global_store_dword v[8:9], v1, off offset:64
.LBB56_26:
	s_or_b64 exec, exec, s[10:11]
	v_cmp_gt_u32_e32 vcc, 32, v2
	s_and_b64 exec, exec, vcc
	s_cbranch_execz .LBB56_42
; %bb.27:
	s_and_saveexec_b64 s[10:11], s[0:1]
	s_cbranch_execz .LBB56_29
; %bb.28:
	v_add_u32_e32 v0, v2, v3
	v_lshl_add_u32 v1, v0, 2, 0
	ds_read_b32 v0, v1 offset:128
	ds_read_b32 v1, v1 offset:4288
.LBB56_29:
	s_or_b64 exec, exec, s[10:11]
	s_waitcnt lgkmcnt(1)
	ds_bpermute_b32 v8, v4, v0
	s_waitcnt lgkmcnt(1)
	ds_bpermute_b32 v9, v4, v1
	s_waitcnt lgkmcnt(1)
	v_add_f32_e32 v0, v0, v8
	s_waitcnt lgkmcnt(0)
	v_add_f32_e32 v1, v1, v9
	ds_bpermute_b32 v8, v5, v0
	ds_bpermute_b32 v9, v5, v1
	s_waitcnt lgkmcnt(1)
	v_add_f32_e32 v0, v0, v8
	s_waitcnt lgkmcnt(0)
	v_add_f32_e32 v1, v1, v9
	ds_bpermute_b32 v8, v6, v0
	;; [unrolled: 6-line block ×3, first 2 shown]
	ds_bpermute_b32 v9, v7, v1
	s_waitcnt lgkmcnt(1)
	v_add_f32_e32 v0, v0, v8
	s_waitcnt lgkmcnt(0)
	v_add_f32_e32 v1, v1, v9
	s_and_saveexec_b64 s[10:11], s[2:3]
	s_cbranch_execz .LBB56_34
; %bb.30:
	s_andn2_b64 vcc, exec, s[8:9]
	s_cbranch_vccnz .LBB56_32
; %bb.31:
	v_mov_b32_e32 v9, s5
	v_add_co_u32_e32 v8, vcc, s4, v2
	v_addc_co_u32_e32 v9, vcc, 0, v9, vcc
	v_lshlrev_b64 v[8:9], 2, v[8:9]
	v_mov_b32_e32 v10, s17
	v_add_co_u32_e32 v8, vcc, s16, v8
	v_addc_co_u32_e32 v9, vcc, v10, v9, vcc
	global_store_dword v[8:9], v0, off offset:128
.LBB56_32:
	s_andn2_b64 vcc, exec, s[6:7]
	s_cbranch_vccnz .LBB56_34
; %bb.33:
	v_mov_b32_e32 v9, s5
	v_add_co_u32_e32 v8, vcc, s4, v2
	v_addc_co_u32_e32 v9, vcc, 0, v9, vcc
	v_lshlrev_b64 v[8:9], 2, v[8:9]
	v_mov_b32_e32 v10, s19
	v_add_co_u32_e32 v8, vcc, s18, v8
	v_addc_co_u32_e32 v9, vcc, v10, v9, vcc
	global_store_dword v[8:9], v1, off offset:128
.LBB56_34:
	s_or_b64 exec, exec, s[10:11]
	v_cmp_gt_u32_e32 vcc, 16, v2
	s_and_b64 exec, exec, vcc
	s_cbranch_execz .LBB56_42
; %bb.35:
	s_and_saveexec_b64 s[10:11], s[0:1]
	s_cbranch_execz .LBB56_37
; %bb.36:
	v_add_u32_e32 v0, v2, v3
	v_lshl_add_u32 v1, v0, 2, 0
	ds_read_b32 v0, v1 offset:192
	ds_read_b32 v1, v1 offset:4352
.LBB56_37:
	s_or_b64 exec, exec, s[10:11]
	s_waitcnt lgkmcnt(1)
	ds_bpermute_b32 v3, v4, v0
	s_waitcnt lgkmcnt(1)
	ds_bpermute_b32 v4, v4, v1
	s_waitcnt lgkmcnt(1)
	v_add_f32_e32 v0, v0, v3
	s_waitcnt lgkmcnt(0)
	v_add_f32_e32 v1, v1, v4
	ds_bpermute_b32 v3, v5, v0
	ds_bpermute_b32 v4, v5, v1
	s_waitcnt lgkmcnt(1)
	v_add_f32_e32 v0, v0, v3
	s_waitcnt lgkmcnt(0)
	v_add_f32_e32 v1, v1, v4
	ds_bpermute_b32 v3, v6, v0
	;; [unrolled: 6-line block ×3, first 2 shown]
	ds_bpermute_b32 v1, v7, v0
	s_and_b64 exec, exec, s[2:3]
	s_cbranch_execz .LBB56_42
; %bb.38:
	s_andn2_b64 vcc, exec, s[8:9]
	s_cbranch_vccnz .LBB56_40
; %bb.39:
	s_waitcnt lgkmcnt(1)
	v_add_f32_e32 v5, v3, v4
	v_mov_b32_e32 v4, s5
	v_add_co_u32_e32 v3, vcc, s4, v2
	v_addc_co_u32_e32 v4, vcc, 0, v4, vcc
	v_lshlrev_b64 v[3:4], 2, v[3:4]
	v_mov_b32_e32 v6, s17
	v_add_co_u32_e32 v3, vcc, s16, v3
	v_addc_co_u32_e32 v4, vcc, v6, v4, vcc
	global_store_dword v[3:4], v5, off offset:192
.LBB56_40:
	s_andn2_b64 vcc, exec, s[6:7]
	s_cbranch_vccnz .LBB56_42
; %bb.41:
	s_waitcnt lgkmcnt(0)
	v_add_f32_e32 v3, v0, v1
	v_mov_b32_e32 v1, s5
	v_add_co_u32_e32 v0, vcc, s4, v2
	v_addc_co_u32_e32 v1, vcc, 0, v1, vcc
	v_lshlrev_b64 v[0:1], 2, v[0:1]
	v_mov_b32_e32 v2, s19
	v_add_co_u32_e32 v0, vcc, s18, v0
	v_addc_co_u32_e32 v1, vcc, v2, v1, vcc
	global_store_dword v[0:1], v3, off offset:192
.LBB56_42:
	s_endpgm
	.section	.rodata,"a",@progbits
	.p2align	6, 0x0
	.amdhsa_kernel _ZN2at6native12_GLOBAL__N_135GammaBetaBackwardCUDAKernelTemplateIffLj64ELj16ELj128ELb0ELb1ELb0EEEvllPKT_S5_PKT0_S8_PS3_S9_
		.amdhsa_group_segment_fixed_size 0
		.amdhsa_private_segment_fixed_size 0
		.amdhsa_kernarg_size 320
		.amdhsa_user_sgpr_count 6
		.amdhsa_user_sgpr_private_segment_buffer 1
		.amdhsa_user_sgpr_dispatch_ptr 0
		.amdhsa_user_sgpr_queue_ptr 0
		.amdhsa_user_sgpr_kernarg_segment_ptr 1
		.amdhsa_user_sgpr_dispatch_id 0
		.amdhsa_user_sgpr_flat_scratch_init 0
		.amdhsa_user_sgpr_private_segment_size 0
		.amdhsa_uses_dynamic_stack 0
		.amdhsa_system_sgpr_private_segment_wavefront_offset 0
		.amdhsa_system_sgpr_workgroup_id_x 1
		.amdhsa_system_sgpr_workgroup_id_y 1
		.amdhsa_system_sgpr_workgroup_id_z 0
		.amdhsa_system_sgpr_workgroup_info 0
		.amdhsa_system_vgpr_workitem_id 1
		.amdhsa_next_free_vgpr 35
		.amdhsa_next_free_sgpr 32
		.amdhsa_reserve_vcc 1
		.amdhsa_reserve_flat_scratch 0
		.amdhsa_float_round_mode_32 0
		.amdhsa_float_round_mode_16_64 0
		.amdhsa_float_denorm_mode_32 3
		.amdhsa_float_denorm_mode_16_64 3
		.amdhsa_dx10_clamp 1
		.amdhsa_ieee_mode 1
		.amdhsa_fp16_overflow 0
		.amdhsa_exception_fp_ieee_invalid_op 0
		.amdhsa_exception_fp_denorm_src 0
		.amdhsa_exception_fp_ieee_div_zero 0
		.amdhsa_exception_fp_ieee_overflow 0
		.amdhsa_exception_fp_ieee_underflow 0
		.amdhsa_exception_fp_ieee_inexact 0
		.amdhsa_exception_int_div_zero 0
	.end_amdhsa_kernel
	.section	.text._ZN2at6native12_GLOBAL__N_135GammaBetaBackwardCUDAKernelTemplateIffLj64ELj16ELj128ELb0ELb1ELb0EEEvllPKT_S5_PKT0_S8_PS3_S9_,"axG",@progbits,_ZN2at6native12_GLOBAL__N_135GammaBetaBackwardCUDAKernelTemplateIffLj64ELj16ELj128ELb0ELb1ELb0EEEvllPKT_S5_PKT0_S8_PS3_S9_,comdat
.Lfunc_end56:
	.size	_ZN2at6native12_GLOBAL__N_135GammaBetaBackwardCUDAKernelTemplateIffLj64ELj16ELj128ELb0ELb1ELb0EEEvllPKT_S5_PKT0_S8_PS3_S9_, .Lfunc_end56-_ZN2at6native12_GLOBAL__N_135GammaBetaBackwardCUDAKernelTemplateIffLj64ELj16ELj128ELb0ELb1ELb0EEEvllPKT_S5_PKT0_S8_PS3_S9_
                                        ; -- End function
	.set _ZN2at6native12_GLOBAL__N_135GammaBetaBackwardCUDAKernelTemplateIffLj64ELj16ELj128ELb0ELb1ELb0EEEvllPKT_S5_PKT0_S8_PS3_S9_.num_vgpr, 35
	.set _ZN2at6native12_GLOBAL__N_135GammaBetaBackwardCUDAKernelTemplateIffLj64ELj16ELj128ELb0ELb1ELb0EEEvllPKT_S5_PKT0_S8_PS3_S9_.num_agpr, 0
	.set _ZN2at6native12_GLOBAL__N_135GammaBetaBackwardCUDAKernelTemplateIffLj64ELj16ELj128ELb0ELb1ELb0EEEvllPKT_S5_PKT0_S8_PS3_S9_.numbered_sgpr, 32
	.set _ZN2at6native12_GLOBAL__N_135GammaBetaBackwardCUDAKernelTemplateIffLj64ELj16ELj128ELb0ELb1ELb0EEEvllPKT_S5_PKT0_S8_PS3_S9_.num_named_barrier, 0
	.set _ZN2at6native12_GLOBAL__N_135GammaBetaBackwardCUDAKernelTemplateIffLj64ELj16ELj128ELb0ELb1ELb0EEEvllPKT_S5_PKT0_S8_PS3_S9_.private_seg_size, 0
	.set _ZN2at6native12_GLOBAL__N_135GammaBetaBackwardCUDAKernelTemplateIffLj64ELj16ELj128ELb0ELb1ELb0EEEvllPKT_S5_PKT0_S8_PS3_S9_.uses_vcc, 1
	.set _ZN2at6native12_GLOBAL__N_135GammaBetaBackwardCUDAKernelTemplateIffLj64ELj16ELj128ELb0ELb1ELb0EEEvllPKT_S5_PKT0_S8_PS3_S9_.uses_flat_scratch, 0
	.set _ZN2at6native12_GLOBAL__N_135GammaBetaBackwardCUDAKernelTemplateIffLj64ELj16ELj128ELb0ELb1ELb0EEEvllPKT_S5_PKT0_S8_PS3_S9_.has_dyn_sized_stack, 0
	.set _ZN2at6native12_GLOBAL__N_135GammaBetaBackwardCUDAKernelTemplateIffLj64ELj16ELj128ELb0ELb1ELb0EEEvllPKT_S5_PKT0_S8_PS3_S9_.has_recursion, 0
	.set _ZN2at6native12_GLOBAL__N_135GammaBetaBackwardCUDAKernelTemplateIffLj64ELj16ELj128ELb0ELb1ELb0EEEvllPKT_S5_PKT0_S8_PS3_S9_.has_indirect_call, 0
	.section	.AMDGPU.csdata,"",@progbits
; Kernel info:
; codeLenInByte = 2456
; TotalNumSgprs: 36
; NumVgprs: 35
; ScratchSize: 0
; MemoryBound: 0
; FloatMode: 240
; IeeeMode: 1
; LDSByteSize: 0 bytes/workgroup (compile time only)
; SGPRBlocks: 4
; VGPRBlocks: 8
; NumSGPRsForWavesPerEU: 36
; NumVGPRsForWavesPerEU: 35
; Occupancy: 7
; WaveLimiterHint : 0
; COMPUTE_PGM_RSRC2:SCRATCH_EN: 0
; COMPUTE_PGM_RSRC2:USER_SGPR: 6
; COMPUTE_PGM_RSRC2:TRAP_HANDLER: 0
; COMPUTE_PGM_RSRC2:TGID_X_EN: 1
; COMPUTE_PGM_RSRC2:TGID_Y_EN: 1
; COMPUTE_PGM_RSRC2:TGID_Z_EN: 0
; COMPUTE_PGM_RSRC2:TIDIG_COMP_CNT: 1
	.section	.text._ZN2at6native12_GLOBAL__N_135GammaBetaBackwardCUDAKernelTemplateIffLj64ELj16ELj128ELb0ELb0ELb0EEEvllPKT_S5_PKT0_S8_PS3_S9_,"axG",@progbits,_ZN2at6native12_GLOBAL__N_135GammaBetaBackwardCUDAKernelTemplateIffLj64ELj16ELj128ELb0ELb0ELb0EEEvllPKT_S5_PKT0_S8_PS3_S9_,comdat
	.globl	_ZN2at6native12_GLOBAL__N_135GammaBetaBackwardCUDAKernelTemplateIffLj64ELj16ELj128ELb0ELb0ELb0EEEvllPKT_S5_PKT0_S8_PS3_S9_ ; -- Begin function _ZN2at6native12_GLOBAL__N_135GammaBetaBackwardCUDAKernelTemplateIffLj64ELj16ELj128ELb0ELb0ELb0EEEvllPKT_S5_PKT0_S8_PS3_S9_
	.p2align	8
	.type	_ZN2at6native12_GLOBAL__N_135GammaBetaBackwardCUDAKernelTemplateIffLj64ELj16ELj128ELb0ELb0ELb0EEEvllPKT_S5_PKT0_S8_PS3_S9_,@function
_ZN2at6native12_GLOBAL__N_135GammaBetaBackwardCUDAKernelTemplateIffLj64ELj16ELj128ELb0ELb0ELb0EEEvllPKT_S5_PKT0_S8_PS3_S9_: ; @_ZN2at6native12_GLOBAL__N_135GammaBetaBackwardCUDAKernelTemplateIffLj64ELj16ELj128ELb0ELb0ELb0EEEvllPKT_S5_PKT0_S8_PS3_S9_
; %bb.0:
	s_mov_b64 s[38:39], s[2:3]
	s_mov_b64 s[36:37], s[0:1]
	s_add_u32 s36, s36, s8
	s_load_dwordx8 s[12:19], s[4:5], 0x0
	s_load_dwordx4 s[20:23], s[4:5], 0x20
	s_addc_u32 s37, s37, 0
	s_lshl_b32 s33, s6, 6
	v_mov_b32_e32 v4, 0
	s_or_b32 s0, s33, 63
	v_mov_b32_e32 v2, v4
	v_mov_b32_e32 v3, s0
	buffer_store_dword v1, off, s[36:39], 0 ; 4-byte Folded Spill
	s_nop 0
	buffer_store_dword v2, off, s[36:39], 0 offset:4 ; 4-byte Folded Spill
	s_lshl_b32 s10, s7, 7
	s_mov_b32 s11, 0
	s_waitcnt lgkmcnt(0)
	v_cmp_le_i64_e32 vcc, s[14:15], v[3:4]
	v_mov_b32_e32 v2, s10
	v_mov_b32_e32 v3, s11
	v_cmp_gt_i64_e64 s[0:1], s[12:13], v[2:3]
	v_mov_b32_e32 v61, v0
	v_cndmask_b32_e64 v0, 0, 1, s[0:1]
	v_cmp_ne_u32_e64 s[0:1], 1, v0
	s_cbranch_vccz .LBB57_49
; %bb.1:
	s_and_b64 vcc, exec, s[0:1]
	v_mov_b32_e32 v55, 0
	s_cbranch_vccnz .LBB57_50
; %bb.2:
	v_lshlrev_b32_e32 v0, 3, v1
	v_add_co_u32_e32 v5, vcc, s10, v0
	v_addc_co_u32_e64 v6, s[2:3], 0, 0, vcc
	v_mul_lo_u32 v10, s15, v5
	v_mul_lo_u32 v9, s14, v6
	v_mad_u64_u32 v[3:4], s[2:3], s14, v5, 0
	v_mov_b32_e32 v2, 0
	s_load_dword s7, s[4:5], 0x44
	v_add_u32_e32 v7, s33, v61
	v_mov_b32_e32 v8, v2
	v_add3_u32 v4, v4, v9, v10
	v_cmp_gt_i64_e64 s[2:3], s[14:15], v[7:8]
	v_lshlrev_b64 v[20:21], 2, v[7:8]
	v_lshlrev_b64 v[7:8], 2, v[3:4]
	s_add_u32 s24, s4, 64
	v_mov_b32_e32 v9, s17
	v_add_co_u32_e32 v62, vcc, s16, v7
	s_addc_u32 s25, s5, 0
	s_waitcnt lgkmcnt(0)
	s_lshl_b32 s7, s7, 7
	v_addc_co_u32_e32 v19, vcc, v9, v8, vcc
	s_mul_i32 s8, s15, s7
	s_mul_hi_u32 s9, s14, s7
	v_add_co_u32_e32 v9, vcc, 7, v5
	s_add_i32 s9, s9, s8
	s_mul_i32 s8, s14, s7
	v_addc_co_u32_e32 v10, vcc, 0, v6, vcc
	s_lshl_b64 s[26:27], s[8:9], 2
	v_mul_lo_u32 v12, s15, v9
	v_mul_lo_u32 v13, s14, v10
	v_mad_u64_u32 v[9:10], s[8:9], s14, v9, 0
	v_mov_b32_e32 v11, s19
	v_add_co_u32_e32 v22, vcc, s18, v7
	v_add3_u32 v10, v10, v13, v12
	v_addc_co_u32_e32 v23, vcc, v11, v8, vcc
	v_lshlrev_b64 v[7:8], 2, v[9:10]
	v_mov_b32_e32 v9, s17
	v_add_co_u32_e32 v24, vcc, s16, v7
	v_addc_co_u32_e32 v25, vcc, v9, v8, vcc
	v_add_co_u32_e32 v9, vcc, 6, v5
	v_addc_co_u32_e32 v10, vcc, 0, v6, vcc
	v_mul_lo_u32 v12, s15, v9
	v_mul_lo_u32 v13, s14, v10
	v_mad_u64_u32 v[9:10], s[8:9], s14, v9, 0
	v_add_co_u32_e32 v26, vcc, s18, v7
	v_add3_u32 v10, v10, v13, v12
	v_addc_co_u32_e32 v27, vcc, v11, v8, vcc
	v_lshlrev_b64 v[7:8], 2, v[9:10]
	v_mov_b32_e32 v9, s17
	v_add_co_u32_e32 v28, vcc, s16, v7
	v_addc_co_u32_e32 v29, vcc, v9, v8, vcc
	v_add_co_u32_e32 v9, vcc, 5, v5
	v_addc_co_u32_e32 v10, vcc, 0, v6, vcc
	v_mul_lo_u32 v12, s15, v9
	v_mul_lo_u32 v13, s14, v10
	v_mad_u64_u32 v[9:10], s[8:9], s14, v9, 0
	v_add_co_u32_e32 v30, vcc, s18, v7
	v_add3_u32 v10, v10, v13, v12
	v_addc_co_u32_e32 v31, vcc, v11, v8, vcc
	v_lshlrev_b64 v[7:8], 2, v[9:10]
	v_mov_b32_e32 v9, s17
	v_add_co_u32_e32 v32, vcc, s16, v7
	v_addc_co_u32_e32 v33, vcc, v9, v8, vcc
	v_add_co_u32_e32 v9, vcc, 4, v5
	v_addc_co_u32_e32 v10, vcc, 0, v6, vcc
	v_mul_lo_u32 v12, s15, v9
	v_mul_lo_u32 v13, s14, v10
	v_mad_u64_u32 v[9:10], s[8:9], s14, v9, 0
	v_add_co_u32_e32 v34, vcc, s18, v7
	v_add3_u32 v10, v10, v13, v12
	v_addc_co_u32_e32 v35, vcc, v11, v8, vcc
	v_lshlrev_b64 v[7:8], 2, v[9:10]
	v_mov_b32_e32 v9, s17
	v_add_co_u32_e32 v36, vcc, s16, v7
	v_addc_co_u32_e32 v37, vcc, v9, v8, vcc
	v_add_co_u32_e32 v9, vcc, 3, v5
	v_addc_co_u32_e32 v10, vcc, 0, v6, vcc
	v_mul_lo_u32 v12, s15, v9
	v_mul_lo_u32 v13, s14, v10
	v_mad_u64_u32 v[9:10], s[8:9], s14, v9, 0
	v_add_co_u32_e32 v38, vcc, s18, v7
	v_add3_u32 v10, v10, v13, v12
	v_addc_co_u32_e32 v39, vcc, v11, v8, vcc
	v_lshlrev_b64 v[7:8], 2, v[9:10]
	v_mov_b32_e32 v9, s17
	v_add_co_u32_e32 v40, vcc, s16, v7
	v_addc_co_u32_e32 v41, vcc, v9, v8, vcc
	v_add_co_u32_e32 v5, vcc, 2, v5
	v_addc_co_u32_e32 v6, vcc, 0, v6, vcc
	v_mul_lo_u32 v10, s15, v5
	v_mul_lo_u32 v11, s14, v6
	v_mad_u64_u32 v[5:6], s[8:9], s14, v5, 0
	v_mov_b32_e32 v9, s19
	v_add_co_u32_e32 v42, vcc, s18, v7
	v_add3_u32 v6, v6, v11, v10
	v_lshlrev_b64 v[5:6], 2, v[5:6]
	v_addc_co_u32_e32 v43, vcc, v9, v8, vcc
	v_mov_b32_e32 v7, s17
	v_add_co_u32_e32 v44, vcc, s16, v5
	v_addc_co_u32_e32 v45, vcc, v7, v6, vcc
	v_mov_b32_e32 v7, s19
	v_add_co_u32_e32 v46, vcc, s18, v5
	;; [unrolled: 3-line block ×3, first 2 shown]
	v_addc_co_u32_e32 v4, vcc, v4, v5, vcc
	v_lshlrev_b64 v[3:4], 2, v[3:4]
	v_mov_b32_e32 v5, s17
	v_add_co_u32_e32 v48, vcc, s16, v3
	v_addc_co_u32_e32 v49, vcc, v5, v4, vcc
	v_add_co_u32_e32 v50, vcc, s18, v3
	v_mbcnt_lo_u32_b32 v3, -1, 0
	v_mbcnt_hi_u32_b32 v3, -1, v3
	v_mov_b32_e32 v5, s19
	s_add_u32 s28, s10, 0x7f
	v_lshlrev_b32_e32 v3, 2, v3
	v_addc_co_u32_e32 v51, vcc, v5, v4, vcc
	s_addc_u32 s29, 0, 0
	v_and_b32_e32 v52, 0x100, v3
	v_mov_b32_e32 v53, 0
	v_mov_b32_e32 v3, 0
	s_mov_b64 s[30:31], s[10:11]
	buffer_store_dword v2, off, s[36:39], 0 ; 4-byte Folded Spill
	s_nop 0
	buffer_store_dword v3, off, s[36:39], 0 offset:4 ; 4-byte Folded Spill
.LBB57_3:                               ; =>This Inner Loop Header: Depth=1
	v_mov_b32_e32 v3, s12
	v_mov_b32_e32 v4, s13
	v_cmp_ge_i64_e32 vcc, s[28:29], v[3:4]
	v_mov_b32_e32 v3, s29
	v_add_co_u32_e64 v54, s[8:9], s28, v0
	v_addc_co_u32_e64 v56, s[8:9], 0, v3, s[8:9]
	s_mov_b64 s[8:9], -1
	s_and_b64 vcc, exec, vcc
                                        ; implicit-def: $vgpr3_vgpr4_vgpr5_vgpr6_vgpr7_vgpr8_vgpr9_vgpr10
                                        ; implicit-def: $vgpr59
                                        ; implicit-def: $vgpr11_vgpr12_vgpr13_vgpr14_vgpr15_vgpr16_vgpr17_vgpr18
                                        ; implicit-def: $vgpr4
                                        ; implicit-def: $vgpr3
                                        ; implicit-def: $vgpr55
	s_cbranch_vccz .LBB57_25
; %bb.4:                                ;   in Loop: Header=BB57_3 Depth=1
	s_load_dword s8, s[24:25], 0xc
	v_mov_b32_e32 v57, 0
	v_mov_b32_e32 v58, 0
	s_waitcnt lgkmcnt(0)
	s_and_b32 s8, s8, 0xffff
	v_mad_u32_u24 v3, v1, s8, v61
	v_and_b32_e32 v3, 63, v3
	v_cmp_gt_u32_e32 vcc, 8, v3
	s_and_saveexec_b64 s[8:9], vcc
	s_cbranch_execz .LBB57_8
; %bb.5:                                ;   in Loop: Header=BB57_3 Depth=1
	v_add_co_u32_e32 v3, vcc, v54, v3
	v_addc_co_u32_e32 v4, vcc, 0, v56, vcc
	v_add_co_u32_e32 v3, vcc, 0xffffff81, v3
	v_addc_co_u32_e32 v4, vcc, -1, v4, vcc
	v_cmp_gt_i64_e32 vcc, s[12:13], v[3:4]
	v_mov_b32_e32 v58, 0
	v_mov_b32_e32 v57, 0
	s_and_saveexec_b64 s[34:35], vcc
	s_cbranch_execz .LBB57_7
; %bb.6:                                ;   in Loop: Header=BB57_3 Depth=1
	v_lshlrev_b64 v[3:4], 2, v[3:4]
	v_mov_b32_e32 v6, s23
	v_add_co_u32_e32 v5, vcc, s22, v3
	v_addc_co_u32_e32 v6, vcc, v6, v4, vcc
	v_mov_b32_e32 v7, s21
	v_add_co_u32_e32 v3, vcc, s20, v3
	v_addc_co_u32_e32 v4, vcc, v7, v4, vcc
	global_load_dword v58, v[3:4], off
	global_load_dword v57, v[5:6], off
.LBB57_7:                               ;   in Loop: Header=BB57_3 Depth=1
	s_or_b64 exec, exec, s[34:35]
.LBB57_8:                               ;   in Loop: Header=BB57_3 Depth=1
	s_or_b64 exec, exec, s[8:9]
	v_add_co_u32_e32 v3, vcc, 0xffffff81, v54
	v_addc_co_u32_e32 v4, vcc, -1, v56, vcc
	v_mov_b32_e32 v9, v2
	v_cmp_gt_i64_e32 vcc, s[12:13], v[3:4]
	v_mov_b32_e32 v3, v2
	v_mov_b32_e32 v4, v2
	;; [unrolled: 1-line block ×15, first 2 shown]
	s_and_b64 s[34:35], s[2:3], vcc
	v_mov_b32_e32 v9, v8
	v_mov_b32_e32 v8, v7
	;; [unrolled: 1-line block ×7, first 2 shown]
	s_and_saveexec_b64 s[8:9], s[34:35]
	s_cbranch_execz .LBB57_10
; %bb.9:                                ;   in Loop: Header=BB57_3 Depth=1
	v_add_co_u32_e32 v3, vcc, v62, v20
	v_addc_co_u32_e32 v4, vcc, v19, v21, vcc
	global_load_dword v3, v[3:4], off
	v_add_co_u32_e32 v4, vcc, v22, v20
	v_addc_co_u32_e32 v5, vcc, v23, v21, vcc
	global_load_dword v11, v[4:5], off
	v_mov_b32_e32 v4, v2
	v_mov_b32_e32 v5, v2
	;; [unrolled: 1-line block ×14, first 2 shown]
.LBB57_10:                              ;   in Loop: Header=BB57_3 Depth=1
	s_or_b64 exec, exec, s[8:9]
	v_add_co_u32_e32 v59, vcc, 0xffffff82, v54
	v_addc_co_u32_e32 v60, vcc, -1, v56, vcc
	v_cmp_gt_i64_e32 vcc, s[12:13], v[59:60]
	s_and_b64 s[34:35], s[2:3], vcc
	s_and_saveexec_b64 s[8:9], s[34:35]
	s_cbranch_execz .LBB57_12
; %bb.11:                               ;   in Loop: Header=BB57_3 Depth=1
	v_add_co_u32_e32 v59, vcc, v48, v20
	v_addc_co_u32_e32 v60, vcc, v49, v21, vcc
	global_load_dword v4, v[59:60], off
	v_add_co_u32_e32 v59, vcc, v50, v20
	v_addc_co_u32_e32 v60, vcc, v51, v21, vcc
	global_load_dword v12, v[59:60], off
.LBB57_12:                              ;   in Loop: Header=BB57_3 Depth=1
	s_or_b64 exec, exec, s[8:9]
	v_add_co_u32_e32 v59, vcc, 0xffffff83, v54
	v_addc_co_u32_e32 v60, vcc, -1, v56, vcc
	v_cmp_gt_i64_e32 vcc, s[12:13], v[59:60]
	s_and_b64 s[34:35], s[2:3], vcc
	s_and_saveexec_b64 s[8:9], s[34:35]
	s_cbranch_execz .LBB57_14
; %bb.13:                               ;   in Loop: Header=BB57_3 Depth=1
	v_add_co_u32_e32 v59, vcc, v44, v20
	v_addc_co_u32_e32 v60, vcc, v45, v21, vcc
	global_load_dword v5, v[59:60], off
	v_add_co_u32_e32 v59, vcc, v46, v20
	v_addc_co_u32_e32 v60, vcc, v47, v21, vcc
	global_load_dword v13, v[59:60], off
.LBB57_14:                              ;   in Loop: Header=BB57_3 Depth=1
	;; [unrolled: 15-line block ×7, first 2 shown]
	s_or_b64 exec, exec, s[8:9]
	s_waitcnt vmcnt(1)
	ds_bpermute_b32 v59, v52, v58
	s_waitcnt vmcnt(0)
	ds_bpermute_b32 v55, v52, v57
	s_mov_b64 s[8:9], 0
	s_waitcnt lgkmcnt(1)
	v_sub_f32_e32 v11, v11, v59
	buffer_load_dword v59, off, s[36:39], 0 ; 4-byte Folded Reload
	buffer_load_dword v60, off, s[36:39], 0 offset:4 ; 4-byte Folded Reload
	s_waitcnt vmcnt(1)
	ds_bpermute_b32 v59, v52, v58 offset:4
	v_mul_f32_e32 v11, v3, v11
	s_waitcnt lgkmcnt(1)
	v_fma_f32 v55, v11, v55, v53
	ds_bpermute_b32 v11, v52, v57 offset:4
	s_waitcnt lgkmcnt(1)
	v_sub_f32_e32 v12, v12, v59
	v_mul_f32_e32 v12, v4, v12
	ds_bpermute_b32 v59, v52, v57 offset:28
	s_waitcnt lgkmcnt(1)
	v_fmac_f32_e32 v55, v12, v11
	ds_bpermute_b32 v11, v52, v58 offset:8
	s_waitcnt lgkmcnt(0)
	v_sub_f32_e32 v11, v13, v11
	v_mul_f32_e32 v11, v5, v11
	s_waitcnt vmcnt(0)
	v_add_f32_e32 v3, v60, v3
	v_add_f32_e32 v3, v4, v3
	ds_bpermute_b32 v4, v52, v57 offset:8
	v_add_f32_e32 v3, v5, v3
	ds_bpermute_b32 v5, v52, v58 offset:12
	v_add_f32_e32 v3, v6, v3
	v_add_f32_e32 v3, v7, v3
	s_waitcnt lgkmcnt(1)
	v_fmac_f32_e32 v55, v11, v4
	ds_bpermute_b32 v4, v52, v57 offset:12
	s_waitcnt lgkmcnt(1)
	v_sub_f32_e32 v5, v14, v5
	v_mul_f32_e32 v5, v6, v5
	v_add_f32_e32 v3, v8, v3
	v_add_f32_e32 v3, v9, v3
	s_waitcnt lgkmcnt(0)
	v_fmac_f32_e32 v55, v5, v4
	ds_bpermute_b32 v5, v52, v58 offset:16
	ds_bpermute_b32 v4, v52, v57 offset:16
	s_waitcnt lgkmcnt(1)
	v_sub_f32_e32 v5, v15, v5
	v_mul_f32_e32 v5, v7, v5
	s_waitcnt lgkmcnt(0)
	v_fmac_f32_e32 v55, v5, v4
	ds_bpermute_b32 v5, v52, v58 offset:20
	ds_bpermute_b32 v4, v52, v57 offset:20
	s_waitcnt lgkmcnt(1)
	v_sub_f32_e32 v5, v16, v5
	v_mul_f32_e32 v5, v8, v5
	;; [unrolled: 7-line block ×3, first 2 shown]
	s_waitcnt lgkmcnt(0)
	v_fmac_f32_e32 v55, v5, v4
	ds_bpermute_b32 v4, v52, v58 offset:28
.LBB57_25:                              ;   in Loop: Header=BB57_3 Depth=1
	s_and_b64 vcc, exec, s[8:9]
	s_cbranch_vccz .LBB57_40
; %bb.26:                               ;   in Loop: Header=BB57_3 Depth=1
	s_load_dword s8, s[24:25], 0x0
	v_mov_b32_e32 v55, 0
	v_mov_b32_e32 v57, 0
	s_waitcnt lgkmcnt(0)
	s_cmp_lt_u32 s6, s8
	s_cselect_b32 s8, 12, 18
	s_add_u32 s8, s24, s8
	s_addc_u32 s9, s25, 0
	global_load_ushort v3, v2, s[8:9]
	s_waitcnt vmcnt(0)
	v_mad_u32_u24 v3, v1, v3, v61
	v_and_b32_e32 v3, 63, v3
	v_cmp_gt_u32_e32 vcc, 8, v3
	s_and_saveexec_b64 s[8:9], vcc
	s_cbranch_execz .LBB57_30
; %bb.27:                               ;   in Loop: Header=BB57_3 Depth=1
	v_add_co_u32_e32 v3, vcc, v54, v3
	v_addc_co_u32_e32 v4, vcc, 0, v56, vcc
	v_add_co_u32_e32 v3, vcc, 0xffffff81, v3
	v_addc_co_u32_e32 v4, vcc, -1, v4, vcc
	v_cmp_gt_i64_e32 vcc, s[12:13], v[3:4]
	v_mov_b32_e32 v57, 0
	v_mov_b32_e32 v55, 0
	s_and_saveexec_b64 s[34:35], vcc
	s_cbranch_execz .LBB57_29
; %bb.28:                               ;   in Loop: Header=BB57_3 Depth=1
	v_lshlrev_b64 v[3:4], 2, v[3:4]
	v_mov_b32_e32 v6, s23
	v_add_co_u32_e32 v5, vcc, s22, v3
	v_addc_co_u32_e32 v6, vcc, v6, v4, vcc
	v_mov_b32_e32 v7, s21
	v_add_co_u32_e32 v3, vcc, s20, v3
	v_addc_co_u32_e32 v4, vcc, v7, v4, vcc
	global_load_dword v57, v[3:4], off
	global_load_dword v55, v[5:6], off
.LBB57_29:                              ;   in Loop: Header=BB57_3 Depth=1
	s_or_b64 exec, exec, s[34:35]
.LBB57_30:                              ;   in Loop: Header=BB57_3 Depth=1
	s_or_b64 exec, exec, s[8:9]
	v_mov_b32_e32 v9, v2
	v_mov_b32_e32 v3, v2
	;; [unrolled: 1-line block ×23, first 2 shown]
	s_and_saveexec_b64 s[8:9], s[2:3]
	s_cbranch_execnz .LBB57_42
; %bb.31:                               ;   in Loop: Header=BB57_3 Depth=1
	s_or_b64 exec, exec, s[8:9]
	s_and_saveexec_b64 s[8:9], s[2:3]
	s_cbranch_execnz .LBB57_43
.LBB57_32:                              ;   in Loop: Header=BB57_3 Depth=1
	s_or_b64 exec, exec, s[8:9]
	s_and_saveexec_b64 s[8:9], s[2:3]
	s_cbranch_execnz .LBB57_44
.LBB57_33:                              ;   in Loop: Header=BB57_3 Depth=1
	s_or_b64 exec, exec, s[8:9]
	s_and_saveexec_b64 s[8:9], s[2:3]
	s_cbranch_execnz .LBB57_45
.LBB57_34:                              ;   in Loop: Header=BB57_3 Depth=1
	s_or_b64 exec, exec, s[8:9]
	s_and_saveexec_b64 s[8:9], s[2:3]
	s_cbranch_execnz .LBB57_46
.LBB57_35:                              ;   in Loop: Header=BB57_3 Depth=1
	s_or_b64 exec, exec, s[8:9]
	s_and_saveexec_b64 s[8:9], s[2:3]
	s_cbranch_execnz .LBB57_47
.LBB57_36:                              ;   in Loop: Header=BB57_3 Depth=1
	s_or_b64 exec, exec, s[8:9]
	s_and_saveexec_b64 s[8:9], s[2:3]
	s_cbranch_execnz .LBB57_48
.LBB57_37:                              ;   in Loop: Header=BB57_3 Depth=1
	s_or_b64 exec, exec, s[8:9]
	s_and_saveexec_b64 s[8:9], s[2:3]
	s_cbranch_execz .LBB57_39
.LBB57_38:                              ;   in Loop: Header=BB57_3 Depth=1
	v_add_co_u32_e32 v58, vcc, v24, v20
	v_addc_co_u32_e32 v59, vcc, v25, v21, vcc
	global_load_dword v10, v[58:59], off
	v_add_co_u32_e32 v58, vcc, v26, v20
	v_addc_co_u32_e32 v59, vcc, v27, v21, vcc
	global_load_dword v18, v[58:59], off
.LBB57_39:                              ;   in Loop: Header=BB57_3 Depth=1
	s_or_b64 exec, exec, s[8:9]
	buffer_load_dword v58, off, s[36:39], 0 ; 4-byte Folded Reload
	buffer_load_dword v59, off, s[36:39], 0 offset:4 ; 4-byte Folded Reload
	s_waitcnt vmcnt(3)
	ds_bpermute_b32 v54, v52, v57
	s_waitcnt vmcnt(2)
	ds_bpermute_b32 v56, v52, v55
	ds_bpermute_b32 v60, v52, v55 offset:4
	s_waitcnt lgkmcnt(2)
	v_sub_f32_e32 v11, v11, v54
	s_waitcnt vmcnt(0)
	v_add_f32_e32 v58, v59, v3
	ds_bpermute_b32 v59, v52, v57 offset:4
	v_mul_f32_e32 v3, v3, v11
	s_waitcnt lgkmcnt(2)
	v_fmac_f32_e32 v53, v3, v56
	ds_bpermute_b32 v11, v52, v57 offset:8
	s_waitcnt lgkmcnt(1)
	v_sub_f32_e32 v3, v12, v59
	v_mul_f32_e32 v3, v4, v3
	v_fmac_f32_e32 v53, v3, v60
	ds_bpermute_b32 v3, v52, v55 offset:8
	s_waitcnt lgkmcnt(1)
	v_sub_f32_e32 v11, v13, v11
	ds_bpermute_b32 v12, v52, v57 offset:12
	v_mul_f32_e32 v11, v5, v11
	v_add_f32_e32 v4, v4, v58
	s_waitcnt lgkmcnt(1)
	v_fmac_f32_e32 v53, v11, v3
	ds_bpermute_b32 v3, v52, v55 offset:12
	v_add_f32_e32 v4, v5, v4
	s_waitcnt lgkmcnt(1)
	v_sub_f32_e32 v5, v14, v12
	ds_bpermute_b32 v11, v52, v57 offset:16
	v_mul_f32_e32 v5, v6, v5
	s_waitcnt lgkmcnt(1)
	v_fmac_f32_e32 v53, v5, v3
	ds_bpermute_b32 v3, v52, v55 offset:16
	v_add_f32_e32 v4, v6, v4
	s_waitcnt lgkmcnt(1)
	v_sub_f32_e32 v5, v15, v11
	ds_bpermute_b32 v6, v52, v57 offset:20
	v_mul_f32_e32 v5, v7, v5
	;; [unrolled: 8-line block ×3, first 2 shown]
	s_waitcnt lgkmcnt(1)
	v_fmac_f32_e32 v53, v5, v3
	ds_bpermute_b32 v5, v52, v55 offset:24
	v_add_f32_e32 v3, v8, v4
	ds_bpermute_b32 v59, v52, v55 offset:28
	ds_bpermute_b32 v4, v52, v57 offset:28
	s_waitcnt lgkmcnt(3)
	v_sub_f32_e32 v6, v17, v6
	v_mul_f32_e32 v6, v9, v6
	s_waitcnt lgkmcnt(2)
	v_fmac_f32_e32 v53, v6, v5
	v_add_f32_e32 v3, v9, v3
	v_mov_b32_e32 v55, v53
.LBB57_40:                              ;   in Loop: Header=BB57_3 Depth=1
	v_add_f32_e32 v3, v3, v10
	buffer_store_dword v2, off, s[36:39], 0 ; 4-byte Folded Spill
	s_nop 0
	buffer_store_dword v3, off, s[36:39], 0 offset:4 ; 4-byte Folded Spill
	v_mov_b32_e32 v3, s27
	v_add_co_u32_e32 v62, vcc, s26, v62
	v_addc_co_u32_e32 v19, vcc, v19, v3, vcc
	v_add_co_u32_e32 v22, vcc, s26, v22
	v_addc_co_u32_e32 v23, vcc, v23, v3, vcc
	;; [unrolled: 2-line block ×14, first 2 shown]
	v_add_co_u32_e32 v48, vcc, s26, v48
	s_waitcnt lgkmcnt(0)
	v_sub_f32_e32 v4, v18, v4
	v_addc_co_u32_e32 v49, vcc, v49, v3, vcc
	v_mul_f32_e32 v4, v10, v4
	v_add_co_u32_e32 v50, vcc, s26, v50
	v_fmac_f32_e32 v55, v4, v59
	s_add_u32 s30, s30, s7
	v_addc_co_u32_e32 v51, vcc, v51, v3, vcc
	v_mov_b32_e32 v3, s12
	s_addc_u32 s31, s31, 0
	v_mov_b32_e32 v4, s13
	v_cmp_lt_i64_e32 vcc, s[30:31], v[3:4]
	s_add_u32 s28, s28, s7
	s_addc_u32 s29, s29, 0
	s_cbranch_vccz .LBB57_50
; %bb.41:                               ;   in Loop: Header=BB57_3 Depth=1
	v_mov_b32_e32 v53, v55
	s_branch .LBB57_3
.LBB57_42:                              ;   in Loop: Header=BB57_3 Depth=1
	v_add_co_u32_e32 v3, vcc, v62, v20
	v_addc_co_u32_e32 v4, vcc, v19, v21, vcc
	global_load_dword v3, v[3:4], off
	v_add_co_u32_e32 v4, vcc, v22, v20
	v_addc_co_u32_e32 v5, vcc, v23, v21, vcc
	global_load_dword v11, v[4:5], off
	v_mov_b32_e32 v4, v2
	v_mov_b32_e32 v5, v2
	v_mov_b32_e32 v6, v2
	v_mov_b32_e32 v7, v2
	v_mov_b32_e32 v8, v2
	v_mov_b32_e32 v9, v2
	v_mov_b32_e32 v10, v2
	v_mov_b32_e32 v12, v2
	v_mov_b32_e32 v13, v2
	v_mov_b32_e32 v14, v2
	v_mov_b32_e32 v15, v2
	v_mov_b32_e32 v16, v2
	v_mov_b32_e32 v17, v2
	v_mov_b32_e32 v18, v2
	s_or_b64 exec, exec, s[8:9]
	s_and_saveexec_b64 s[8:9], s[2:3]
	s_cbranch_execz .LBB57_32
.LBB57_43:                              ;   in Loop: Header=BB57_3 Depth=1
	v_add_co_u32_e32 v58, vcc, v48, v20
	v_addc_co_u32_e32 v59, vcc, v49, v21, vcc
	global_load_dword v4, v[58:59], off
	v_add_co_u32_e32 v58, vcc, v50, v20
	v_addc_co_u32_e32 v59, vcc, v51, v21, vcc
	global_load_dword v12, v[58:59], off
	s_or_b64 exec, exec, s[8:9]
	s_and_saveexec_b64 s[8:9], s[2:3]
	s_cbranch_execz .LBB57_33
.LBB57_44:                              ;   in Loop: Header=BB57_3 Depth=1
	v_add_co_u32_e32 v58, vcc, v44, v20
	v_addc_co_u32_e32 v59, vcc, v45, v21, vcc
	global_load_dword v5, v[58:59], off
	v_add_co_u32_e32 v58, vcc, v46, v20
	v_addc_co_u32_e32 v59, vcc, v47, v21, vcc
	global_load_dword v13, v[58:59], off
	s_or_b64 exec, exec, s[8:9]
	s_and_saveexec_b64 s[8:9], s[2:3]
	s_cbranch_execz .LBB57_34
.LBB57_45:                              ;   in Loop: Header=BB57_3 Depth=1
	v_add_co_u32_e32 v58, vcc, v40, v20
	v_addc_co_u32_e32 v59, vcc, v41, v21, vcc
	global_load_dword v6, v[58:59], off
	v_add_co_u32_e32 v58, vcc, v42, v20
	v_addc_co_u32_e32 v59, vcc, v43, v21, vcc
	global_load_dword v14, v[58:59], off
	s_or_b64 exec, exec, s[8:9]
	s_and_saveexec_b64 s[8:9], s[2:3]
	s_cbranch_execz .LBB57_35
.LBB57_46:                              ;   in Loop: Header=BB57_3 Depth=1
	v_add_co_u32_e32 v58, vcc, v36, v20
	v_addc_co_u32_e32 v59, vcc, v37, v21, vcc
	global_load_dword v7, v[58:59], off
	v_add_co_u32_e32 v58, vcc, v38, v20
	v_addc_co_u32_e32 v59, vcc, v39, v21, vcc
	global_load_dword v15, v[58:59], off
	s_or_b64 exec, exec, s[8:9]
	s_and_saveexec_b64 s[8:9], s[2:3]
	s_cbranch_execz .LBB57_36
.LBB57_47:                              ;   in Loop: Header=BB57_3 Depth=1
	v_add_co_u32_e32 v58, vcc, v32, v20
	v_addc_co_u32_e32 v59, vcc, v33, v21, vcc
	global_load_dword v8, v[58:59], off
	v_add_co_u32_e32 v58, vcc, v34, v20
	v_addc_co_u32_e32 v59, vcc, v35, v21, vcc
	global_load_dword v16, v[58:59], off
	s_or_b64 exec, exec, s[8:9]
	s_and_saveexec_b64 s[8:9], s[2:3]
	s_cbranch_execz .LBB57_37
.LBB57_48:                              ;   in Loop: Header=BB57_3 Depth=1
	v_add_co_u32_e32 v58, vcc, v28, v20
	v_addc_co_u32_e32 v59, vcc, v29, v21, vcc
	global_load_dword v9, v[58:59], off
	v_add_co_u32_e32 v58, vcc, v30, v20
	v_addc_co_u32_e32 v59, vcc, v31, v21, vcc
	global_load_dword v17, v[58:59], off
	s_or_b64 exec, exec, s[8:9]
	s_and_saveexec_b64 s[8:9], s[2:3]
	s_cbranch_execnz .LBB57_38
	s_branch .LBB57_39
.LBB57_49:
                                        ; implicit-def: $vgpr2
	buffer_store_dword v1, off, s[36:39], 0 ; 4-byte Folded Spill
	s_nop 0
	buffer_store_dword v2, off, s[36:39], 0 offset:4 ; 4-byte Folded Spill
                                        ; implicit-def: $vgpr55
	s_branch .LBB57_51
.LBB57_50:
	s_cbranch_execnz .LBB57_83
.LBB57_51:
	v_mov_b32_e32 v2, 0
	s_and_b64 vcc, exec, s[0:1]
	v_mov_b32_e32 v55, 0
	buffer_store_dword v1, off, s[36:39], 0 ; 4-byte Folded Spill
	s_nop 0
	buffer_store_dword v2, off, s[36:39], 0 offset:4 ; 4-byte Folded Spill
	s_cbranch_vccnz .LBB57_83
; %bb.52:
	v_lshlrev_b32_e32 v0, 3, v1
	buffer_store_dword v0, off, s[36:39], 0 offset:108 ; 4-byte Folded Spill
	v_add_co_u32_e32 v0, vcc, s10, v0
	v_addc_co_u32_e64 v17, s[0:1], 0, 0, vcc
	v_mul_lo_u32 v2, s15, v0
	v_mul_lo_u32 v3, s14, v17
	v_mad_u64_u32 v[4:5], s[0:1], s14, v0, 0
	s_load_dword s7, s[4:5], 0x44
	s_add_u32 s2, s4, 64
	v_add3_u32 v5, v5, v3, v2
	v_lshlrev_b64 v[2:3], 2, v[4:5]
	s_addc_u32 s3, s5, 0
	s_waitcnt lgkmcnt(0)
	s_lshl_b32 s7, s7, 7
	v_mov_b32_e32 v6, s17
	v_add_co_u32_e32 v7, vcc, s16, v2
	s_mul_i32 s0, s15, s7
	s_mul_hi_u32 s1, s14, s7
	v_addc_co_u32_e32 v6, vcc, v6, v3, vcc
	s_add_i32 s1, s1, s0
	s_mul_i32 s0, s14, s7
	buffer_store_dword v6, off, s[36:39], 0 offset:12 ; 4-byte Folded Spill
	s_lshl_b64 s[8:9], s[0:1], 2
	v_mov_b32_e32 v6, s19
	v_add_co_u32_e32 v2, vcc, s18, v2
	buffer_store_dword v2, off, s[36:39], 0 offset:16 ; 4-byte Folded Spill
	v_addc_co_u32_e32 v2, vcc, v6, v3, vcc
	s_add_u32 s24, s10, 0x7f
	buffer_store_dword v2, off, s[36:39], 0 offset:20 ; 4-byte Folded Spill
	s_addc_u32 s25, 0, 0
	v_lshlrev_b32_e32 v2, 5, v1
	s_lshl_b64 s[0:1], s[10:11], 2
	v_mov_b32_e32 v3, s1
	v_add_co_u32_e32 v6, vcc, s0, v2
	buffer_store_dword v7, off, s[36:39], 0 offset:8 ; 4-byte Folded Spill
	v_addc_co_u32_e32 v7, vcc, 0, v3, vcc
	v_add_co_u32_e32 v8, vcc, 4, v6
	v_addc_co_u32_e32 v9, vcc, 0, v7, vcc
	v_mov_b32_e32 v2, s16
	v_mul_lo_u32 v12, s14, v9
	v_mov_b32_e32 v9, s18
	v_mov_b32_e32 v3, s17
	;; [unrolled: 1-line block ×3, first 2 shown]
	v_mad_u64_u32 v[20:21], s[0:1], s14, v8, v[2:3]
	v_mul_lo_u32 v13, s15, v8
	v_mad_u64_u32 v[22:23], s[0:1], s14, v8, v[9:10]
	v_add_co_u32_e32 v8, vcc, 8, v6
	v_addc_co_u32_e32 v14, vcc, 0, v7, vcc
	v_mov_b32_e32 v11, s15
	v_add_co_u32_e32 v4, vcc, s14, v4
	v_addc_co_u32_e32 v5, vcc, v5, v11, vcc
	v_mul_lo_u32 v15, s15, v8
	v_mad_u64_u32 v[24:25], s[0:1], s14, v8, v[2:3]
	v_mad_u64_u32 v[26:27], s[0:1], s14, v8, v[9:10]
	v_add_co_u32_e32 v8, vcc, 12, v6
	v_addc_co_u32_e32 v11, vcc, 0, v7, vcc
	v_add3_u32 v21, v13, v21, v12
	v_add3_u32 v23, v13, v23, v12
	v_mul_lo_u32 v11, s14, v11
	v_mul_lo_u32 v12, s15, v8
	v_mad_u64_u32 v[28:29], s[0:1], s14, v8, v[2:3]
	v_mad_u64_u32 v[30:31], s[0:1], s14, v8, v[9:10]
	v_add_co_u32_e32 v8, vcc, 16, v6
	v_mul_lo_u32 v14, s14, v14
	v_addc_co_u32_e32 v13, vcc, 0, v7, vcc
	v_mul_lo_u32 v16, s15, v8
	v_mad_u64_u32 v[32:33], s[0:1], s14, v8, v[2:3]
	v_mad_u64_u32 v[34:35], s[0:1], s14, v8, v[9:10]
	v_add_co_u32_e32 v8, vcc, 20, v6
	v_add3_u32 v29, v12, v29, v11
	v_add3_u32 v31, v12, v31, v11
	v_addc_co_u32_e32 v11, vcc, 0, v7, vcc
	v_mul_lo_u32 v12, s15, v8
	v_mad_u64_u32 v[36:37], s[0:1], s14, v8, v[2:3]
	v_mad_u64_u32 v[38:39], s[0:1], s14, v8, v[9:10]
	v_add_co_u32_e32 v8, vcc, 24, v6
	v_add3_u32 v25, v15, v25, v14
	v_add3_u32 v27, v15, v27, v14
	v_addc_co_u32_e32 v14, vcc, 0, v7, vcc
	v_add_co_u32_e32 v6, vcc, 28, v6
	v_addc_co_u32_e32 v7, vcc, 0, v7, vcc
	v_mad_u64_u32 v[40:41], s[0:1], s14, v8, v[2:3]
	v_mad_u64_u32 v[44:45], s[0:1], s14, v6, v[2:3]
	v_add_co_u32_e32 v2, vcc, 7, v0
	v_addc_co_u32_e32 v3, vcc, 0, v17, vcc
	v_mul_lo_u32 v15, s15, v8
	v_mad_u64_u32 v[42:43], s[0:1], s14, v8, v[9:10]
	v_mad_u64_u32 v[46:47], s[0:1], s14, v6, v[9:10]
	v_mul_lo_u32 v8, s14, v3
	v_mul_lo_u32 v9, s15, v2
	v_mad_u64_u32 v[2:3], s[0:1], s14, v2, 0
	v_mul_lo_u32 v7, s14, v7
	v_mul_lo_u32 v6, s15, v6
	v_add3_u32 v3, v3, v8, v9
	v_lshlrev_b64 v[2:3], 2, v[2:3]
	buffer_store_dword v1, off, s[36:39], 0 offset:104 ; 4-byte Folded Spill
	v_add3_u32 v45, v6, v45, v7
	v_add3_u32 v47, v6, v47, v7
	v_mov_b32_e32 v6, s17
	v_add_co_u32_e32 v1, vcc, s16, v2
	buffer_store_dword v1, off, s[36:39], 0 offset:24 ; 4-byte Folded Spill
	v_addc_co_u32_e32 v1, vcc, v6, v3, vcc
	v_add_co_u32_e32 v6, vcc, 6, v0
	v_addc_co_u32_e32 v7, vcc, 0, v17, vcc
	v_mul_lo_u32 v9, s14, v7
	v_mul_lo_u32 v10, s15, v6
	v_mad_u64_u32 v[6:7], s[0:1], s14, v6, 0
	buffer_store_dword v1, off, s[36:39], 0 offset:28 ; 4-byte Folded Spill
	v_mov_b32_e32 v8, s19
	v_add_co_u32_e32 v1, vcc, s18, v2
	v_add3_u32 v7, v7, v9, v10
	buffer_store_dword v1, off, s[36:39], 0 offset:32 ; 4-byte Folded Spill
	v_addc_co_u32_e32 v1, vcc, v8, v3, vcc
	v_lshlrev_b64 v[2:3], 2, v[6:7]
	buffer_store_dword v1, off, s[36:39], 0 offset:36 ; 4-byte Folded Spill
	v_mov_b32_e32 v6, s17
	v_add_co_u32_e32 v1, vcc, s16, v2
	buffer_store_dword v1, off, s[36:39], 0 offset:40 ; 4-byte Folded Spill
	v_addc_co_u32_e32 v1, vcc, v6, v3, vcc
	v_add_co_u32_e32 v6, vcc, 5, v0
	v_addc_co_u32_e32 v7, vcc, 0, v17, vcc
	v_mul_lo_u32 v9, s14, v7
	v_mul_lo_u32 v10, s15, v6
	v_mad_u64_u32 v[6:7], s[0:1], s14, v6, 0
	buffer_store_dword v1, off, s[36:39], 0 offset:44 ; 4-byte Folded Spill
	v_add_co_u32_e32 v1, vcc, s18, v2
	v_add3_u32 v7, v7, v9, v10
	buffer_store_dword v1, off, s[36:39], 0 offset:48 ; 4-byte Folded Spill
	v_addc_co_u32_e32 v1, vcc, v8, v3, vcc
	v_lshlrev_b64 v[2:3], 2, v[6:7]
	buffer_store_dword v1, off, s[36:39], 0 offset:52 ; 4-byte Folded Spill
	v_mov_b32_e32 v6, s17
	v_add_co_u32_e32 v1, vcc, s16, v2
	buffer_store_dword v1, off, s[36:39], 0 offset:56 ; 4-byte Folded Spill
	v_addc_co_u32_e32 v1, vcc, v6, v3, vcc
	v_add_co_u32_e32 v6, vcc, 4, v0
	v_addc_co_u32_e32 v7, vcc, 0, v17, vcc
	v_mul_lo_u32 v9, s14, v7
	v_mul_lo_u32 v10, s15, v6
	v_mad_u64_u32 v[6:7], s[0:1], s14, v6, 0
	buffer_store_dword v1, off, s[36:39], 0 offset:60 ; 4-byte Folded Spill
	v_add_co_u32_e32 v1, vcc, s18, v2
	v_add3_u32 v7, v7, v9, v10
	buffer_store_dword v1, off, s[36:39], 0 offset:64 ; 4-byte Folded Spill
	v_addc_co_u32_e32 v1, vcc, v8, v3, vcc
	v_lshlrev_b64 v[2:3], 2, v[6:7]
	buffer_store_dword v1, off, s[36:39], 0 offset:68 ; 4-byte Folded Spill
	v_mov_b32_e32 v6, s17
	v_add_co_u32_e32 v1, vcc, s16, v2
	buffer_store_dword v1, off, s[36:39], 0 offset:72 ; 4-byte Folded Spill
	v_addc_co_u32_e32 v1, vcc, v6, v3, vcc
	buffer_store_dword v1, off, s[36:39], 0 offset:76 ; 4-byte Folded Spill
	v_mov_b32_e32 v6, s19
	v_add_co_u32_e32 v1, vcc, s18, v2
	buffer_store_dword v1, off, s[36:39], 0 offset:80 ; 4-byte Folded Spill
	v_addc_co_u32_e32 v1, vcc, v6, v3, vcc
	v_add_co_u32_e32 v2, vcc, 3, v0
	v_addc_co_u32_e32 v3, vcc, 0, v17, vcc
	v_mul_lo_u32 v6, s14, v3
	v_mul_lo_u32 v7, s15, v2
	v_mad_u64_u32 v[2:3], s[0:1], s14, v2, 0
	buffer_store_dword v1, off, s[36:39], 0 offset:84 ; 4-byte Folded Spill
	v_mul_lo_u32 v13, s14, v13
	v_add3_u32 v3, v3, v6, v7
	v_lshlrev_b64 v[2:3], 2, v[2:3]
	v_mov_b32_e32 v6, s17
	v_add_co_u32_e32 v1, vcc, s16, v2
	buffer_store_dword v1, off, s[36:39], 0 offset:88 ; 4-byte Folded Spill
	v_addc_co_u32_e32 v1, vcc, v6, v3, vcc
	buffer_store_dword v1, off, s[36:39], 0 offset:92 ; 4-byte Folded Spill
	v_mov_b32_e32 v6, s19
	v_add_co_u32_e32 v1, vcc, s18, v2
	v_addc_co_u32_e32 v59, vcc, v6, v3, vcc
	v_add_co_u32_e32 v0, vcc, 2, v0
	buffer_store_dword v1, off, s[36:39], 0 offset:96 ; 4-byte Folded Spill
	v_addc_co_u32_e32 v1, vcc, 0, v17, vcc
	v_mul_lo_u32 v2, s14, v1
	v_mul_lo_u32 v3, s15, v0
	v_mad_u64_u32 v[0:1], s[0:1], s14, v0, 0
	v_mul_lo_u32 v11, s14, v11
	v_mul_lo_u32 v14, s14, v14
	v_add3_u32 v1, v1, v2, v3
	v_lshlrev_b64 v[0:1], 2, v[0:1]
	v_mov_b32_e32 v2, s17
	v_add_co_u32_e32 v60, vcc, s16, v0
	v_mov_b32_e32 v3, v61
	v_addc_co_u32_e32 v61, vcc, v2, v1, vcc
	v_mov_b32_e32 v2, s19
	v_add_co_u32_e32 v62, vcc, s18, v0
	v_addc_co_u32_e32 v63, vcc, v2, v1, vcc
	v_lshlrev_b64 v[1:2], 2, v[4:5]
	v_mov_b32_e32 v0, s17
	v_add_co_u32_e32 v50, vcc, s16, v1
	v_addc_co_u32_e32 v51, vcc, v0, v2, vcc
	v_mov_b32_e32 v0, s19
	v_add_co_u32_e32 v1, vcc, s18, v1
	v_addc_co_u32_e32 v0, vcc, v0, v2, vcc
	v_mov_b32_e32 v2, 0
	buffer_store_dword v3, off, s[36:39], 0 offset:100 ; 4-byte Folded Spill
	v_add_u32_e32 v3, s33, v3
	v_mov_b32_e32 v4, v2
	v_lshlrev_b64 v[48:49], 2, v[3:4]
	v_mbcnt_lo_u32_b32 v3, -1, 0
	v_mbcnt_hi_u32_b32 v3, -1, v3
	v_lshlrev_b32_e32 v3, 2, v3
	v_add3_u32 v33, v16, v33, v13
	v_add3_u32 v35, v16, v35, v13
	;; [unrolled: 1-line block ×6, first 2 shown]
	v_and_b32_e32 v52, 0x100, v3
	v_mov_b32_e32 v55, 0
	v_mov_b32_e32 v3, 0
	buffer_store_dword v2, off, s[36:39], 0 ; 4-byte Folded Spill
	s_nop 0
	buffer_store_dword v3, off, s[36:39], 0 offset:4 ; 4-byte Folded Spill
	s_branch .LBB57_56
.LBB57_53:                              ;   in Loop: Header=BB57_56 Depth=1
	s_or_b64 exec, exec, s[16:17]
.LBB57_54:                              ;   in Loop: Header=BB57_56 Depth=1
	s_or_b64 exec, exec, s[0:1]
	buffer_load_dword v3, off, s[36:39], 0 offset:8 ; 4-byte Folded Reload
	buffer_load_dword v4, off, s[36:39], 0 offset:12 ; 4-byte Folded Reload
	;; [unrolled: 1-line block ×4, first 2 shown]
	s_waitcnt vmcnt(3)
	v_add_co_u32_e32 v3, vcc, v3, v48
	s_waitcnt vmcnt(2)
	v_addc_co_u32_e32 v4, vcc, v4, v49, vcc
	s_waitcnt vmcnt(1)
	v_add_co_u32_e32 v7, vcc, v7, v48
	s_waitcnt vmcnt(0)
	v_addc_co_u32_e32 v8, vcc, v8, v49, vcc
	global_load_dword v19, v[7:8], off
	global_load_dword v53, v[3:4], off
	v_add_co_u32_e32 v3, vcc, v20, v48
	v_addc_co_u32_e32 v4, vcc, v21, v49, vcc
	global_load_dword v8, v[3:4], off
	v_add_co_u32_e32 v3, vcc, v22, v48
	v_addc_co_u32_e32 v4, vcc, v23, v49, vcc
	;; [unrolled: 3-line block ×5, first 2 shown]
	v_add_co_u32_e32 v10, vcc, v30, v48
	v_addc_co_u32_e32 v11, vcc, v31, v49, vcc
	global_load_dword v10, v[10:11], off
	v_add_co_u32_e32 v11, vcc, v32, v48
	v_addc_co_u32_e32 v12, vcc, v33, v49, vcc
	global_load_dword v4, v[3:4], off
	s_nop 0
	global_load_dword v3, v[11:12], off
	v_add_co_u32_e32 v11, vcc, v34, v48
	v_addc_co_u32_e32 v12, vcc, v35, v49, vcc
	v_add_co_u32_e32 v13, vcc, v38, v48
	v_addc_co_u32_e32 v14, vcc, v39, v49, vcc
	;; [unrolled: 2-line block ×3, first 2 shown]
	global_load_dword v12, v[11:12], off
	ds_bpermute_b32 v11, v52, v6
	global_load_dword v14, v[13:14], off
	ds_bpermute_b32 v13, v52, v5
	global_load_dword v7, v[17:18], off
	s_nop 0
	buffer_load_dword v17, off, s[36:39], 0 ; 4-byte Folded Reload
	buffer_load_dword v18, off, s[36:39], 0 offset:4 ; 4-byte Folded Reload
	s_waitcnt vmcnt(1)
	v_add_co_u32_e32 v17, vcc, v40, v48
	s_waitcnt lgkmcnt(1)
	v_sub_f32_e32 v11, v19, v11
	v_mul_f32_e32 v11, v53, v11
	s_waitcnt lgkmcnt(0)
	v_fmac_f32_e32 v55, v11, v13
	s_waitcnt vmcnt(0)
	v_add_f32_e32 v19, v18, v53
	v_addc_co_u32_e32 v18, vcc, v41, v49, vcc
	global_load_dword v11, v[17:18], off
	ds_bpermute_b32 v17, v52, v6 offset:4
	ds_bpermute_b32 v18, v52, v6 offset:8
	v_add_co_u32_e64 v53, s[0:1], v42, v48
	v_addc_co_u32_e64 v54, vcc, v43, v49, s[0:1]
	s_waitcnt lgkmcnt(1)
	v_sub_f32_e32 v16, v16, v17
	ds_bpermute_b32 v17, v52, v5 offset:4
	s_waitcnt lgkmcnt(1)
	v_sub_f32_e32 v15, v15, v18
	ds_bpermute_b32 v18, v52, v5 offset:8
	v_mul_f32_e32 v16, v8, v16
	v_mul_f32_e32 v15, v9, v15
	s_waitcnt lgkmcnt(1)
	v_fmac_f32_e32 v55, v16, v17
	v_add_co_u32_e64 v17, s[0:1], v46, v48
	s_waitcnt lgkmcnt(0)
	v_fmac_f32_e32 v55, v15, v18
	v_addc_co_u32_e64 v18, s[0:1], v47, v49, s[0:1]
	global_load_dword v15, v[17:18], off
	ds_bpermute_b32 v18, v52, v6 offset:12
	v_add_f32_e32 v8, v19, v8
	ds_bpermute_b32 v19, v52, v5 offset:12
	v_add_f32_e32 v8, v8, v9
	global_load_dword v13, v[53:54], off
	s_waitcnt lgkmcnt(1)
	v_sub_f32_e32 v9, v10, v18
	ds_bpermute_b32 v10, v52, v6 offset:16
	v_mul_f32_e32 v9, v4, v9
	s_waitcnt lgkmcnt(1)
	v_fmac_f32_e32 v55, v9, v19
	ds_bpermute_b32 v9, v52, v5 offset:16
	v_add_co_u32_e32 v16, vcc, v44, v48
	s_waitcnt lgkmcnt(1)
	v_sub_f32_e32 v10, v12, v10
	v_addc_co_u32_e32 v17, vcc, v45, v49, vcc
	v_mul_f32_e32 v10, v3, v10
	s_waitcnt lgkmcnt(0)
	v_fmac_f32_e32 v55, v10, v9
	global_load_dword v10, v[16:17], off
	ds_bpermute_b32 v18, v52, v6 offset:20
	v_add_f32_e32 v4, v8, v4
	ds_bpermute_b32 v8, v52, v6 offset:24
	ds_bpermute_b32 v12, v52, v5 offset:20
	v_add_f32_e32 v3, v4, v3
	ds_bpermute_b32 v4, v52, v5 offset:24
	ds_bpermute_b32 v6, v52, v6 offset:28
	s_waitcnt lgkmcnt(4)
	v_sub_f32_e32 v9, v14, v18
	ds_bpermute_b32 v5, v52, v5 offset:28
	v_mul_f32_e32 v9, v7, v9
	v_add_f32_e32 v3, v3, v7
	s_waitcnt lgkmcnt(3)
	v_fmac_f32_e32 v55, v9, v12
	s_waitcnt vmcnt(3)
	v_add_f32_e32 v3, v3, v11
	s_waitcnt vmcnt(1)
	v_sub_f32_e32 v7, v13, v8
	v_mul_f32_e32 v7, v11, v7
	s_waitcnt lgkmcnt(2)
	v_fmac_f32_e32 v55, v7, v4
	s_waitcnt lgkmcnt(1)
	v_sub_f32_e32 v4, v15, v6
	v_mov_b32_e32 v11, v55
	s_waitcnt vmcnt(0)
	v_mul_f32_e32 v4, v10, v4
	s_waitcnt lgkmcnt(0)
	v_mul_f32_e32 v4, v4, v5
.LBB57_55:                              ;   in Loop: Header=BB57_56 Depth=1
	v_add_f32_e32 v3, v3, v10
	buffer_store_dword v2, off, s[36:39], 0 ; 4-byte Folded Spill
	s_nop 0
	buffer_store_dword v3, off, s[36:39], 0 offset:4 ; 4-byte Folded Spill
	buffer_load_dword v3, off, s[36:39], 0 offset:8 ; 4-byte Folded Reload
	v_add_f32_e32 v55, v11, v4
	buffer_load_dword v4, off, s[36:39], 0 offset:12 ; 4-byte Folded Reload
	s_add_u32 s10, s10, s7
	s_addc_u32 s11, s11, 0
	s_add_u32 s24, s24, s7
	s_addc_u32 s25, s25, 0
	s_waitcnt vmcnt(1)
	v_add_co_u32_e32 v3, vcc, s8, v3
	buffer_store_dword v3, off, s[36:39], 0 offset:8 ; 4-byte Folded Spill
	v_mov_b32_e32 v3, s9
	s_waitcnt vmcnt(1)
	v_addc_co_u32_e32 v4, vcc, v4, v3, vcc
	buffer_store_dword v4, off, s[36:39], 0 offset:12 ; 4-byte Folded Spill
	buffer_load_dword v4, off, s[36:39], 0 offset:16 ; 4-byte Folded Reload
	s_waitcnt vmcnt(0)
	v_add_co_u32_e32 v4, vcc, s8, v4
	buffer_store_dword v4, off, s[36:39], 0 offset:16 ; 4-byte Folded Spill
	buffer_load_dword v4, off, s[36:39], 0 offset:20 ; 4-byte Folded Reload
	s_waitcnt vmcnt(0)
	v_addc_co_u32_e32 v4, vcc, v4, v3, vcc
	buffer_store_dword v4, off, s[36:39], 0 offset:20 ; 4-byte Folded Spill
	buffer_load_dword v4, off, s[36:39], 0 offset:24 ; 4-byte Folded Reload
	v_add_co_u32_e32 v20, vcc, s8, v20
	v_addc_co_u32_e32 v21, vcc, v21, v3, vcc
	v_add_co_u32_e32 v24, vcc, s8, v24
	v_addc_co_u32_e32 v25, vcc, v25, v3, vcc
	;; [unrolled: 2-line block ×14, first 2 shown]
	s_waitcnt vmcnt(0)
	v_add_co_u32_e32 v4, vcc, s8, v4
	buffer_store_dword v4, off, s[36:39], 0 offset:24 ; 4-byte Folded Spill
	buffer_load_dword v4, off, s[36:39], 0 offset:28 ; 4-byte Folded Reload
	s_waitcnt vmcnt(0)
	v_addc_co_u32_e32 v4, vcc, v4, v3, vcc
	buffer_store_dword v4, off, s[36:39], 0 offset:28 ; 4-byte Folded Spill
	buffer_load_dword v4, off, s[36:39], 0 offset:32 ; 4-byte Folded Reload
	s_waitcnt vmcnt(0)
	v_add_co_u32_e32 v4, vcc, s8, v4
	buffer_store_dword v4, off, s[36:39], 0 offset:32 ; 4-byte Folded Spill
	buffer_load_dword v4, off, s[36:39], 0 offset:36 ; 4-byte Folded Reload
	s_waitcnt vmcnt(0)
	v_addc_co_u32_e32 v4, vcc, v4, v3, vcc
	buffer_store_dword v4, off, s[36:39], 0 offset:36 ; 4-byte Folded Spill
	buffer_load_dword v4, off, s[36:39], 0 offset:40 ; 4-byte Folded Reload
	;; [unrolled: 8-line block ×9, first 2 shown]
	s_waitcnt vmcnt(0)
	v_add_co_u32_e32 v4, vcc, s8, v4
	v_addc_co_u32_e32 v59, vcc, v59, v3, vcc
	v_add_co_u32_e32 v60, vcc, s8, v60
	v_addc_co_u32_e32 v61, vcc, v61, v3, vcc
	;; [unrolled: 2-line block ×4, first 2 shown]
	v_add_co_u32_e32 v1, vcc, s8, v1
	buffer_store_dword v4, off, s[36:39], 0 offset:96 ; 4-byte Folded Spill
	v_addc_co_u32_e32 v0, vcc, v0, v3, vcc
	v_mov_b32_e32 v3, s12
	v_mov_b32_e32 v4, s13
	v_cmp_ge_i64_e32 vcc, s[10:11], v[3:4]
	s_cbranch_vccnz .LBB57_82
.LBB57_56:                              ; =>This Inner Loop Header: Depth=1
	v_mov_b32_e32 v3, s12
	v_mov_b32_e32 v4, s13
	v_cmp_ge_i64_e32 vcc, s[24:25], v[3:4]
	buffer_load_dword v4, off, s[36:39], 0 offset:108 ; 4-byte Folded Reload
	v_mov_b32_e32 v3, s25
	s_and_b64 vcc, exec, vcc
                                        ; implicit-def: $vgpr10
                                        ; implicit-def: $vgpr11
	s_waitcnt vmcnt(0)
	v_add_co_u32_e64 v53, s[0:1], s24, v4
	v_addc_co_u32_e64 v54, s[0:1], 0, v3, s[0:1]
	s_mov_b64 s[0:1], -1
                                        ; implicit-def: $vgpr4
                                        ; implicit-def: $vgpr3
	s_cbranch_vccz .LBB57_78
; %bb.57:                               ;   in Loop: Header=BB57_56 Depth=1
	s_load_dword s0, s[2:3], 0xc
	buffer_load_dword v3, off, s[36:39], 0 offset:100 ; 4-byte Folded Reload
	buffer_load_dword v4, off, s[36:39], 0 offset:104 ; 4-byte Folded Reload
	v_mov_b32_e32 v56, 0
	v_mov_b32_e32 v19, 0
	s_waitcnt lgkmcnt(0)
	s_and_b32 s0, s0, 0xffff
	s_waitcnt vmcnt(0)
	v_mad_u32_u24 v3, v4, s0, v3
	v_and_b32_e32 v3, 63, v3
	v_cmp_gt_u32_e32 vcc, 8, v3
	s_and_saveexec_b64 s[0:1], vcc
	s_cbranch_execz .LBB57_61
; %bb.58:                               ;   in Loop: Header=BB57_56 Depth=1
	v_add_co_u32_e32 v3, vcc, v53, v3
	v_addc_co_u32_e32 v4, vcc, 0, v54, vcc
	v_add_co_u32_e32 v3, vcc, 0xffffff81, v3
	v_addc_co_u32_e32 v4, vcc, -1, v4, vcc
	v_cmp_gt_i64_e32 vcc, s[12:13], v[3:4]
	v_mov_b32_e32 v19, 0
	v_mov_b32_e32 v56, 0
	s_and_saveexec_b64 s[16:17], vcc
	s_cbranch_execz .LBB57_60
; %bb.59:                               ;   in Loop: Header=BB57_56 Depth=1
	v_lshlrev_b64 v[3:4], 2, v[3:4]
	v_mov_b32_e32 v6, s23
	v_add_co_u32_e32 v5, vcc, s22, v3
	v_addc_co_u32_e32 v6, vcc, v6, v4, vcc
	v_mov_b32_e32 v7, s21
	v_add_co_u32_e32 v3, vcc, s20, v3
	v_addc_co_u32_e32 v4, vcc, v7, v4, vcc
	global_load_dword v19, v[3:4], off
	global_load_dword v56, v[5:6], off
.LBB57_60:                              ;   in Loop: Header=BB57_56 Depth=1
	s_or_b64 exec, exec, s[16:17]
.LBB57_61:                              ;   in Loop: Header=BB57_56 Depth=1
	s_or_b64 exec, exec, s[0:1]
	v_add_co_u32_e32 v3, vcc, 0xffffff81, v53
	v_addc_co_u32_e32 v4, vcc, -1, v54, vcc
	v_mov_b32_e32 v9, v2
	v_cmp_gt_i64_e32 vcc, s[12:13], v[3:4]
	v_mov_b32_e32 v3, v2
	v_mov_b32_e32 v4, v2
	;; [unrolled: 1-line block ×22, first 2 shown]
	s_and_saveexec_b64 s[0:1], vcc
	s_cbranch_execz .LBB57_63
; %bb.62:                               ;   in Loop: Header=BB57_56 Depth=1
	buffer_load_dword v3, off, s[36:39], 0 offset:8 ; 4-byte Folded Reload
	buffer_load_dword v4, off, s[36:39], 0 offset:12 ; 4-byte Folded Reload
	;; [unrolled: 1-line block ×3, first 2 shown]
	v_mov_b32_e32 v6, v2
	v_mov_b32_e32 v7, v2
	;; [unrolled: 1-line block ×12, first 2 shown]
	s_waitcnt vmcnt(2)
	v_add_co_u32_e32 v3, vcc, v3, v48
	s_waitcnt vmcnt(1)
	v_addc_co_u32_e32 v4, vcc, v4, v49, vcc
	global_load_dword v3, v[3:4], off
	s_nop 0
	buffer_load_dword v4, off, s[36:39], 0 offset:16 ; 4-byte Folded Reload
	s_waitcnt vmcnt(0)
	v_add_co_u32_e32 v4, vcc, v4, v48
	v_addc_co_u32_e32 v5, vcc, v5, v49, vcc
	global_load_dword v11, v[4:5], off
	v_mov_b32_e32 v4, v2
	v_mov_b32_e32 v5, v2
.LBB57_63:                              ;   in Loop: Header=BB57_56 Depth=1
	s_or_b64 exec, exec, s[0:1]
	v_add_co_u32_e32 v57, vcc, 0xffffff82, v53
	v_addc_co_u32_e32 v58, vcc, -1, v54, vcc
	v_cmp_gt_i64_e32 vcc, s[12:13], v[57:58]
	s_and_saveexec_b64 s[0:1], vcc
	s_cbranch_execz .LBB57_65
; %bb.64:                               ;   in Loop: Header=BB57_56 Depth=1
	v_add_co_u32_e32 v57, vcc, v50, v48
	v_addc_co_u32_e32 v58, vcc, v51, v49, vcc
	global_load_dword v4, v[57:58], off
	v_add_co_u32_e32 v57, vcc, v1, v48
	v_addc_co_u32_e32 v58, vcc, v0, v49, vcc
	global_load_dword v12, v[57:58], off
.LBB57_65:                              ;   in Loop: Header=BB57_56 Depth=1
	s_or_b64 exec, exec, s[0:1]
	v_add_co_u32_e32 v57, vcc, 0xffffff83, v53
	v_addc_co_u32_e32 v58, vcc, -1, v54, vcc
	v_cmp_gt_i64_e32 vcc, s[12:13], v[57:58]
	s_and_saveexec_b64 s[0:1], vcc
	s_cbranch_execz .LBB57_67
; %bb.66:                               ;   in Loop: Header=BB57_56 Depth=1
	v_add_co_u32_e32 v57, vcc, v60, v48
	v_addc_co_u32_e32 v58, vcc, v61, v49, vcc
	global_load_dword v5, v[57:58], off
	v_add_co_u32_e32 v57, vcc, v62, v48
	v_addc_co_u32_e32 v58, vcc, v63, v49, vcc
	global_load_dword v13, v[57:58], off
.LBB57_67:                              ;   in Loop: Header=BB57_56 Depth=1
	s_or_b64 exec, exec, s[0:1]
	v_add_co_u32_e32 v57, vcc, 0xffffff84, v53
	v_addc_co_u32_e32 v58, vcc, -1, v54, vcc
	v_cmp_gt_i64_e32 vcc, s[12:13], v[57:58]
	s_and_saveexec_b64 s[0:1], vcc
	s_cbranch_execz .LBB57_69
; %bb.68:                               ;   in Loop: Header=BB57_56 Depth=1
	buffer_load_dword v6, off, s[36:39], 0 offset:88 ; 4-byte Folded Reload
	buffer_load_dword v14, off, s[36:39], 0 offset:96 ; 4-byte Folded Reload
	s_waitcnt vmcnt(1)
	v_add_co_u32_e32 v57, vcc, v6, v48
	buffer_load_dword v6, off, s[36:39], 0 offset:92 ; 4-byte Folded Reload
	s_waitcnt vmcnt(0)
	v_addc_co_u32_e32 v58, vcc, v6, v49, vcc
	global_load_dword v6, v[57:58], off
	v_add_co_u32_e32 v57, vcc, v14, v48
	v_addc_co_u32_e32 v58, vcc, v59, v49, vcc
	global_load_dword v14, v[57:58], off
.LBB57_69:                              ;   in Loop: Header=BB57_56 Depth=1
	s_or_b64 exec, exec, s[0:1]
	v_add_co_u32_e32 v57, vcc, 0xffffff85, v53
	v_addc_co_u32_e32 v58, vcc, -1, v54, vcc
	v_cmp_gt_i64_e32 vcc, s[12:13], v[57:58]
	s_and_saveexec_b64 s[0:1], vcc
	s_cbranch_execz .LBB57_71
; %bb.70:                               ;   in Loop: Header=BB57_56 Depth=1
	buffer_load_dword v7, off, s[36:39], 0 offset:72 ; 4-byte Folded Reload
	buffer_load_dword v15, off, s[36:39], 0 offset:80 ; 4-byte Folded Reload
	s_waitcnt vmcnt(1)
	v_add_co_u32_e32 v57, vcc, v7, v48
	buffer_load_dword v7, off, s[36:39], 0 offset:76 ; 4-byte Folded Reload
	s_waitcnt vmcnt(0)
	v_addc_co_u32_e32 v58, vcc, v7, v49, vcc
	global_load_dword v7, v[57:58], off
	v_add_co_u32_e32 v57, vcc, v15, v48
	buffer_load_dword v15, off, s[36:39], 0 offset:84 ; 4-byte Folded Reload
	s_waitcnt vmcnt(0)
	v_addc_co_u32_e32 v58, vcc, v15, v49, vcc
	global_load_dword v15, v[57:58], off
.LBB57_71:                              ;   in Loop: Header=BB57_56 Depth=1
	s_or_b64 exec, exec, s[0:1]
	v_add_co_u32_e32 v57, vcc, 0xffffff86, v53
	v_addc_co_u32_e32 v58, vcc, -1, v54, vcc
	v_cmp_gt_i64_e32 vcc, s[12:13], v[57:58]
	s_and_saveexec_b64 s[0:1], vcc
	s_cbranch_execz .LBB57_73
; %bb.72:                               ;   in Loop: Header=BB57_56 Depth=1
	buffer_load_dword v8, off, s[36:39], 0 offset:56 ; 4-byte Folded Reload
	buffer_load_dword v16, off, s[36:39], 0 offset:64 ; 4-byte Folded Reload
	s_waitcnt vmcnt(1)
	v_add_co_u32_e32 v57, vcc, v8, v48
	buffer_load_dword v8, off, s[36:39], 0 offset:60 ; 4-byte Folded Reload
	s_waitcnt vmcnt(0)
	v_addc_co_u32_e32 v58, vcc, v8, v49, vcc
	global_load_dword v8, v[57:58], off
	v_add_co_u32_e32 v57, vcc, v16, v48
	buffer_load_dword v16, off, s[36:39], 0 offset:68 ; 4-byte Folded Reload
	s_waitcnt vmcnt(0)
	v_addc_co_u32_e32 v58, vcc, v16, v49, vcc
	global_load_dword v16, v[57:58], off
.LBB57_73:                              ;   in Loop: Header=BB57_56 Depth=1
	;; [unrolled: 21-line block ×4, first 2 shown]
	s_or_b64 exec, exec, s[0:1]
	s_waitcnt vmcnt(1)
	ds_bpermute_b32 v58, v52, v19
	s_waitcnt vmcnt(0)
	ds_bpermute_b32 v57, v52, v56
	s_mov_b64 s[0:1], 0
	s_waitcnt lgkmcnt(1)
	v_sub_f32_e32 v11, v11, v58
	v_mul_f32_e32 v11, v3, v11
	s_waitcnt lgkmcnt(0)
	v_fma_f32 v11, v11, v57, v55
	buffer_load_dword v57, off, s[36:39], 0 ; 4-byte Folded Reload
	buffer_load_dword v58, off, s[36:39], 0 offset:4 ; 4-byte Folded Reload
	s_waitcnt vmcnt(1)
	ds_bpermute_b32 v57, v52, v56 offset:4
	s_waitcnt vmcnt(0)
	v_add_f32_e32 v3, v58, v3
	ds_bpermute_b32 v58, v52, v19 offset:4
	v_add_f32_e32 v3, v4, v3
	v_add_f32_e32 v3, v5, v3
	;; [unrolled: 1-line block ×4, first 2 shown]
	s_waitcnt lgkmcnt(0)
	v_sub_f32_e32 v12, v12, v58
	v_mul_f32_e32 v12, v4, v12
	v_fmac_f32_e32 v11, v12, v57
	ds_bpermute_b32 v12, v52, v19 offset:8
	ds_bpermute_b32 v4, v52, v56 offset:8
	v_add_f32_e32 v3, v8, v3
	v_add_f32_e32 v3, v9, v3
	s_waitcnt lgkmcnt(1)
	v_sub_f32_e32 v12, v13, v12
	v_mul_f32_e32 v12, v5, v12
	ds_bpermute_b32 v5, v52, v19 offset:12
	s_waitcnt lgkmcnt(1)
	v_fmac_f32_e32 v11, v12, v4
	ds_bpermute_b32 v4, v52, v56 offset:12
	s_waitcnt lgkmcnt(1)
	v_sub_f32_e32 v5, v14, v5
	v_mul_f32_e32 v5, v6, v5
	s_waitcnt lgkmcnt(0)
	v_fmac_f32_e32 v11, v5, v4
	ds_bpermute_b32 v5, v52, v19 offset:16
	ds_bpermute_b32 v4, v52, v56 offset:16
	s_waitcnt lgkmcnt(1)
	v_sub_f32_e32 v5, v15, v5
	v_mul_f32_e32 v5, v7, v5
	s_waitcnt lgkmcnt(0)
	v_fmac_f32_e32 v11, v5, v4
	ds_bpermute_b32 v5, v52, v19 offset:20
	ds_bpermute_b32 v4, v52, v56 offset:20
	s_waitcnt lgkmcnt(1)
	v_sub_f32_e32 v5, v16, v5
	v_mul_f32_e32 v5, v8, v5
	s_waitcnt lgkmcnt(0)
	v_fmac_f32_e32 v11, v5, v4
	ds_bpermute_b32 v5, v52, v19 offset:24
	ds_bpermute_b32 v4, v52, v56 offset:24
	s_waitcnt lgkmcnt(1)
	v_sub_f32_e32 v5, v17, v5
	v_mul_f32_e32 v5, v9, v5
	s_waitcnt lgkmcnt(0)
	v_fmac_f32_e32 v11, v5, v4
	ds_bpermute_b32 v5, v52, v19 offset:28
	ds_bpermute_b32 v4, v52, v56 offset:28
	s_waitcnt lgkmcnt(1)
	v_sub_f32_e32 v5, v18, v5
	v_mul_f32_e32 v5, v10, v5
	s_waitcnt lgkmcnt(0)
	v_mul_f32_e32 v4, v5, v4
.LBB57_78:                              ;   in Loop: Header=BB57_56 Depth=1
	s_and_b64 vcc, exec, s[0:1]
	s_cbranch_vccz .LBB57_55
; %bb.79:                               ;   in Loop: Header=BB57_56 Depth=1
	s_load_dword s0, s[2:3], 0x0
	v_mov_b32_e32 v5, 0
	s_waitcnt lgkmcnt(0)
	s_cmp_lt_u32 s6, s0
	s_cselect_b32 s0, 12, 18
	s_add_u32 s0, s2, s0
	s_addc_u32 s1, s3, 0
	global_load_ushort v3, v2, s[0:1]
	buffer_load_dword v4, off, s[36:39], 0 offset:100 ; 4-byte Folded Reload
	buffer_load_dword v6, off, s[36:39], 0 offset:104 ; 4-byte Folded Reload
	s_waitcnt vmcnt(0)
	v_mad_u32_u24 v3, v6, v3, v4
	v_and_b32_e32 v3, 63, v3
	v_cmp_gt_u32_e32 vcc, 8, v3
	v_mov_b32_e32 v6, 0
	s_and_saveexec_b64 s[0:1], vcc
	s_cbranch_execz .LBB57_54
; %bb.80:                               ;   in Loop: Header=BB57_56 Depth=1
	v_add_co_u32_e32 v3, vcc, v53, v3
	v_addc_co_u32_e32 v4, vcc, 0, v54, vcc
	v_add_co_u32_e32 v3, vcc, 0xffffff81, v3
	v_addc_co_u32_e32 v4, vcc, -1, v4, vcc
	v_cmp_gt_i64_e32 vcc, s[12:13], v[3:4]
	v_mov_b32_e32 v6, 0
	v_mov_b32_e32 v5, 0
	s_and_saveexec_b64 s[16:17], vcc
	s_cbranch_execz .LBB57_53
; %bb.81:                               ;   in Loop: Header=BB57_56 Depth=1
	v_lshlrev_b64 v[3:4], 2, v[3:4]
	v_mov_b32_e32 v5, s23
	v_add_co_u32_e32 v7, vcc, s22, v3
	v_addc_co_u32_e32 v8, vcc, v5, v4, vcc
	v_mov_b32_e32 v5, s21
	v_add_co_u32_e32 v3, vcc, s20, v3
	v_addc_co_u32_e32 v4, vcc, v5, v4, vcc
	global_load_dword v6, v[3:4], off
	global_load_dword v5, v[7:8], off
	s_branch .LBB57_53
.LBB57_82:
	buffer_load_dword v61, off, s[36:39], 0 offset:100 ; 4-byte Folded Reload
	buffer_load_dword v1, off, s[36:39], 0 offset:104 ; 4-byte Folded Reload
.LBB57_83:
	s_movk_i32 s0, 0x41
	s_waitcnt vmcnt(0)
	v_mad_u32_u24 v0, v1, s0, v61
	v_lshl_add_u32 v0, v0, 2, 0
	ds_write_b32 v0, v55
	buffer_load_dword v2, off, s[36:39], 0  ; 4-byte Folded Reload
	buffer_load_dword v3, off, s[36:39], 0 offset:4 ; 4-byte Folded Reload
	s_waitcnt vmcnt(0)
	ds_write_b32 v0, v3 offset:4160
	v_lshrrev_b32_e32 v0, 6, v61
	v_add_u32_e32 v2, v0, v1
	v_cmp_gt_u32_e32 vcc, 64, v2
	s_waitcnt lgkmcnt(0)
	s_barrier
	s_and_saveexec_b64 s[0:1], vcc
	s_cbranch_execz .LBB57_115
; %bb.84:
	s_load_dwordx4 s[8:11], s[4:5], 0x30
	v_and_b32_e32 v0, 63, v61
	v_cmp_gt_u32_e64 s[0:1], 16, v0
	v_mul_u32_u24_e32 v3, 0x41, v0
                                        ; implicit-def: $vgpr0
                                        ; implicit-def: $vgpr1
	s_and_saveexec_b64 s[2:3], s[0:1]
	s_cbranch_execz .LBB57_86
; %bb.85:
	v_add_u32_e32 v0, v2, v3
	v_lshl_add_u32 v0, v0, 2, 0
	ds_read_b32 v1, v0
	ds_read_b32 v0, v0 offset:4160
.LBB57_86:
	s_or_b64 exec, exec, s[2:3]
	v_mbcnt_lo_u32_b32 v4, -1, 0
	v_mbcnt_hi_u32_b32 v7, -1, v4
	v_and_b32_e32 v4, 64, v7
	v_add_u32_e32 v8, 64, v4
	v_xor_b32_e32 v4, 8, v7
	v_cmp_lt_i32_e32 vcc, v4, v8
	v_cndmask_b32_e32 v4, v7, v4, vcc
	v_lshlrev_b32_e32 v4, 2, v4
	s_waitcnt lgkmcnt(0)
	ds_bpermute_b32 v5, v4, v1
	v_xor_b32_e32 v6, 4, v7
	v_cmp_lt_i32_e32 vcc, v6, v8
	ds_bpermute_b32 v9, v4, v0
	s_mov_b32 s7, 0
	s_waitcnt lgkmcnt(1)
	v_add_f32_e32 v1, v1, v5
	v_cndmask_b32_e32 v5, v7, v6, vcc
	v_lshlrev_b32_e32 v5, 2, v5
	ds_bpermute_b32 v6, v5, v1
	s_waitcnt lgkmcnt(1)
	v_add_f32_e32 v0, v0, v9
	ds_bpermute_b32 v9, v5, v0
	s_lshl_b64 s[4:5], s[6:7], 6
	s_cmp_lg_u64 s[8:9], 0
	s_waitcnt lgkmcnt(1)
	v_add_f32_e32 v1, v1, v6
	v_xor_b32_e32 v6, 2, v7
	v_cmp_lt_i32_e32 vcc, v6, v8
	v_cndmask_b32_e32 v6, v7, v6, vcc
	v_lshlrev_b32_e32 v6, 2, v6
	ds_bpermute_b32 v10, v6, v1
	s_waitcnt lgkmcnt(1)
	v_add_f32_e32 v0, v0, v9
	ds_bpermute_b32 v9, v6, v0
	v_cmp_eq_u32_e64 s[2:3], 0, v61
	s_cselect_b64 s[12:13], -1, 0
	s_waitcnt lgkmcnt(1)
	v_add_f32_e32 v1, v1, v10
	v_xor_b32_e32 v10, 1, v7
	v_cmp_lt_i32_e32 vcc, v10, v8
	v_cndmask_b32_e32 v7, v7, v10, vcc
	v_lshlrev_b32_e32 v7, 2, v7
	ds_bpermute_b32 v8, v7, v1
	s_waitcnt lgkmcnt(1)
	v_add_f32_e32 v9, v0, v9
	ds_bpermute_b32 v10, v7, v9
	v_or_b32_e32 v0, s4, v2
	s_cmp_lg_u64 s[10:11], 0
	s_waitcnt lgkmcnt(1)
	v_add_f32_e32 v8, v1, v8
	v_mov_b32_e32 v1, s5
	v_cmp_gt_i64_e32 vcc, s[14:15], v[0:1]
	s_cselect_b64 s[6:7], -1, 0
	s_waitcnt lgkmcnt(0)
	v_add_f32_e32 v9, v9, v10
	s_and_b64 s[18:19], s[2:3], vcc
	s_and_saveexec_b64 s[16:17], s[18:19]
	s_cbranch_execz .LBB57_91
; %bb.87:
	v_lshlrev_b64 v[0:1], 2, v[0:1]
	s_andn2_b64 vcc, exec, s[12:13]
	s_cbranch_vccnz .LBB57_89
; %bb.88:
	v_mov_b32_e32 v11, s9
	v_add_co_u32_e32 v10, vcc, s8, v0
	v_addc_co_u32_e32 v11, vcc, v11, v1, vcc
	global_store_dword v[10:11], v8, off
.LBB57_89:
	s_andn2_b64 vcc, exec, s[6:7]
	s_cbranch_vccnz .LBB57_91
; %bb.90:
	v_mov_b32_e32 v10, s11
	v_add_co_u32_e32 v0, vcc, s10, v0
	v_addc_co_u32_e32 v1, vcc, v10, v1, vcc
	global_store_dword v[0:1], v9, off
.LBB57_91:
	s_or_b64 exec, exec, s[16:17]
	v_cmp_gt_u32_e32 vcc, 48, v2
	s_and_b64 exec, exec, vcc
	s_cbranch_execz .LBB57_115
; %bb.92:
	s_and_saveexec_b64 s[16:17], s[0:1]
	s_cbranch_execz .LBB57_94
; %bb.93:
	v_add_u32_e32 v0, v2, v3
	v_lshl_add_u32 v0, v0, 2, 0
	ds_read_b32 v8, v0 offset:64
	ds_read_b32 v9, v0 offset:4224
.LBB57_94:
	s_or_b64 exec, exec, s[16:17]
	s_waitcnt lgkmcnt(1)
	ds_bpermute_b32 v0, v4, v8
	s_waitcnt lgkmcnt(1)
	ds_bpermute_b32 v1, v4, v9
	v_add_u32_e32 v10, 16, v2
	v_mov_b32_e32 v11, s5
	s_waitcnt lgkmcnt(1)
	v_add_f32_e32 v0, v8, v0
	s_waitcnt lgkmcnt(0)
	v_add_f32_e32 v1, v9, v1
	ds_bpermute_b32 v8, v5, v0
	ds_bpermute_b32 v9, v5, v1
	s_waitcnt lgkmcnt(1)
	v_add_f32_e32 v0, v0, v8
	s_waitcnt lgkmcnt(0)
	v_add_f32_e32 v1, v1, v9
	ds_bpermute_b32 v8, v6, v0
	ds_bpermute_b32 v9, v6, v1
	;; [unrolled: 6-line block ×3, first 2 shown]
	v_add_co_u32_e32 v0, vcc, s4, v10
	v_addc_co_u32_e32 v1, vcc, 0, v11, vcc
	v_cmp_gt_i64_e32 vcc, s[14:15], v[0:1]
	s_waitcnt lgkmcnt(1)
	v_add_f32_e32 v0, v8, v12
	s_waitcnt lgkmcnt(0)
	v_add_f32_e32 v1, v9, v13
	s_and_b64 s[18:19], s[2:3], vcc
	s_and_saveexec_b64 s[16:17], s[18:19]
	s_cbranch_execz .LBB57_99
; %bb.95:
	s_andn2_b64 vcc, exec, s[12:13]
	s_cbranch_vccnz .LBB57_97
; %bb.96:
	v_mov_b32_e32 v9, s5
	v_add_co_u32_e32 v8, vcc, s4, v2
	v_addc_co_u32_e32 v9, vcc, 0, v9, vcc
	v_lshlrev_b64 v[8:9], 2, v[8:9]
	v_mov_b32_e32 v10, s9
	v_add_co_u32_e32 v8, vcc, s8, v8
	v_addc_co_u32_e32 v9, vcc, v10, v9, vcc
	global_store_dword v[8:9], v0, off offset:64
.LBB57_97:
	s_andn2_b64 vcc, exec, s[6:7]
	s_cbranch_vccnz .LBB57_99
; %bb.98:
	v_mov_b32_e32 v9, s5
	v_add_co_u32_e32 v8, vcc, s4, v2
	v_addc_co_u32_e32 v9, vcc, 0, v9, vcc
	v_lshlrev_b64 v[8:9], 2, v[8:9]
	v_mov_b32_e32 v10, s11
	v_add_co_u32_e32 v8, vcc, s10, v8
	v_addc_co_u32_e32 v9, vcc, v10, v9, vcc
	global_store_dword v[8:9], v1, off offset:64
.LBB57_99:
	s_or_b64 exec, exec, s[16:17]
	v_cmp_gt_u32_e32 vcc, 32, v2
	s_and_b64 exec, exec, vcc
	s_cbranch_execz .LBB57_115
; %bb.100:
	s_and_saveexec_b64 s[16:17], s[0:1]
	s_cbranch_execz .LBB57_102
; %bb.101:
	v_add_u32_e32 v0, v2, v3
	v_lshl_add_u32 v1, v0, 2, 0
	ds_read_b32 v0, v1 offset:128
	ds_read_b32 v1, v1 offset:4288
.LBB57_102:
	s_or_b64 exec, exec, s[16:17]
	s_waitcnt lgkmcnt(1)
	ds_bpermute_b32 v8, v4, v0
	s_waitcnt lgkmcnt(1)
	ds_bpermute_b32 v9, v4, v1
	v_add_u32_e32 v10, 32, v2
	s_waitcnt lgkmcnt(1)
	v_add_f32_e32 v0, v0, v8
	s_waitcnt lgkmcnt(0)
	v_add_f32_e32 v1, v1, v9
	ds_bpermute_b32 v8, v5, v0
	ds_bpermute_b32 v9, v5, v1
	s_waitcnt lgkmcnt(1)
	v_add_f32_e32 v0, v0, v8
	s_waitcnt lgkmcnt(0)
	v_add_f32_e32 v1, v1, v9
	ds_bpermute_b32 v8, v6, v0
	ds_bpermute_b32 v9, v6, v1
	;; [unrolled: 6-line block ×3, first 2 shown]
	v_mov_b32_e32 v1, s5
	v_or_b32_e32 v0, s4, v10
	v_cmp_gt_i64_e32 vcc, s[14:15], v[0:1]
	s_waitcnt lgkmcnt(1)
	v_add_f32_e32 v0, v8, v11
	s_waitcnt lgkmcnt(0)
	v_add_f32_e32 v1, v9, v12
	s_and_b64 s[18:19], s[2:3], vcc
	s_and_saveexec_b64 s[16:17], s[18:19]
	s_cbranch_execz .LBB57_107
; %bb.103:
	s_andn2_b64 vcc, exec, s[12:13]
	s_cbranch_vccnz .LBB57_105
; %bb.104:
	v_mov_b32_e32 v9, s5
	v_add_co_u32_e32 v8, vcc, s4, v2
	v_addc_co_u32_e32 v9, vcc, 0, v9, vcc
	v_lshlrev_b64 v[8:9], 2, v[8:9]
	v_mov_b32_e32 v10, s9
	v_add_co_u32_e32 v8, vcc, s8, v8
	v_addc_co_u32_e32 v9, vcc, v10, v9, vcc
	global_store_dword v[8:9], v0, off offset:128
.LBB57_105:
	s_andn2_b64 vcc, exec, s[6:7]
	s_cbranch_vccnz .LBB57_107
; %bb.106:
	v_mov_b32_e32 v9, s5
	v_add_co_u32_e32 v8, vcc, s4, v2
	v_addc_co_u32_e32 v9, vcc, 0, v9, vcc
	v_lshlrev_b64 v[8:9], 2, v[8:9]
	v_mov_b32_e32 v10, s11
	v_add_co_u32_e32 v8, vcc, s10, v8
	v_addc_co_u32_e32 v9, vcc, v10, v9, vcc
	global_store_dword v[8:9], v1, off offset:128
.LBB57_107:
	s_or_b64 exec, exec, s[16:17]
	v_cmp_gt_u32_e32 vcc, 16, v2
	s_and_b64 exec, exec, vcc
	s_cbranch_execz .LBB57_115
; %bb.108:
	s_and_saveexec_b64 s[16:17], s[0:1]
	s_cbranch_execz .LBB57_110
; %bb.109:
	v_add_u32_e32 v0, v2, v3
	v_lshl_add_u32 v1, v0, 2, 0
	ds_read_b32 v0, v1 offset:192
	ds_read_b32 v1, v1 offset:4352
.LBB57_110:
	s_or_b64 exec, exec, s[16:17]
	s_waitcnt lgkmcnt(1)
	ds_bpermute_b32 v3, v4, v0
	s_waitcnt lgkmcnt(1)
	ds_bpermute_b32 v4, v4, v1
	s_waitcnt lgkmcnt(1)
	v_add_f32_e32 v0, v0, v3
	s_waitcnt lgkmcnt(0)
	v_add_f32_e32 v1, v1, v4
	ds_bpermute_b32 v3, v5, v0
	ds_bpermute_b32 v4, v5, v1
	v_add_u32_e32 v5, 48, v2
	v_or_b32_e32 v5, s4, v5
	s_waitcnt lgkmcnt(1)
	v_add_f32_e32 v0, v0, v3
	s_waitcnt lgkmcnt(0)
	v_add_f32_e32 v1, v1, v4
	ds_bpermute_b32 v3, v6, v0
	ds_bpermute_b32 v4, v6, v1
	v_mov_b32_e32 v6, s5
	v_cmp_gt_i64_e32 vcc, s[14:15], v[5:6]
	s_waitcnt lgkmcnt(1)
	v_add_f32_e32 v3, v0, v3
	s_waitcnt lgkmcnt(0)
	v_add_f32_e32 v0, v1, v4
	ds_bpermute_b32 v4, v7, v3
	ds_bpermute_b32 v1, v7, v0
	s_and_b64 s[0:1], s[2:3], vcc
	s_and_b64 exec, exec, s[0:1]
	s_cbranch_execz .LBB57_115
; %bb.111:
	s_andn2_b64 vcc, exec, s[12:13]
	s_cbranch_vccnz .LBB57_113
; %bb.112:
	s_waitcnt lgkmcnt(1)
	v_add_f32_e32 v5, v3, v4
	v_mov_b32_e32 v4, s5
	v_add_co_u32_e32 v3, vcc, s4, v2
	v_addc_co_u32_e32 v4, vcc, 0, v4, vcc
	v_lshlrev_b64 v[3:4], 2, v[3:4]
	v_mov_b32_e32 v6, s9
	v_add_co_u32_e32 v3, vcc, s8, v3
	v_addc_co_u32_e32 v4, vcc, v6, v4, vcc
	global_store_dword v[3:4], v5, off offset:192
.LBB57_113:
	s_andn2_b64 vcc, exec, s[6:7]
	s_cbranch_vccnz .LBB57_115
; %bb.114:
	s_waitcnt lgkmcnt(0)
	v_add_f32_e32 v3, v0, v1
	v_mov_b32_e32 v1, s5
	v_add_co_u32_e32 v0, vcc, s4, v2
	v_addc_co_u32_e32 v1, vcc, 0, v1, vcc
	v_lshlrev_b64 v[0:1], 2, v[0:1]
	v_mov_b32_e32 v2, s11
	v_add_co_u32_e32 v0, vcc, s10, v0
	v_addc_co_u32_e32 v1, vcc, v2, v1, vcc
	global_store_dword v[0:1], v3, off offset:192
.LBB57_115:
	s_endpgm
	.section	.rodata,"a",@progbits
	.p2align	6, 0x0
	.amdhsa_kernel _ZN2at6native12_GLOBAL__N_135GammaBetaBackwardCUDAKernelTemplateIffLj64ELj16ELj128ELb0ELb0ELb0EEEvllPKT_S5_PKT0_S8_PS3_S9_
		.amdhsa_group_segment_fixed_size 0
		.amdhsa_private_segment_fixed_size 116
		.amdhsa_kernarg_size 320
		.amdhsa_user_sgpr_count 6
		.amdhsa_user_sgpr_private_segment_buffer 1
		.amdhsa_user_sgpr_dispatch_ptr 0
		.amdhsa_user_sgpr_queue_ptr 0
		.amdhsa_user_sgpr_kernarg_segment_ptr 1
		.amdhsa_user_sgpr_dispatch_id 0
		.amdhsa_user_sgpr_flat_scratch_init 0
		.amdhsa_user_sgpr_private_segment_size 0
		.amdhsa_uses_dynamic_stack 0
		.amdhsa_system_sgpr_private_segment_wavefront_offset 1
		.amdhsa_system_sgpr_workgroup_id_x 1
		.amdhsa_system_sgpr_workgroup_id_y 1
		.amdhsa_system_sgpr_workgroup_id_z 0
		.amdhsa_system_sgpr_workgroup_info 0
		.amdhsa_system_vgpr_workitem_id 1
		.amdhsa_next_free_vgpr 64
		.amdhsa_next_free_sgpr 40
		.amdhsa_reserve_vcc 1
		.amdhsa_reserve_flat_scratch 0
		.amdhsa_float_round_mode_32 0
		.amdhsa_float_round_mode_16_64 0
		.amdhsa_float_denorm_mode_32 3
		.amdhsa_float_denorm_mode_16_64 3
		.amdhsa_dx10_clamp 1
		.amdhsa_ieee_mode 1
		.amdhsa_fp16_overflow 0
		.amdhsa_exception_fp_ieee_invalid_op 0
		.amdhsa_exception_fp_denorm_src 0
		.amdhsa_exception_fp_ieee_div_zero 0
		.amdhsa_exception_fp_ieee_overflow 0
		.amdhsa_exception_fp_ieee_underflow 0
		.amdhsa_exception_fp_ieee_inexact 0
		.amdhsa_exception_int_div_zero 0
	.end_amdhsa_kernel
	.section	.text._ZN2at6native12_GLOBAL__N_135GammaBetaBackwardCUDAKernelTemplateIffLj64ELj16ELj128ELb0ELb0ELb0EEEvllPKT_S5_PKT0_S8_PS3_S9_,"axG",@progbits,_ZN2at6native12_GLOBAL__N_135GammaBetaBackwardCUDAKernelTemplateIffLj64ELj16ELj128ELb0ELb0ELb0EEEvllPKT_S5_PKT0_S8_PS3_S9_,comdat
.Lfunc_end57:
	.size	_ZN2at6native12_GLOBAL__N_135GammaBetaBackwardCUDAKernelTemplateIffLj64ELj16ELj128ELb0ELb0ELb0EEEvllPKT_S5_PKT0_S8_PS3_S9_, .Lfunc_end57-_ZN2at6native12_GLOBAL__N_135GammaBetaBackwardCUDAKernelTemplateIffLj64ELj16ELj128ELb0ELb0ELb0EEEvllPKT_S5_PKT0_S8_PS3_S9_
                                        ; -- End function
	.set _ZN2at6native12_GLOBAL__N_135GammaBetaBackwardCUDAKernelTemplateIffLj64ELj16ELj128ELb0ELb0ELb0EEEvllPKT_S5_PKT0_S8_PS3_S9_.num_vgpr, 64
	.set _ZN2at6native12_GLOBAL__N_135GammaBetaBackwardCUDAKernelTemplateIffLj64ELj16ELj128ELb0ELb0ELb0EEEvllPKT_S5_PKT0_S8_PS3_S9_.num_agpr, 0
	.set _ZN2at6native12_GLOBAL__N_135GammaBetaBackwardCUDAKernelTemplateIffLj64ELj16ELj128ELb0ELb0ELb0EEEvllPKT_S5_PKT0_S8_PS3_S9_.numbered_sgpr, 40
	.set _ZN2at6native12_GLOBAL__N_135GammaBetaBackwardCUDAKernelTemplateIffLj64ELj16ELj128ELb0ELb0ELb0EEEvllPKT_S5_PKT0_S8_PS3_S9_.num_named_barrier, 0
	.set _ZN2at6native12_GLOBAL__N_135GammaBetaBackwardCUDAKernelTemplateIffLj64ELj16ELj128ELb0ELb0ELb0EEEvllPKT_S5_PKT0_S8_PS3_S9_.private_seg_size, 116
	.set _ZN2at6native12_GLOBAL__N_135GammaBetaBackwardCUDAKernelTemplateIffLj64ELj16ELj128ELb0ELb0ELb0EEEvllPKT_S5_PKT0_S8_PS3_S9_.uses_vcc, 1
	.set _ZN2at6native12_GLOBAL__N_135GammaBetaBackwardCUDAKernelTemplateIffLj64ELj16ELj128ELb0ELb0ELb0EEEvllPKT_S5_PKT0_S8_PS3_S9_.uses_flat_scratch, 0
	.set _ZN2at6native12_GLOBAL__N_135GammaBetaBackwardCUDAKernelTemplateIffLj64ELj16ELj128ELb0ELb0ELb0EEEvllPKT_S5_PKT0_S8_PS3_S9_.has_dyn_sized_stack, 0
	.set _ZN2at6native12_GLOBAL__N_135GammaBetaBackwardCUDAKernelTemplateIffLj64ELj16ELj128ELb0ELb0ELb0EEEvllPKT_S5_PKT0_S8_PS3_S9_.has_recursion, 0
	.set _ZN2at6native12_GLOBAL__N_135GammaBetaBackwardCUDAKernelTemplateIffLj64ELj16ELj128ELb0ELb0ELb0EEEvllPKT_S5_PKT0_S8_PS3_S9_.has_indirect_call, 0
	.section	.AMDGPU.csdata,"",@progbits
; Kernel info:
; codeLenInByte = 9268
; TotalNumSgprs: 44
; NumVgprs: 64
; ScratchSize: 116
; MemoryBound: 0
; FloatMode: 240
; IeeeMode: 1
; LDSByteSize: 0 bytes/workgroup (compile time only)
; SGPRBlocks: 5
; VGPRBlocks: 15
; NumSGPRsForWavesPerEU: 44
; NumVGPRsForWavesPerEU: 64
; Occupancy: 4
; WaveLimiterHint : 0
; COMPUTE_PGM_RSRC2:SCRATCH_EN: 1
; COMPUTE_PGM_RSRC2:USER_SGPR: 6
; COMPUTE_PGM_RSRC2:TRAP_HANDLER: 0
; COMPUTE_PGM_RSRC2:TGID_X_EN: 1
; COMPUTE_PGM_RSRC2:TGID_Y_EN: 1
; COMPUTE_PGM_RSRC2:TGID_Z_EN: 0
; COMPUTE_PGM_RSRC2:TIDIG_COMP_CNT: 1
	.section	.text._ZN2at6native12_GLOBAL__N_135GammaBetaBackwardCUDAKernelTemplateIffLj64ELj16ELj256ELb0ELb1ELb0EEEvllPKT_S5_PKT0_S8_PS3_S9_,"axG",@progbits,_ZN2at6native12_GLOBAL__N_135GammaBetaBackwardCUDAKernelTemplateIffLj64ELj16ELj256ELb0ELb1ELb0EEEvllPKT_S5_PKT0_S8_PS3_S9_,comdat
	.globl	_ZN2at6native12_GLOBAL__N_135GammaBetaBackwardCUDAKernelTemplateIffLj64ELj16ELj256ELb0ELb1ELb0EEEvllPKT_S5_PKT0_S8_PS3_S9_ ; -- Begin function _ZN2at6native12_GLOBAL__N_135GammaBetaBackwardCUDAKernelTemplateIffLj64ELj16ELj256ELb0ELb1ELb0EEEvllPKT_S5_PKT0_S8_PS3_S9_
	.p2align	8
	.type	_ZN2at6native12_GLOBAL__N_135GammaBetaBackwardCUDAKernelTemplateIffLj64ELj16ELj256ELb0ELb1ELb0EEEvllPKT_S5_PKT0_S8_PS3_S9_,@function
_ZN2at6native12_GLOBAL__N_135GammaBetaBackwardCUDAKernelTemplateIffLj64ELj16ELj256ELb0ELb1ELb0EEEvllPKT_S5_PKT0_S8_PS3_S9_: ; @_ZN2at6native12_GLOBAL__N_135GammaBetaBackwardCUDAKernelTemplateIffLj64ELj16ELj256ELb0ELb1ELb0EEEvllPKT_S5_PKT0_S8_PS3_S9_
; %bb.0:
	s_load_dwordx4 s[20:23], s[4:5], 0x0
	s_lshl_b32 s24, s7, 8
	s_mov_b32 s25, 0
	v_mov_b32_e32 v2, s24
	v_mov_b32_e32 v3, s25
	s_waitcnt lgkmcnt(0)
	v_cmp_gt_i64_e32 vcc, s[20:21], v[2:3]
	s_cbranch_vccnz .LBB58_2
; %bb.1:
	s_mov_b64 s[0:1], 0
	s_branch .LBB58_3
.LBB58_2:
	s_mov_b64 s[0:1], -1
.LBB58_3:
	s_load_dwordx4 s[16:19], s[4:5], 0x30
	v_mov_b32_e32 v30, 0
	s_andn2_b64 vcc, exec, s[0:1]
	v_mbcnt_lo_u32_b32 v12, -1, 0
	v_mov_b32_e32 v3, 0
	s_cbranch_vccnz .LBB58_10
; %bb.4:
	v_lshlrev_b32_e32 v4, 4, v1
	v_mbcnt_hi_u32_b32 v5, -1, v12
	v_add_co_u32_e32 v9, vcc, s24, v4
	s_load_dword s0, s[4:5], 0x4c
	s_load_dword s7, s[4:5], 0x44
	s_load_dwordx8 s[8:15], s[4:5], 0x10
	v_lshlrev_b32_e32 v5, 2, v5
	v_addc_co_u32_e64 v10, s[2:3], 0, 0, vcc
	v_and_b32_e32 v13, 0x100, v5
	v_mul_lo_u32 v6, s23, v9
	v_mul_lo_u32 v7, s22, v10
	v_mad_u64_u32 v[4:5], s[2:3], s22, v9, 0
	s_waitcnt lgkmcnt(0)
	s_and_b32 s0, s0, 0xffff
	v_mad_u32_u24 v2, v1, s0, v0
	v_and_b32_e32 v8, 63, v2
	v_mov_b32_e32 v3, 0
	v_lshl_add_u32 v2, s6, 6, v0
	v_add3_u32 v5, v5, v7, v6
	v_lshlrev_b64 v[4:5], 2, v[4:5]
	v_lshlrev_b64 v[6:7], 2, v[2:3]
	s_lshl_b32 s4, s7, 8
	v_add_co_u32_e32 v2, vcc, v4, v6
	v_addc_co_u32_e32 v20, vcc, v5, v7, vcc
	v_add_co_u32_e32 v4, vcc, v9, v8
	v_addc_co_u32_e32 v5, vcc, 0, v10, vcc
	s_mul_i32 s2, s23, s4
	s_mul_hi_u32 s3, s22, s4
	s_mov_b32 s5, 0
	s_add_i32 s3, s3, s2
	s_mul_i32 s2, s22, s4
	v_lshlrev_b64 v[6:7], 2, v[4:5]
	v_cmp_gt_u32_e64 s[0:1], 16, v8
	v_or_b32_e32 v14, 4, v13
	v_or_b32_e32 v15, 8, v13
	;; [unrolled: 1-line block ×10, first 2 shown]
	s_lshl_b64 s[26:27], s[4:5], 2
	s_lshl_b64 s[28:29], s[2:3], 2
	s_lshl_b64 s[22:23], s[22:23], 2
	v_or_b32_e32 v25, 44, v13
	v_or_b32_e32 v26, 48, v13
	;; [unrolled: 1-line block ×5, first 2 shown]
	v_mov_b32_e32 v30, v3
	s_branch .LBB58_7
.LBB58_5:                               ;   in Loop: Header=BB58_7 Depth=1
	s_or_b64 exec, exec, s[30:31]
.LBB58_6:                               ;   in Loop: Header=BB58_7 Depth=1
	s_or_b64 exec, exec, s[2:3]
	v_mov_b32_e32 v9, s11
	v_add_co_u32_e32 v8, vcc, s10, v2
	v_addc_co_u32_e32 v9, vcc, v9, v20, vcc
	v_mov_b32_e32 v11, s9
	v_add_co_u32_e32 v10, vcc, s8, v2
	v_addc_co_u32_e32 v11, vcc, v11, v20, vcc
	global_load_dword v35, v[8:9], off
	v_mov_b32_e32 v34, s23
	v_add_co_u32_e32 v8, vcc, s22, v8
	v_addc_co_u32_e32 v9, vcc, v9, v34, vcc
	v_add_co_u32_e32 v36, vcc, s22, v10
	global_load_dword v33, v[10:11], off
	global_load_dword v51, v[8:9], off
	v_addc_co_u32_e32 v37, vcc, v11, v34, vcc
	global_load_dword v10, v[36:37], off
	v_add_co_u32_e32 v8, vcc, s22, v8
	v_addc_co_u32_e32 v9, vcc, v9, v34, vcc
	v_add_co_u32_e32 v38, vcc, s22, v36
	v_addc_co_u32_e32 v39, vcc, v37, v34, vcc
	;; [unrolled: 2-line block ×6, first 2 shown]
	global_load_dword v11, v[46:47], off
	global_load_dword v37, v[8:9], off
	s_waitcnt vmcnt(7)
	ds_bpermute_b32 v52, v13, v32
	global_load_dword v8, v[38:39], off
	global_load_dword v9, v[42:43], off
	ds_bpermute_b32 v54, v14, v32
	global_load_dword v38, v[40:41], off
	v_add_co_u32_e32 v41, vcc, s22, v44
	v_addc_co_u32_e32 v42, vcc, v45, v34, vcc
	v_add_co_u32_e32 v43, vcc, s22, v46
	global_load_dword v40, v[44:45], off
	v_addc_co_u32_e32 v44, vcc, v47, v34, vcc
	v_add_co_u32_e32 v45, vcc, s22, v41
	v_addc_co_u32_e32 v46, vcc, v42, v34, vcc
	s_waitcnt vmcnt(10)
	ds_bpermute_b32 v53, v13, v31
	v_add_co_u32_e32 v47, vcc, s22, v43
	ds_bpermute_b32 v55, v14, v31
	v_addc_co_u32_e32 v48, vcc, v44, v34, vcc
	v_add_co_u32_e32 v49, vcc, s22, v45
	v_addc_co_u32_e32 v50, vcc, v46, v34, vcc
	global_load_dword v42, v[41:42], off
	s_add_u32 s24, s24, s4
	global_load_dword v36, v[43:44], off
	s_addc_u32 s25, s25, 0
	v_add_co_u32_e64 v2, s[2:3], s28, v2
	s_waitcnt vmcnt(11) lgkmcnt(3)
	v_sub_f32_e32 v35, v35, v52
	s_waitcnt vmcnt(10)
	v_mul_f32_e32 v35, v33, v35
	s_waitcnt vmcnt(9) lgkmcnt(2)
	v_sub_f32_e32 v39, v51, v54
	v_add_co_u32_e32 v51, vcc, s22, v47
	s_waitcnt lgkmcnt(1)
	v_fmac_f32_e32 v3, v35, v53
	s_waitcnt vmcnt(8)
	v_mul_f32_e32 v35, v10, v39
	v_addc_co_u32_e32 v52, vcc, v48, v34, vcc
	s_waitcnt lgkmcnt(0)
	v_fmac_f32_e32 v3, v35, v55
	global_load_dword v35, v[47:48], off
	global_load_dword v39, v[51:52], off
	v_add_co_u32_e32 v47, vcc, s22, v49
	v_addc_co_u32_e32 v48, vcc, v50, v34, vcc
	global_load_dword v44, v[45:46], off
	v_add_f32_e32 v30, v30, v33
	global_load_dword v46, v[49:50], off
	v_add_co_u32_e32 v49, vcc, s22, v51
	v_addc_co_u32_e32 v50, vcc, v52, v34, vcc
	v_add_co_u32_e32 v51, vcc, s22, v47
	v_addc_co_u32_e32 v52, vcc, v48, v34, vcc
	;; [unrolled: 2-line block ×3, first 2 shown]
	global_load_dword v47, v[47:48], off
	v_add_co_u32_e32 v48, vcc, s22, v51
	global_load_dword v41, v[49:50], off
	v_addc_co_u32_e32 v49, vcc, v52, v34, vcc
	v_add_co_u32_e32 v50, vcc, s22, v53
	global_load_dword v56, v[51:52], off
	v_addc_co_u32_e32 v51, vcc, v54, v34, vcc
	;; [unrolled: 3-line block ×3, first 2 shown]
	global_load_dword v57, v[48:49], off
	v_add_co_u32_e32 v48, vcc, s22, v50
	v_addc_co_u32_e32 v49, vcc, v51, v34, vcc
	global_load_dword v45, v[50:51], off
	v_add_co_u32_e32 v50, vcc, s22, v52
	v_addc_co_u32_e32 v51, vcc, v53, v34, vcc
	global_load_dword v58, v[52:53], off
	v_add_co_u32_e32 v52, vcc, s22, v48
	v_addc_co_u32_e32 v53, vcc, v49, v34, vcc
	v_add_co_u32_e32 v54, vcc, s22, v50
	v_addc_co_u32_e32 v55, vcc, v51, v34, vcc
	global_load_dword v48, v[48:49], off
	v_add_co_u32_e32 v49, vcc, s22, v52
	global_load_dword v59, v[50:51], off
	v_addc_co_u32_e32 v50, vcc, v53, v34, vcc
	v_add_co_u32_e32 v51, vcc, s22, v54
	global_load_dword v60, v[52:53], off
	v_addc_co_u32_e32 v52, vcc, v55, v34, vcc
	;; [unrolled: 3-line block ×3, first 2 shown]
	global_load_dword v61, v[49:50], off
	v_add_co_u32_e32 v49, vcc, s22, v51
	v_addc_co_u32_e32 v50, vcc, v52, v34, vcc
	global_load_dword v62, v[51:52], off
	v_add_co_u32_e32 v51, vcc, s22, v53
	v_addc_co_u32_e32 v52, vcc, v54, v34, vcc
	global_load_dword v34, v[53:54], off
	ds_bpermute_b32 v53, v15, v32
	global_load_dword v49, v[49:50], off
	ds_bpermute_b32 v50, v16, v32
	;; [unrolled: 2-line block ×3, first 2 shown]
	s_waitcnt vmcnt(26) lgkmcnt(2)
	v_sub_f32_e32 v37, v37, v53
	ds_bpermute_b32 v53, v15, v31
	s_waitcnt vmcnt(25)
	v_mul_f32_e32 v37, v8, v37
	s_waitcnt vmcnt(23) lgkmcnt(2)
	v_sub_f32_e32 v38, v38, v50
	ds_bpermute_b32 v50, v17, v31
	v_mul_f32_e32 v38, v9, v38
	s_waitcnt lgkmcnt(1)
	v_fmac_f32_e32 v3, v37, v53
	ds_bpermute_b32 v37, v16, v31
	v_add_f32_e32 v10, v30, v10
	v_add_f32_e32 v8, v10, v8
	;; [unrolled: 1-line block ×4, first 2 shown]
	s_waitcnt lgkmcnt(0)
	v_fmac_f32_e32 v3, v38, v37
	ds_bpermute_b32 v38, v18, v32
	s_waitcnt vmcnt(22)
	v_sub_f32_e32 v37, v40, v52
	v_mul_f32_e32 v37, v11, v37
	v_fmac_f32_e32 v3, v37, v50
	ds_bpermute_b32 v37, v18, v31
	ds_bpermute_b32 v40, v19, v32
	s_waitcnt vmcnt(21) lgkmcnt(2)
	v_sub_f32_e32 v38, v42, v38
	ds_bpermute_b32 v42, v19, v31
	s_waitcnt vmcnt(20)
	v_mul_f32_e32 v38, v36, v38
	s_waitcnt lgkmcnt(2)
	v_fmac_f32_e32 v3, v38, v37
	s_waitcnt vmcnt(17) lgkmcnt(1)
	v_sub_f32_e32 v37, v44, v40
	ds_bpermute_b32 v38, v21, v32
	v_mul_f32_e32 v37, v35, v37
	s_waitcnt lgkmcnt(1)
	v_fmac_f32_e32 v3, v37, v42
	ds_bpermute_b32 v37, v21, v31
	ds_bpermute_b32 v40, v22, v32
	;; [unrolled: 1-line block ×3, first 2 shown]
	s_waitcnt vmcnt(16) lgkmcnt(3)
	v_sub_f32_e32 v38, v46, v38
	v_mul_f32_e32 v38, v39, v38
	s_waitcnt lgkmcnt(2)
	v_fmac_f32_e32 v3, v38, v37
	s_waitcnt vmcnt(15) lgkmcnt(1)
	v_sub_f32_e32 v37, v47, v40
	ds_bpermute_b32 v38, v23, v32
	s_waitcnt vmcnt(14)
	v_mul_f32_e32 v37, v41, v37
	s_waitcnt lgkmcnt(1)
	v_fmac_f32_e32 v3, v37, v42
	ds_bpermute_b32 v37, v23, v31
	ds_bpermute_b32 v40, v24, v32
	;; [unrolled: 1-line block ×3, first 2 shown]
	s_waitcnt vmcnt(13) lgkmcnt(3)
	v_sub_f32_e32 v38, v56, v38
	s_waitcnt vmcnt(12)
	v_mul_f32_e32 v38, v43, v38
	s_waitcnt lgkmcnt(2)
	v_fmac_f32_e32 v3, v38, v37
	s_waitcnt vmcnt(11) lgkmcnt(1)
	v_sub_f32_e32 v37, v57, v40
	ds_bpermute_b32 v38, v25, v32
	s_waitcnt vmcnt(10)
	v_mul_f32_e32 v37, v45, v37
	s_waitcnt lgkmcnt(1)
	v_fmac_f32_e32 v3, v37, v42
	ds_bpermute_b32 v37, v25, v31
	ds_bpermute_b32 v40, v26, v32
	;; [unrolled: 1-line block ×3, first 2 shown]
	s_waitcnt vmcnt(9) lgkmcnt(3)
	v_sub_f32_e32 v38, v58, v38
	v_add_f32_e32 v8, v8, v36
	s_waitcnt vmcnt(8)
	v_mul_f32_e32 v38, v48, v38
	v_add_f32_e32 v8, v8, v35
	s_waitcnt lgkmcnt(2)
	v_fmac_f32_e32 v3, v38, v37
	s_waitcnt vmcnt(7) lgkmcnt(1)
	v_sub_f32_e32 v37, v59, v40
	ds_bpermute_b32 v38, v27, v32
	v_add_f32_e32 v8, v8, v39
	s_waitcnt vmcnt(6)
	v_mul_f32_e32 v37, v60, v37
	v_add_f32_e32 v8, v8, v41
	s_waitcnt lgkmcnt(1)
	v_fmac_f32_e32 v3, v37, v42
	ds_bpermute_b32 v37, v27, v31
	ds_bpermute_b32 v40, v28, v32
	v_add_f32_e32 v8, v8, v43
	v_add_f32_e32 v8, v8, v45
	ds_bpermute_b32 v9, v29, v32
	ds_bpermute_b32 v42, v28, v31
	v_add_f32_e32 v8, v8, v48
	s_waitcnt vmcnt(5) lgkmcnt(4)
	v_sub_f32_e32 v38, v55, v38
	v_add_f32_e32 v8, v8, v60
	ds_bpermute_b32 v10, v29, v31
	s_waitcnt vmcnt(4)
	v_mul_f32_e32 v38, v61, v38
	v_add_f32_e32 v8, v8, v61
	s_waitcnt lgkmcnt(4)
	v_fmac_f32_e32 v3, v38, v37
	s_waitcnt vmcnt(3) lgkmcnt(3)
	v_sub_f32_e32 v37, v62, v40
	s_waitcnt vmcnt(2)
	v_add_f32_e32 v8, v8, v34
	v_mul_f32_e32 v37, v34, v37
	s_waitcnt vmcnt(1) lgkmcnt(2)
	v_sub_f32_e32 v9, v49, v9
	s_waitcnt vmcnt(0)
	v_add_f32_e32 v30, v8, v51
	v_mov_b32_e32 v8, s27
	v_add_co_u32_e32 v6, vcc, s26, v6
	s_waitcnt lgkmcnt(1)
	v_fmac_f32_e32 v3, v37, v42
	v_mul_f32_e32 v9, v51, v9
	v_addc_co_u32_e32 v7, vcc, v7, v8, vcc
	s_waitcnt lgkmcnt(0)
	v_fmac_f32_e32 v3, v9, v10
	v_add_co_u32_e32 v4, vcc, s4, v4
	v_mov_b32_e32 v8, s20
	v_addc_co_u32_e32 v5, vcc, 0, v5, vcc
	v_mov_b32_e32 v9, s21
	v_cmp_lt_i64_e32 vcc, s[24:25], v[8:9]
	v_mov_b32_e32 v10, s29
	v_addc_co_u32_e64 v20, s[2:3], v20, v10, s[2:3]
	s_cbranch_vccz .LBB58_10
.LBB58_7:                               ; =>This Inner Loop Header: Depth=1
	v_mov_b32_e32 v31, 0
	v_mov_b32_e32 v32, 0
	s_and_saveexec_b64 s[2:3], s[0:1]
	s_cbranch_execz .LBB58_6
; %bb.8:                                ;   in Loop: Header=BB58_7 Depth=1
	v_cmp_gt_i64_e32 vcc, s[20:21], v[4:5]
	v_mov_b32_e32 v32, 0
	v_mov_b32_e32 v31, 0
	s_and_saveexec_b64 s[30:31], vcc
	s_cbranch_execz .LBB58_5
; %bb.9:                                ;   in Loop: Header=BB58_7 Depth=1
	v_mov_b32_e32 v9, s15
	v_add_co_u32_e32 v8, vcc, s14, v6
	v_addc_co_u32_e32 v9, vcc, v9, v7, vcc
	v_mov_b32_e32 v11, s13
	v_add_co_u32_e32 v10, vcc, s12, v6
	v_addc_co_u32_e32 v11, vcc, v11, v7, vcc
	global_load_dword v32, v[10:11], off
	global_load_dword v31, v[8:9], off
	s_branch .LBB58_5
.LBB58_10:
	s_movk_i32 s0, 0x41
	v_mad_u32_u24 v2, v1, s0, v0
	v_lshl_add_u32 v2, v2, 2, 0
	ds_write_b32 v2, v3
	ds_write_b32 v2, v30 offset:4160
	v_lshrrev_b32_e32 v2, 6, v0
	v_add_u32_e32 v2, v2, v1
	v_cmp_gt_u32_e32 vcc, 64, v2
	s_waitcnt lgkmcnt(0)
	s_barrier
	s_and_saveexec_b64 s[0:1], vcc
	s_cbranch_execz .LBB58_42
; %bb.11:
	v_and_b32_e32 v1, 63, v0
	v_cmp_gt_u32_e64 s[0:1], 16, v1
	v_mul_u32_u24_e32 v3, 0x41, v1
                                        ; implicit-def: $vgpr1
                                        ; implicit-def: $vgpr5
	s_and_saveexec_b64 s[2:3], s[0:1]
	s_cbranch_execz .LBB58_13
; %bb.12:
	v_add_u32_e32 v1, v2, v3
	v_lshl_add_u32 v1, v1, 2, 0
	ds_read_b32 v5, v1
	ds_read_b32 v1, v1 offset:4160
.LBB58_13:
	s_or_b64 exec, exec, s[2:3]
	v_mbcnt_hi_u32_b32 v7, -1, v12
	v_and_b32_e32 v4, 64, v7
	v_add_u32_e32 v8, 64, v4
	v_xor_b32_e32 v4, 8, v7
	v_cmp_lt_i32_e32 vcc, v4, v8
	v_cndmask_b32_e32 v4, v7, v4, vcc
	v_lshlrev_b32_e32 v4, 2, v4
	s_waitcnt lgkmcnt(1)
	ds_bpermute_b32 v6, v4, v5
	s_waitcnt lgkmcnt(1)
	ds_bpermute_b32 v9, v4, v1
	v_cmp_eq_u32_e64 s[2:3], 0, v0
	s_mov_b32 s7, 0
	s_lshl_b64 s[4:5], s[6:7], 6
	s_waitcnt lgkmcnt(1)
	v_add_f32_e32 v6, v5, v6
	v_xor_b32_e32 v5, 4, v7
	v_cmp_lt_i32_e32 vcc, v5, v8
	v_cndmask_b32_e32 v5, v7, v5, vcc
	v_lshlrev_b32_e32 v5, 2, v5
	s_waitcnt lgkmcnt(0)
	v_add_f32_e32 v1, v1, v9
	ds_bpermute_b32 v9, v5, v6
	ds_bpermute_b32 v10, v5, v1
	s_cmp_lg_u64 s[16:17], 0
	s_cselect_b64 s[8:9], -1, 0
	s_cmp_lg_u64 s[18:19], 0
	s_waitcnt lgkmcnt(1)
	v_add_f32_e32 v9, v6, v9
	v_xor_b32_e32 v6, 2, v7
	v_cmp_lt_i32_e32 vcc, v6, v8
	v_cndmask_b32_e32 v6, v7, v6, vcc
	v_lshlrev_b32_e32 v6, 2, v6
	s_waitcnt lgkmcnt(0)
	v_add_f32_e32 v1, v1, v10
	ds_bpermute_b32 v10, v6, v9
	ds_bpermute_b32 v11, v6, v1
	s_cselect_b64 s[6:7], -1, 0
	s_waitcnt lgkmcnt(1)
	v_add_f32_e32 v0, v9, v10
	v_xor_b32_e32 v9, 1, v7
	v_cmp_lt_i32_e32 vcc, v9, v8
	v_cndmask_b32_e32 v7, v7, v9, vcc
	s_waitcnt lgkmcnt(0)
	v_add_f32_e32 v1, v1, v11
	v_lshlrev_b32_e32 v7, 2, v7
	ds_bpermute_b32 v8, v7, v0
	ds_bpermute_b32 v9, v7, v1
	s_waitcnt lgkmcnt(1)
	v_add_f32_e32 v8, v0, v8
	s_waitcnt lgkmcnt(0)
	v_add_f32_e32 v9, v1, v9
	s_and_saveexec_b64 s[10:11], s[2:3]
	s_cbranch_execz .LBB58_18
; %bb.14:
	v_mov_b32_e32 v1, s5
	v_or_b32_e32 v0, s4, v2
	v_lshlrev_b64 v[0:1], 2, v[0:1]
	s_andn2_b64 vcc, exec, s[8:9]
	s_cbranch_vccnz .LBB58_16
; %bb.15:
	v_mov_b32_e32 v11, s17
	v_add_co_u32_e32 v10, vcc, s16, v0
	v_addc_co_u32_e32 v11, vcc, v11, v1, vcc
	global_store_dword v[10:11], v8, off
.LBB58_16:
	s_andn2_b64 vcc, exec, s[6:7]
	s_cbranch_vccnz .LBB58_18
; %bb.17:
	v_mov_b32_e32 v10, s19
	v_add_co_u32_e32 v0, vcc, s18, v0
	v_addc_co_u32_e32 v1, vcc, v10, v1, vcc
	global_store_dword v[0:1], v9, off
.LBB58_18:
	s_or_b64 exec, exec, s[10:11]
	v_cmp_gt_u32_e32 vcc, 48, v2
	s_and_b64 exec, exec, vcc
	s_cbranch_execz .LBB58_42
; %bb.19:
	s_and_saveexec_b64 s[10:11], s[0:1]
	s_cbranch_execz .LBB58_21
; %bb.20:
	v_add_u32_e32 v0, v2, v3
	v_lshl_add_u32 v0, v0, 2, 0
	ds_read_b32 v8, v0 offset:64
	ds_read_b32 v9, v0 offset:4224
.LBB58_21:
	s_or_b64 exec, exec, s[10:11]
	s_waitcnt lgkmcnt(1)
	ds_bpermute_b32 v0, v4, v8
	s_waitcnt lgkmcnt(1)
	ds_bpermute_b32 v1, v4, v9
	s_waitcnt lgkmcnt(1)
	v_add_f32_e32 v0, v8, v0
	s_waitcnt lgkmcnt(0)
	v_add_f32_e32 v1, v9, v1
	ds_bpermute_b32 v8, v5, v0
	ds_bpermute_b32 v9, v5, v1
	s_waitcnt lgkmcnt(1)
	v_add_f32_e32 v0, v0, v8
	s_waitcnt lgkmcnt(0)
	v_add_f32_e32 v1, v1, v9
	ds_bpermute_b32 v8, v6, v0
	;; [unrolled: 6-line block ×3, first 2 shown]
	ds_bpermute_b32 v9, v7, v1
	s_waitcnt lgkmcnt(1)
	v_add_f32_e32 v0, v0, v8
	s_waitcnt lgkmcnt(0)
	v_add_f32_e32 v1, v1, v9
	s_and_saveexec_b64 s[10:11], s[2:3]
	s_cbranch_execz .LBB58_26
; %bb.22:
	s_andn2_b64 vcc, exec, s[8:9]
	s_cbranch_vccnz .LBB58_24
; %bb.23:
	v_mov_b32_e32 v9, s5
	v_add_co_u32_e32 v8, vcc, s4, v2
	v_addc_co_u32_e32 v9, vcc, 0, v9, vcc
	v_lshlrev_b64 v[8:9], 2, v[8:9]
	v_mov_b32_e32 v10, s17
	v_add_co_u32_e32 v8, vcc, s16, v8
	v_addc_co_u32_e32 v9, vcc, v10, v9, vcc
	global_store_dword v[8:9], v0, off offset:64
.LBB58_24:
	s_andn2_b64 vcc, exec, s[6:7]
	s_cbranch_vccnz .LBB58_26
; %bb.25:
	v_mov_b32_e32 v9, s5
	v_add_co_u32_e32 v8, vcc, s4, v2
	v_addc_co_u32_e32 v9, vcc, 0, v9, vcc
	v_lshlrev_b64 v[8:9], 2, v[8:9]
	v_mov_b32_e32 v10, s19
	v_add_co_u32_e32 v8, vcc, s18, v8
	v_addc_co_u32_e32 v9, vcc, v10, v9, vcc
	global_store_dword v[8:9], v1, off offset:64
.LBB58_26:
	s_or_b64 exec, exec, s[10:11]
	v_cmp_gt_u32_e32 vcc, 32, v2
	s_and_b64 exec, exec, vcc
	s_cbranch_execz .LBB58_42
; %bb.27:
	s_and_saveexec_b64 s[10:11], s[0:1]
	s_cbranch_execz .LBB58_29
; %bb.28:
	v_add_u32_e32 v0, v2, v3
	v_lshl_add_u32 v1, v0, 2, 0
	ds_read_b32 v0, v1 offset:128
	ds_read_b32 v1, v1 offset:4288
.LBB58_29:
	s_or_b64 exec, exec, s[10:11]
	s_waitcnt lgkmcnt(1)
	ds_bpermute_b32 v8, v4, v0
	s_waitcnt lgkmcnt(1)
	ds_bpermute_b32 v9, v4, v1
	s_waitcnt lgkmcnt(1)
	v_add_f32_e32 v0, v0, v8
	s_waitcnt lgkmcnt(0)
	v_add_f32_e32 v1, v1, v9
	ds_bpermute_b32 v8, v5, v0
	ds_bpermute_b32 v9, v5, v1
	s_waitcnt lgkmcnt(1)
	v_add_f32_e32 v0, v0, v8
	s_waitcnt lgkmcnt(0)
	v_add_f32_e32 v1, v1, v9
	ds_bpermute_b32 v8, v6, v0
	;; [unrolled: 6-line block ×3, first 2 shown]
	ds_bpermute_b32 v9, v7, v1
	s_waitcnt lgkmcnt(1)
	v_add_f32_e32 v0, v0, v8
	s_waitcnt lgkmcnt(0)
	v_add_f32_e32 v1, v1, v9
	s_and_saveexec_b64 s[10:11], s[2:3]
	s_cbranch_execz .LBB58_34
; %bb.30:
	s_andn2_b64 vcc, exec, s[8:9]
	s_cbranch_vccnz .LBB58_32
; %bb.31:
	v_mov_b32_e32 v9, s5
	v_add_co_u32_e32 v8, vcc, s4, v2
	v_addc_co_u32_e32 v9, vcc, 0, v9, vcc
	v_lshlrev_b64 v[8:9], 2, v[8:9]
	v_mov_b32_e32 v10, s17
	v_add_co_u32_e32 v8, vcc, s16, v8
	v_addc_co_u32_e32 v9, vcc, v10, v9, vcc
	global_store_dword v[8:9], v0, off offset:128
.LBB58_32:
	s_andn2_b64 vcc, exec, s[6:7]
	s_cbranch_vccnz .LBB58_34
; %bb.33:
	v_mov_b32_e32 v9, s5
	v_add_co_u32_e32 v8, vcc, s4, v2
	v_addc_co_u32_e32 v9, vcc, 0, v9, vcc
	v_lshlrev_b64 v[8:9], 2, v[8:9]
	v_mov_b32_e32 v10, s19
	v_add_co_u32_e32 v8, vcc, s18, v8
	v_addc_co_u32_e32 v9, vcc, v10, v9, vcc
	global_store_dword v[8:9], v1, off offset:128
.LBB58_34:
	s_or_b64 exec, exec, s[10:11]
	v_cmp_gt_u32_e32 vcc, 16, v2
	s_and_b64 exec, exec, vcc
	s_cbranch_execz .LBB58_42
; %bb.35:
	s_and_saveexec_b64 s[10:11], s[0:1]
	s_cbranch_execz .LBB58_37
; %bb.36:
	v_add_u32_e32 v0, v2, v3
	v_lshl_add_u32 v1, v0, 2, 0
	ds_read_b32 v0, v1 offset:192
	ds_read_b32 v1, v1 offset:4352
.LBB58_37:
	s_or_b64 exec, exec, s[10:11]
	s_waitcnt lgkmcnt(1)
	ds_bpermute_b32 v3, v4, v0
	s_waitcnt lgkmcnt(1)
	ds_bpermute_b32 v4, v4, v1
	s_waitcnt lgkmcnt(1)
	v_add_f32_e32 v0, v0, v3
	s_waitcnt lgkmcnt(0)
	v_add_f32_e32 v1, v1, v4
	ds_bpermute_b32 v3, v5, v0
	ds_bpermute_b32 v4, v5, v1
	s_waitcnt lgkmcnt(1)
	v_add_f32_e32 v0, v0, v3
	s_waitcnt lgkmcnt(0)
	v_add_f32_e32 v1, v1, v4
	ds_bpermute_b32 v3, v6, v0
	;; [unrolled: 6-line block ×3, first 2 shown]
	ds_bpermute_b32 v1, v7, v0
	s_and_b64 exec, exec, s[2:3]
	s_cbranch_execz .LBB58_42
; %bb.38:
	s_andn2_b64 vcc, exec, s[8:9]
	s_cbranch_vccnz .LBB58_40
; %bb.39:
	s_waitcnt lgkmcnt(1)
	v_add_f32_e32 v5, v3, v4
	v_mov_b32_e32 v4, s5
	v_add_co_u32_e32 v3, vcc, s4, v2
	v_addc_co_u32_e32 v4, vcc, 0, v4, vcc
	v_lshlrev_b64 v[3:4], 2, v[3:4]
	v_mov_b32_e32 v6, s17
	v_add_co_u32_e32 v3, vcc, s16, v3
	v_addc_co_u32_e32 v4, vcc, v6, v4, vcc
	global_store_dword v[3:4], v5, off offset:192
.LBB58_40:
	s_andn2_b64 vcc, exec, s[6:7]
	s_cbranch_vccnz .LBB58_42
; %bb.41:
	s_waitcnt lgkmcnt(0)
	v_add_f32_e32 v3, v0, v1
	v_mov_b32_e32 v1, s5
	v_add_co_u32_e32 v0, vcc, s4, v2
	v_addc_co_u32_e32 v1, vcc, 0, v1, vcc
	v_lshlrev_b64 v[0:1], 2, v[0:1]
	v_mov_b32_e32 v2, s19
	v_add_co_u32_e32 v0, vcc, s18, v0
	v_addc_co_u32_e32 v1, vcc, v2, v1, vcc
	global_store_dword v[0:1], v3, off offset:192
.LBB58_42:
	s_endpgm
	.section	.rodata,"a",@progbits
	.p2align	6, 0x0
	.amdhsa_kernel _ZN2at6native12_GLOBAL__N_135GammaBetaBackwardCUDAKernelTemplateIffLj64ELj16ELj256ELb0ELb1ELb0EEEvllPKT_S5_PKT0_S8_PS3_S9_
		.amdhsa_group_segment_fixed_size 0
		.amdhsa_private_segment_fixed_size 0
		.amdhsa_kernarg_size 320
		.amdhsa_user_sgpr_count 6
		.amdhsa_user_sgpr_private_segment_buffer 1
		.amdhsa_user_sgpr_dispatch_ptr 0
		.amdhsa_user_sgpr_queue_ptr 0
		.amdhsa_user_sgpr_kernarg_segment_ptr 1
		.amdhsa_user_sgpr_dispatch_id 0
		.amdhsa_user_sgpr_flat_scratch_init 0
		.amdhsa_user_sgpr_private_segment_size 0
		.amdhsa_uses_dynamic_stack 0
		.amdhsa_system_sgpr_private_segment_wavefront_offset 0
		.amdhsa_system_sgpr_workgroup_id_x 1
		.amdhsa_system_sgpr_workgroup_id_y 1
		.amdhsa_system_sgpr_workgroup_id_z 0
		.amdhsa_system_sgpr_workgroup_info 0
		.amdhsa_system_vgpr_workitem_id 1
		.amdhsa_next_free_vgpr 63
		.amdhsa_next_free_sgpr 32
		.amdhsa_reserve_vcc 1
		.amdhsa_reserve_flat_scratch 0
		.amdhsa_float_round_mode_32 0
		.amdhsa_float_round_mode_16_64 0
		.amdhsa_float_denorm_mode_32 3
		.amdhsa_float_denorm_mode_16_64 3
		.amdhsa_dx10_clamp 1
		.amdhsa_ieee_mode 1
		.amdhsa_fp16_overflow 0
		.amdhsa_exception_fp_ieee_invalid_op 0
		.amdhsa_exception_fp_denorm_src 0
		.amdhsa_exception_fp_ieee_div_zero 0
		.amdhsa_exception_fp_ieee_overflow 0
		.amdhsa_exception_fp_ieee_underflow 0
		.amdhsa_exception_fp_ieee_inexact 0
		.amdhsa_exception_int_div_zero 0
	.end_amdhsa_kernel
	.section	.text._ZN2at6native12_GLOBAL__N_135GammaBetaBackwardCUDAKernelTemplateIffLj64ELj16ELj256ELb0ELb1ELb0EEEvllPKT_S5_PKT0_S8_PS3_S9_,"axG",@progbits,_ZN2at6native12_GLOBAL__N_135GammaBetaBackwardCUDAKernelTemplateIffLj64ELj16ELj256ELb0ELb1ELb0EEEvllPKT_S5_PKT0_S8_PS3_S9_,comdat
.Lfunc_end58:
	.size	_ZN2at6native12_GLOBAL__N_135GammaBetaBackwardCUDAKernelTemplateIffLj64ELj16ELj256ELb0ELb1ELb0EEEvllPKT_S5_PKT0_S8_PS3_S9_, .Lfunc_end58-_ZN2at6native12_GLOBAL__N_135GammaBetaBackwardCUDAKernelTemplateIffLj64ELj16ELj256ELb0ELb1ELb0EEEvllPKT_S5_PKT0_S8_PS3_S9_
                                        ; -- End function
	.set _ZN2at6native12_GLOBAL__N_135GammaBetaBackwardCUDAKernelTemplateIffLj64ELj16ELj256ELb0ELb1ELb0EEEvllPKT_S5_PKT0_S8_PS3_S9_.num_vgpr, 63
	.set _ZN2at6native12_GLOBAL__N_135GammaBetaBackwardCUDAKernelTemplateIffLj64ELj16ELj256ELb0ELb1ELb0EEEvllPKT_S5_PKT0_S8_PS3_S9_.num_agpr, 0
	.set _ZN2at6native12_GLOBAL__N_135GammaBetaBackwardCUDAKernelTemplateIffLj64ELj16ELj256ELb0ELb1ELb0EEEvllPKT_S5_PKT0_S8_PS3_S9_.numbered_sgpr, 32
	.set _ZN2at6native12_GLOBAL__N_135GammaBetaBackwardCUDAKernelTemplateIffLj64ELj16ELj256ELb0ELb1ELb0EEEvllPKT_S5_PKT0_S8_PS3_S9_.num_named_barrier, 0
	.set _ZN2at6native12_GLOBAL__N_135GammaBetaBackwardCUDAKernelTemplateIffLj64ELj16ELj256ELb0ELb1ELb0EEEvllPKT_S5_PKT0_S8_PS3_S9_.private_seg_size, 0
	.set _ZN2at6native12_GLOBAL__N_135GammaBetaBackwardCUDAKernelTemplateIffLj64ELj16ELj256ELb0ELb1ELb0EEEvllPKT_S5_PKT0_S8_PS3_S9_.uses_vcc, 1
	.set _ZN2at6native12_GLOBAL__N_135GammaBetaBackwardCUDAKernelTemplateIffLj64ELj16ELj256ELb0ELb1ELb0EEEvllPKT_S5_PKT0_S8_PS3_S9_.uses_flat_scratch, 0
	.set _ZN2at6native12_GLOBAL__N_135GammaBetaBackwardCUDAKernelTemplateIffLj64ELj16ELj256ELb0ELb1ELb0EEEvllPKT_S5_PKT0_S8_PS3_S9_.has_dyn_sized_stack, 0
	.set _ZN2at6native12_GLOBAL__N_135GammaBetaBackwardCUDAKernelTemplateIffLj64ELj16ELj256ELb0ELb1ELb0EEEvllPKT_S5_PKT0_S8_PS3_S9_.has_recursion, 0
	.set _ZN2at6native12_GLOBAL__N_135GammaBetaBackwardCUDAKernelTemplateIffLj64ELj16ELj256ELb0ELb1ELb0EEEvllPKT_S5_PKT0_S8_PS3_S9_.has_indirect_call, 0
	.section	.AMDGPU.csdata,"",@progbits
; Kernel info:
; codeLenInByte = 3072
; TotalNumSgprs: 36
; NumVgprs: 63
; ScratchSize: 0
; MemoryBound: 0
; FloatMode: 240
; IeeeMode: 1
; LDSByteSize: 0 bytes/workgroup (compile time only)
; SGPRBlocks: 4
; VGPRBlocks: 15
; NumSGPRsForWavesPerEU: 36
; NumVGPRsForWavesPerEU: 63
; Occupancy: 4
; WaveLimiterHint : 0
; COMPUTE_PGM_RSRC2:SCRATCH_EN: 0
; COMPUTE_PGM_RSRC2:USER_SGPR: 6
; COMPUTE_PGM_RSRC2:TRAP_HANDLER: 0
; COMPUTE_PGM_RSRC2:TGID_X_EN: 1
; COMPUTE_PGM_RSRC2:TGID_Y_EN: 1
; COMPUTE_PGM_RSRC2:TGID_Z_EN: 0
; COMPUTE_PGM_RSRC2:TIDIG_COMP_CNT: 1
	.section	.text._ZN2at6native12_GLOBAL__N_135GammaBetaBackwardCUDAKernelTemplateIffLj64ELj16ELj256ELb0ELb0ELb0EEEvllPKT_S5_PKT0_S8_PS3_S9_,"axG",@progbits,_ZN2at6native12_GLOBAL__N_135GammaBetaBackwardCUDAKernelTemplateIffLj64ELj16ELj256ELb0ELb0ELb0EEEvllPKT_S5_PKT0_S8_PS3_S9_,comdat
	.globl	_ZN2at6native12_GLOBAL__N_135GammaBetaBackwardCUDAKernelTemplateIffLj64ELj16ELj256ELb0ELb0ELb0EEEvllPKT_S5_PKT0_S8_PS3_S9_ ; -- Begin function _ZN2at6native12_GLOBAL__N_135GammaBetaBackwardCUDAKernelTemplateIffLj64ELj16ELj256ELb0ELb0ELb0EEEvllPKT_S5_PKT0_S8_PS3_S9_
	.p2align	8
	.type	_ZN2at6native12_GLOBAL__N_135GammaBetaBackwardCUDAKernelTemplateIffLj64ELj16ELj256ELb0ELb0ELb0EEEvllPKT_S5_PKT0_S8_PS3_S9_,@function
_ZN2at6native12_GLOBAL__N_135GammaBetaBackwardCUDAKernelTemplateIffLj64ELj16ELj256ELb0ELb0ELb0EEEvllPKT_S5_PKT0_S8_PS3_S9_: ; @_ZN2at6native12_GLOBAL__N_135GammaBetaBackwardCUDAKernelTemplateIffLj64ELj16ELj256ELb0ELb0ELb0EEEvllPKT_S5_PKT0_S8_PS3_S9_
; %bb.0:
	s_mov_b64 s[38:39], s[2:3]
	s_mov_b64 s[36:37], s[0:1]
	s_add_u32 s36, s36, s8
	s_addc_u32 s37, s37, 0
	buffer_store_dword v1, off, s[36:39], 0 offset:224 ; 4-byte Folded Spill
	v_mov_b32_e32 v3, 0
	s_load_dwordx8 s[12:19], s[4:5], 0x0
	s_load_dwordx4 s[20:23], s[4:5], 0x20
	v_mov_b32_e32 v1, v3
	v_mov_b32_e32 v15, v0
	buffer_store_dword v0, off, s[36:39], 0 ; 4-byte Folded Spill
	s_nop 0
	buffer_store_dword v1, off, s[36:39], 0 offset:4 ; 4-byte Folded Spill
	s_lshl_b32 s10, s7, 8
	s_lshl_b32 s33, s6, 6
	s_mov_b32 s11, 0
	v_mov_b32_e32 v0, s10
	s_or_b32 s0, s33, 63
	v_mov_b32_e32 v1, s11
	v_mov_b32_e32 v2, s0
	s_waitcnt lgkmcnt(0)
	v_cmp_gt_i64_e64 s[0:1], s[12:13], v[0:1]
	v_cmp_le_i64_e32 vcc, s[14:15], v[2:3]
	v_cndmask_b32_e64 v0, 0, 1, s[0:1]
	v_cmp_ne_u32_e64 s[0:1], 1, v0
	s_cbranch_vccz .LBB59_81
; %bb.1:
	s_and_b64 vcc, exec, s[0:1]
	v_mov_b32_e32 v42, 0
	s_cbranch_vccnz .LBB59_83
; %bb.2:
	buffer_load_dword v0, off, s[36:39], 0 offset:224 ; 4-byte Folded Reload
	v_mov_b32_e32 v6, s17
	v_mov_b32_e32 v8, s19
	s_load_dword s7, s[4:5], 0x44
	s_add_u32 s24, s4, 64
	s_addc_u32 s25, s5, 0
	s_mov_b64 s[30:31], s[10:11]
	v_mov_b32_e32 v59, 0
	s_waitcnt lgkmcnt(0)
	s_lshl_b32 s7, s7, 8
	s_mul_i32 s8, s15, s7
	s_mul_hi_u32 s9, s14, s7
	s_add_i32 s9, s9, s8
	s_mul_i32 s8, s14, s7
	s_lshl_b64 s[26:27], s[8:9], 2
	s_add_u32 s28, s10, 0xff
	s_addc_u32 s29, 0, 0
	buffer_store_dword v15, off, s[36:39], 0 offset:372 ; 4-byte Folded Spill
	s_waitcnt vmcnt(1)
	v_lshlrev_b32_e32 v0, 4, v0
	v_add_co_u32_e32 v2, vcc, s10, v0
	v_addc_co_u32_e64 v3, s[2:3], 0, 0, vcc
	buffer_store_dword v0, off, s[36:39], 0 offset:236 ; 4-byte Folded Spill
	v_mul_lo_u32 v4, s15, v2
	v_mul_lo_u32 v5, s14, v3
	v_mad_u64_u32 v[0:1], s[2:3], s14, v2, 0
	v_add3_u32 v1, v1, v5, v4
	v_lshlrev_b64 v[4:5], 2, v[0:1]
	v_add_co_u32_e32 v7, vcc, s16, v4
	v_addc_co_u32_e32 v6, vcc, v6, v5, vcc
	buffer_store_dword v6, off, s[36:39], 0 offset:12 ; 4-byte Folded Spill
	v_add_co_u32_e32 v6, vcc, 15, v2
	buffer_store_dword v7, off, s[36:39], 0 offset:8 ; 4-byte Folded Spill
	v_addc_co_u32_e32 v7, vcc, 0, v3, vcc
	v_mul_lo_u32 v9, s15, v6
	v_mul_lo_u32 v10, s14, v7
	v_mad_u64_u32 v[6:7], s[2:3], s14, v6, 0
	v_add_co_u32_e32 v4, vcc, s18, v4
	buffer_store_dword v4, off, s[36:39], 0 offset:16 ; 4-byte Folded Spill
	v_addc_co_u32_e32 v4, vcc, v8, v5, vcc
	v_add3_u32 v7, v7, v10, v9
	buffer_store_dword v4, off, s[36:39], 0 offset:20 ; 4-byte Folded Spill
	v_lshlrev_b64 v[4:5], 2, v[6:7]
	v_mov_b32_e32 v6, s17
	v_add_co_u32_e32 v7, vcc, s16, v4
	v_addc_co_u32_e32 v6, vcc, v6, v5, vcc
	buffer_store_dword v6, off, s[36:39], 0 offset:32 ; 4-byte Folded Spill
	v_add_co_u32_e32 v6, vcc, 14, v2
	buffer_store_dword v7, off, s[36:39], 0 offset:24 ; 4-byte Folded Spill
	v_addc_co_u32_e32 v7, vcc, 0, v3, vcc
	v_mul_lo_u32 v9, s15, v6
	v_mul_lo_u32 v10, s14, v7
	v_mad_u64_u32 v[6:7], s[2:3], s14, v6, 0
	v_add_co_u32_e32 v4, vcc, s18, v4
	buffer_store_dword v4, off, s[36:39], 0 offset:40 ; 4-byte Folded Spill
	v_addc_co_u32_e32 v4, vcc, v8, v5, vcc
	v_add3_u32 v7, v7, v10, v9
	buffer_store_dword v4, off, s[36:39], 0 offset:48 ; 4-byte Folded Spill
	v_lshlrev_b64 v[4:5], 2, v[6:7]
	v_mov_b32_e32 v6, s17
	;; [unrolled: 16-line block ×10, first 2 shown]
	v_add_co_u32_e32 v7, vcc, s16, v4
	v_addc_co_u32_e32 v62, vcc, v6, v5, vcc
	v_add_co_u32_e32 v6, vcc, 5, v2
	buffer_store_dword v7, off, s[36:39], 0 offset:220 ; 4-byte Folded Spill
	v_addc_co_u32_e32 v7, vcc, 0, v3, vcc
	v_mul_lo_u32 v9, s15, v6
	v_mul_lo_u32 v10, s14, v7
	v_mad_u64_u32 v[6:7], s[2:3], s14, v6, 0
	v_add_co_u32_e32 v63, vcc, s18, v4
	v_add3_u32 v7, v7, v10, v9
	v_addc_co_u32_e32 v19, vcc, v8, v5, vcc
	v_lshlrev_b64 v[4:5], 2, v[6:7]
	v_mov_b32_e32 v6, s17
	v_add_co_u32_e32 v20, vcc, s16, v4
	v_addc_co_u32_e32 v21, vcc, v6, v5, vcc
	v_mov_b32_e32 v6, s19
	v_add_co_u32_e32 v22, vcc, s18, v4
	v_addc_co_u32_e32 v23, vcc, v6, v5, vcc
	v_add_co_u32_e32 v4, vcc, 4, v2
	v_addc_co_u32_e32 v5, vcc, 0, v3, vcc
	v_mul_lo_u32 v6, s15, v4
	v_mul_lo_u32 v7, s14, v5
	v_mad_u64_u32 v[4:5], s[2:3], s14, v4, 0
	v_add_co_u32_e32 v0, vcc, s14, v0
	v_add3_u32 v5, v5, v7, v6
	v_lshlrev_b64 v[4:5], 2, v[4:5]
	v_mov_b32_e32 v6, s15
	v_addc_co_u32_e32 v1, vcc, v1, v6, vcc
	v_mov_b32_e32 v6, s17
	v_add_co_u32_e32 v24, vcc, s16, v4
	v_addc_co_u32_e32 v25, vcc, v6, v5, vcc
	v_mov_b32_e32 v6, s19
	v_add_co_u32_e32 v26, vcc, s18, v4
	v_addc_co_u32_e32 v27, vcc, v6, v5, vcc
	v_add_co_u32_e32 v4, vcc, 3, v2
	v_addc_co_u32_e32 v5, vcc, 0, v3, vcc
	v_mul_lo_u32 v6, s14, v5
	v_mul_lo_u32 v7, s15, v4
	v_mad_u64_u32 v[4:5], s[2:3], s14, v4, 0
	v_lshlrev_b64 v[0:1], 2, v[0:1]
	v_add3_u32 v5, v5, v6, v7
	v_lshlrev_b64 v[4:5], 2, v[4:5]
	v_mov_b32_e32 v6, s17
	v_add_co_u32_e32 v28, vcc, s16, v4
	v_addc_co_u32_e32 v29, vcc, v6, v5, vcc
	v_mov_b32_e32 v6, s19
	v_add_co_u32_e32 v30, vcc, s18, v4
	v_addc_co_u32_e32 v31, vcc, v6, v5, vcc
	v_add_co_u32_e32 v2, vcc, 2, v2
	v_addc_co_u32_e32 v3, vcc, 0, v3, vcc
	v_mul_lo_u32 v4, s14, v3
	v_mul_lo_u32 v5, s15, v2
	v_mad_u64_u32 v[2:3], s[2:3], s14, v2, 0
	v_add3_u32 v3, v3, v4, v5
	v_lshlrev_b64 v[2:3], 2, v[2:3]
	v_mov_b32_e32 v4, s17
	v_add_co_u32_e32 v32, vcc, s16, v2
	v_addc_co_u32_e32 v33, vcc, v4, v3, vcc
	v_mov_b32_e32 v4, s19
	v_add_co_u32_e32 v34, vcc, s18, v2
	v_addc_co_u32_e32 v36, vcc, v4, v3, vcc
	;; [unrolled: 3-line block ×4, first 2 shown]
	v_mov_b32_e32 v2, 0
	v_mbcnt_lo_u32_b32 v3, -1, 0
	v_add_u32_e32 v0, s33, v15
	v_mov_b32_e32 v1, v2
	v_mbcnt_hi_u32_b32 v3, -1, v3
	v_cmp_gt_i64_e64 s[2:3], s[14:15], v[0:1]
	v_lshlrev_b64 v[0:1], 2, v[0:1]
	v_lshlrev_b32_e32 v3, 2, v3
	v_and_b32_e32 v41, 0x100, v3
	v_mov_b32_e32 v3, 0
	buffer_store_dword v2, off, s[36:39], 0 ; 4-byte Folded Spill
	s_nop 0
	buffer_store_dword v3, off, s[36:39], 0 offset:4 ; 4-byte Folded Spill
.LBB59_3:                               ; =>This Inner Loop Header: Depth=1
	v_mov_b32_e32 v3, s12
	v_mov_b32_e32 v4, s13
	v_cmp_ge_i64_e32 vcc, s[28:29], v[3:4]
	buffer_load_dword v4, off, s[36:39], 0 offset:236 ; 4-byte Folded Reload
	v_mov_b32_e32 v3, s29
	s_and_b64 vcc, exec, vcc
                                        ; implicit-def: $vgpr35
                                        ; implicit-def: $vgpr47
                                        ; implicit-def: $vgpr42
	s_waitcnt vmcnt(0)
	v_add_co_u32_e64 v43, s[8:9], s28, v4
	v_addc_co_u32_e64 v44, s[8:9], 0, v3, s[8:9]
	s_mov_b64 s[8:9], -1
                                        ; implicit-def: $vgpr3_vgpr4_vgpr5_vgpr6_vgpr7_vgpr8_vgpr9_vgpr10_vgpr11_vgpr12_vgpr13_vgpr14_vgpr15_vgpr16_vgpr17_vgpr18
                                        ; implicit-def: $vgpr4
                                        ; implicit-def: $vgpr3
	s_cbranch_vccz .LBB59_41
; %bb.4:                                ;   in Loop: Header=BB59_3 Depth=1
	s_load_dword s8, s[24:25], 0xc
	buffer_load_dword v3, off, s[36:39], 0 offset:372 ; 4-byte Folded Reload
	buffer_load_dword v4, off, s[36:39], 0 offset:224 ; 4-byte Folded Reload
	v_mov_b32_e32 v42, 0
	v_mov_b32_e32 v45, 0
	;; [unrolled: 1-line block ×3, first 2 shown]
	s_waitcnt lgkmcnt(0)
	s_and_b32 s8, s8, 0xffff
	s_waitcnt vmcnt(0)
	v_mad_u32_u24 v3, v4, s8, v3
	v_and_b32_e32 v3, 63, v3
	v_cmp_gt_u32_e32 vcc, 16, v3
	s_and_saveexec_b64 s[8:9], vcc
	s_cbranch_execz .LBB59_8
; %bb.5:                                ;   in Loop: Header=BB59_3 Depth=1
	v_add_co_u32_e32 v3, vcc, v43, v3
	v_addc_co_u32_e32 v4, vcc, 0, v44, vcc
	v_add_co_u32_e32 v3, vcc, 0xffffff01, v3
	v_addc_co_u32_e32 v4, vcc, -1, v4, vcc
	v_cmp_gt_i64_e32 vcc, s[12:13], v[3:4]
	v_mov_b32_e32 v46, 0
	v_mov_b32_e32 v45, 0
	s_and_saveexec_b64 s[34:35], vcc
	s_cbranch_execz .LBB59_7
; %bb.6:                                ;   in Loop: Header=BB59_3 Depth=1
	v_lshlrev_b64 v[3:4], 2, v[3:4]
	v_mov_b32_e32 v6, s23
	v_add_co_u32_e32 v5, vcc, s22, v3
	v_addc_co_u32_e32 v6, vcc, v6, v4, vcc
	v_mov_b32_e32 v7, s21
	v_add_co_u32_e32 v3, vcc, s20, v3
	v_addc_co_u32_e32 v4, vcc, v7, v4, vcc
	global_load_dword v46, v[3:4], off
	global_load_dword v45, v[5:6], off
.LBB59_7:                               ;   in Loop: Header=BB59_3 Depth=1
	s_or_b64 exec, exec, s[34:35]
.LBB59_8:                               ;   in Loop: Header=BB59_3 Depth=1
	s_or_b64 exec, exec, s[8:9]
	v_add_co_u32_e32 v3, vcc, 0xffffff01, v43
	v_addc_co_u32_e32 v4, vcc, -1, v44, vcc
	v_cmp_gt_i64_e32 vcc, s[12:13], v[3:4]
	v_mov_b32_e32 v3, v2
	v_mov_b32_e32 v4, v2
	;; [unrolled: 1-line block ×31, first 2 shown]
	s_and_b64 s[34:35], s[2:3], vcc
	s_and_saveexec_b64 s[8:9], s[34:35]
	s_cbranch_execz .LBB59_10
; %bb.9:                                ;   in Loop: Header=BB59_3 Depth=1
	buffer_load_dword v3, off, s[36:39], 0 offset:8 ; 4-byte Folded Reload
	buffer_load_dword v4, off, s[36:39], 0 offset:12 ; 4-byte Folded Reload
	;; [unrolled: 1-line block ×3, first 2 shown]
	v_mov_b32_e32 v6, v2
	v_mov_b32_e32 v7, v2
	;; [unrolled: 1-line block ×13, first 2 shown]
	s_waitcnt vmcnt(2)
	v_add_co_u32_e32 v3, vcc, v3, v0
	s_waitcnt vmcnt(1)
	v_addc_co_u32_e32 v4, vcc, v4, v1, vcc
	global_load_dword v3, v[3:4], off
	s_nop 0
	buffer_load_dword v4, off, s[36:39], 0 offset:16 ; 4-byte Folded Reload
	s_waitcnt vmcnt(0)
	v_add_co_u32_e32 v4, vcc, v4, v0
	v_addc_co_u32_e32 v5, vcc, v5, v1, vcc
	global_load_dword v42, v[4:5], off
	v_mov_b32_e32 v4, v2
	v_mov_b32_e32 v5, v2
.LBB59_10:                              ;   in Loop: Header=BB59_3 Depth=1
	s_or_b64 exec, exec, s[8:9]
	v_add_co_u32_e32 v47, vcc, 0xffffff02, v43
	v_addc_co_u32_e32 v48, vcc, -1, v44, vcc
	v_cmp_gt_i64_e32 vcc, s[12:13], v[47:48]
	v_mov_b32_e32 v35, 0
	s_and_b64 s[34:35], s[2:3], vcc
	v_mov_b32_e32 v50, 0
	buffer_store_dword v35, off, s[36:39], 0 offset:228 ; 4-byte Folded Spill
	s_and_saveexec_b64 s[8:9], s[34:35]
	s_cbranch_execz .LBB59_12
; %bb.11:                               ;   in Loop: Header=BB59_3 Depth=1
	v_add_co_u32_e32 v47, vcc, v37, v0
	v_addc_co_u32_e32 v48, vcc, v38, v1, vcc
	global_load_dword v4, v[47:48], off
	v_add_co_u32_e32 v47, vcc, v39, v0
	v_addc_co_u32_e32 v48, vcc, v40, v1, vcc
	global_load_dword v50, v[47:48], off
.LBB59_12:                              ;   in Loop: Header=BB59_3 Depth=1
	s_or_b64 exec, exec, s[8:9]
	v_add_co_u32_e32 v47, vcc, 0xffffff03, v43
	v_addc_co_u32_e32 v48, vcc, -1, v44, vcc
	v_cmp_gt_i64_e32 vcc, s[12:13], v[47:48]
	s_and_b64 s[34:35], s[2:3], vcc
	s_and_saveexec_b64 s[8:9], s[34:35]
	s_cbranch_execz .LBB59_14
; %bb.13:                               ;   in Loop: Header=BB59_3 Depth=1
	v_add_co_u32_e32 v47, vcc, v32, v0
	v_addc_co_u32_e32 v48, vcc, v33, v1, vcc
	global_load_dword v5, v[47:48], off
	v_add_co_u32_e32 v47, vcc, v34, v0
	v_addc_co_u32_e32 v48, vcc, v36, v1, vcc
	global_load_dword v35, v[47:48], off
	s_waitcnt vmcnt(0)
	buffer_store_dword v35, off, s[36:39], 0 offset:228 ; 4-byte Folded Spill
.LBB59_14:                              ;   in Loop: Header=BB59_3 Depth=1
	s_or_b64 exec, exec, s[8:9]
	v_add_co_u32_e32 v47, vcc, 0xffffff04, v43
	v_addc_co_u32_e32 v48, vcc, -1, v44, vcc
	v_cmp_gt_i64_e32 vcc, s[12:13], v[47:48]
	v_mov_b32_e32 v35, 0
	s_and_b64 s[34:35], s[2:3], vcc
	v_mov_b32_e32 v52, 0
	buffer_store_dword v35, off, s[36:39], 0 offset:232 ; 4-byte Folded Spill
	s_and_saveexec_b64 s[8:9], s[34:35]
	s_cbranch_execz .LBB59_16
; %bb.15:                               ;   in Loop: Header=BB59_3 Depth=1
	v_add_co_u32_e32 v47, vcc, v28, v0
	v_addc_co_u32_e32 v48, vcc, v29, v1, vcc
	global_load_dword v6, v[47:48], off
	v_add_co_u32_e32 v47, vcc, v30, v0
	v_addc_co_u32_e32 v48, vcc, v31, v1, vcc
	global_load_dword v52, v[47:48], off
.LBB59_16:                              ;   in Loop: Header=BB59_3 Depth=1
	s_or_b64 exec, exec, s[8:9]
	v_add_co_u32_e32 v47, vcc, 0xffffff05, v43
	v_addc_co_u32_e32 v48, vcc, -1, v44, vcc
	v_cmp_gt_i64_e32 vcc, s[12:13], v[47:48]
	s_and_b64 s[34:35], s[2:3], vcc
	s_and_saveexec_b64 s[8:9], s[34:35]
	s_cbranch_execz .LBB59_18
; %bb.17:                               ;   in Loop: Header=BB59_3 Depth=1
	v_add_co_u32_e32 v47, vcc, v24, v0
	v_addc_co_u32_e32 v48, vcc, v25, v1, vcc
	global_load_dword v7, v[47:48], off
	v_add_co_u32_e32 v47, vcc, v26, v0
	v_addc_co_u32_e32 v48, vcc, v27, v1, vcc
	global_load_dword v35, v[47:48], off
	s_waitcnt vmcnt(0)
	buffer_store_dword v35, off, s[36:39], 0 offset:232 ; 4-byte Folded Spill
.LBB59_18:                              ;   in Loop: Header=BB59_3 Depth=1
	s_or_b64 exec, exec, s[8:9]
	v_add_co_u32_e32 v47, vcc, 0xffffff06, v43
	v_addc_co_u32_e32 v48, vcc, -1, v44, vcc
	v_cmp_gt_i64_e32 vcc, s[12:13], v[47:48]
	v_mov_b32_e32 v49, 0
	s_and_b64 s[34:35], s[2:3], vcc
	v_mov_b32_e32 v53, 0
	s_and_saveexec_b64 s[8:9], s[34:35]
	s_cbranch_execz .LBB59_20
; %bb.19:                               ;   in Loop: Header=BB59_3 Depth=1
	v_add_co_u32_e32 v47, vcc, v20, v0
	v_addc_co_u32_e32 v48, vcc, v21, v1, vcc
	global_load_dword v8, v[47:48], off
	v_add_co_u32_e32 v47, vcc, v22, v0
	v_addc_co_u32_e32 v48, vcc, v23, v1, vcc
	global_load_dword v53, v[47:48], off
.LBB59_20:                              ;   in Loop: Header=BB59_3 Depth=1
	s_or_b64 exec, exec, s[8:9]
	v_add_co_u32_e32 v47, vcc, 0xffffff07, v43
	v_addc_co_u32_e32 v48, vcc, -1, v44, vcc
	v_cmp_gt_i64_e32 vcc, s[12:13], v[47:48]
	s_and_b64 s[34:35], s[2:3], vcc
	s_and_saveexec_b64 s[8:9], s[34:35]
	s_cbranch_execz .LBB59_22
; %bb.21:                               ;   in Loop: Header=BB59_3 Depth=1
	buffer_load_dword v9, off, s[36:39], 0 offset:220 ; 4-byte Folded Reload
	s_waitcnt vmcnt(0)
	v_add_co_u32_e32 v47, vcc, v9, v0
	v_addc_co_u32_e32 v48, vcc, v62, v1, vcc
	global_load_dword v9, v[47:48], off
	v_add_co_u32_e32 v47, vcc, v63, v0
	v_addc_co_u32_e32 v48, vcc, v19, v1, vcc
	global_load_dword v49, v[47:48], off
.LBB59_22:                              ;   in Loop: Header=BB59_3 Depth=1
	s_or_b64 exec, exec, s[8:9]
	v_add_co_u32_e32 v47, vcc, 0xffffff08, v43
	v_addc_co_u32_e32 v48, vcc, -1, v44, vcc
	v_cmp_gt_i64_e32 vcc, s[12:13], v[47:48]
	v_mov_b32_e32 v51, 0
	s_and_b64 s[34:35], s[2:3], vcc
	v_mov_b32_e32 v55, 0
	s_and_saveexec_b64 s[8:9], s[34:35]
	s_cbranch_execz .LBB59_24
; %bb.23:                               ;   in Loop: Header=BB59_3 Depth=1
	buffer_load_dword v10, off, s[36:39], 0 offset:204 ; 4-byte Folded Reload
	buffer_load_dword v35, off, s[36:39], 0 offset:212 ; 4-byte Folded Reload
	s_waitcnt vmcnt(1)
	v_add_co_u32_e32 v47, vcc, v10, v0
	buffer_load_dword v10, off, s[36:39], 0 offset:208 ; 4-byte Folded Reload
	s_waitcnt vmcnt(0)
	v_addc_co_u32_e32 v48, vcc, v10, v1, vcc
	global_load_dword v10, v[47:48], off
	v_add_co_u32_e32 v47, vcc, v35, v0
	buffer_load_dword v35, off, s[36:39], 0 offset:216 ; 4-byte Folded Reload
	s_waitcnt vmcnt(0)
	v_addc_co_u32_e32 v48, vcc, v35, v1, vcc
	global_load_dword v55, v[47:48], off
.LBB59_24:                              ;   in Loop: Header=BB59_3 Depth=1
	s_or_b64 exec, exec, s[8:9]
	v_add_co_u32_e32 v47, vcc, 0xffffff09, v43
	v_addc_co_u32_e32 v48, vcc, -1, v44, vcc
	v_cmp_gt_i64_e32 vcc, s[12:13], v[47:48]
	s_and_b64 s[34:35], s[2:3], vcc
	s_and_saveexec_b64 s[8:9], s[34:35]
	s_cbranch_execz .LBB59_26
; %bb.25:                               ;   in Loop: Header=BB59_3 Depth=1
	buffer_load_dword v11, off, s[36:39], 0 offset:188 ; 4-byte Folded Reload
	buffer_load_dword v35, off, s[36:39], 0 offset:196 ; 4-byte Folded Reload
	s_waitcnt vmcnt(1)
	v_add_co_u32_e32 v47, vcc, v11, v0
	buffer_load_dword v11, off, s[36:39], 0 offset:192 ; 4-byte Folded Reload
	s_waitcnt vmcnt(0)
	v_addc_co_u32_e32 v48, vcc, v11, v1, vcc
	global_load_dword v11, v[47:48], off
	v_add_co_u32_e32 v47, vcc, v35, v0
	buffer_load_dword v35, off, s[36:39], 0 offset:200 ; 4-byte Folded Reload
	s_waitcnt vmcnt(0)
	v_addc_co_u32_e32 v48, vcc, v35, v1, vcc
	global_load_dword v51, v[47:48], off
.LBB59_26:                              ;   in Loop: Header=BB59_3 Depth=1
	s_or_b64 exec, exec, s[8:9]
	v_add_co_u32_e32 v47, vcc, 0xffffff0a, v43
	v_addc_co_u32_e32 v48, vcc, -1, v44, vcc
	v_cmp_gt_i64_e32 vcc, s[12:13], v[47:48]
	v_mov_b32_e32 v48, 0
	s_and_b64 s[34:35], s[2:3], vcc
	v_mov_b32_e32 v57, 0
	s_and_saveexec_b64 s[8:9], s[34:35]
	s_cbranch_execz .LBB59_28
; %bb.27:                               ;   in Loop: Header=BB59_3 Depth=1
	buffer_load_dword v12, off, s[36:39], 0 offset:172 ; 4-byte Folded Reload
	buffer_load_dword v35, off, s[36:39], 0 offset:180 ; 4-byte Folded Reload
	s_waitcnt vmcnt(1)
	v_add_co_u32_e32 v56, vcc, v12, v0
	buffer_load_dword v12, off, s[36:39], 0 offset:176 ; 4-byte Folded Reload
	s_waitcnt vmcnt(0)
	v_addc_co_u32_e32 v57, vcc, v12, v1, vcc
	global_load_dword v12, v[56:57], off
	v_add_co_u32_e32 v56, vcc, v35, v0
	buffer_load_dword v35, off, s[36:39], 0 offset:184 ; 4-byte Folded Reload
	s_waitcnt vmcnt(0)
	v_addc_co_u32_e32 v57, vcc, v35, v1, vcc
	global_load_dword v57, v[56:57], off
.LBB59_28:                              ;   in Loop: Header=BB59_3 Depth=1
	s_or_b64 exec, exec, s[8:9]
	v_add_co_u32_e32 v60, vcc, 0xffffff0b, v43
	v_addc_co_u32_e32 v61, vcc, -1, v44, vcc
	v_cmp_gt_i64_e32 vcc, s[12:13], v[60:61]
	s_and_b64 s[34:35], s[2:3], vcc
	s_and_saveexec_b64 s[8:9], s[34:35]
	s_cbranch_execz .LBB59_30
; %bb.29:                               ;   in Loop: Header=BB59_3 Depth=1
	buffer_load_dword v13, off, s[36:39], 0 offset:156 ; 4-byte Folded Reload
	buffer_load_dword v35, off, s[36:39], 0 offset:164 ; 4-byte Folded Reload
	s_waitcnt vmcnt(1)
	v_add_co_u32_e32 v47, vcc, v13, v0
	buffer_load_dword v13, off, s[36:39], 0 offset:160 ; 4-byte Folded Reload
	s_waitcnt vmcnt(0)
	v_addc_co_u32_e32 v48, vcc, v13, v1, vcc
	global_load_dword v13, v[47:48], off
	v_add_co_u32_e32 v47, vcc, v35, v0
	buffer_load_dword v35, off, s[36:39], 0 offset:168 ; 4-byte Folded Reload
	s_waitcnt vmcnt(0)
	v_addc_co_u32_e32 v48, vcc, v35, v1, vcc
	global_load_dword v48, v[47:48], off
.LBB59_30:                              ;   in Loop: Header=BB59_3 Depth=1
	;; [unrolled: 46-line block ×4, first 2 shown]
	s_or_b64 exec, exec, s[8:9]
	v_add_co_u32_e32 v60, vcc, 0xffffff10, v43
	v_addc_co_u32_e32 v61, vcc, -1, v44, vcc
	v_cmp_gt_i64_e32 vcc, s[12:13], v[60:61]
	v_mov_b32_e32 v47, 0
	s_and_b64 s[34:35], s[2:3], vcc
	s_and_saveexec_b64 s[8:9], s[34:35]
	s_cbranch_execz .LBB59_40
; %bb.39:                               ;   in Loop: Header=BB59_3 Depth=1
	buffer_load_dword v18, off, s[36:39], 0 offset:24 ; 4-byte Folded Reload
	buffer_load_dword v47, off, s[36:39], 0 offset:40 ; 4-byte Folded Reload
	s_waitcnt vmcnt(1)
	v_add_co_u32_e32 v60, vcc, v18, v0
	buffer_load_dword v18, off, s[36:39], 0 offset:32 ; 4-byte Folded Reload
	s_waitcnt vmcnt(0)
	v_addc_co_u32_e32 v61, vcc, v18, v1, vcc
	global_load_dword v18, v[60:61], off
	v_add_co_u32_e32 v60, vcc, v47, v0
	buffer_load_dword v47, off, s[36:39], 0 offset:48 ; 4-byte Folded Reload
	s_waitcnt vmcnt(0)
	v_addc_co_u32_e32 v61, vcc, v47, v1, vcc
	global_load_dword v47, v[60:61], off
.LBB59_40:                              ;   in Loop: Header=BB59_3 Depth=1
	s_or_b64 exec, exec, s[8:9]
	s_waitcnt vmcnt(3)
	ds_bpermute_b32 v61, v41, v46
	s_waitcnt vmcnt(2)
	ds_bpermute_b32 v60, v41, v45
	s_mov_b64 s[8:9], 0
	s_waitcnt lgkmcnt(1)
	v_sub_f32_e32 v42, v42, v61
	v_mul_f32_e32 v42, v3, v42
	s_waitcnt lgkmcnt(0)
	v_fma_f32 v42, v42, v60, v59
	buffer_load_dword v60, off, s[36:39], 0 ; 4-byte Folded Reload
	buffer_load_dword v61, off, s[36:39], 0 offset:4 ; 4-byte Folded Reload
	s_waitcnt vmcnt(1)
	ds_bpermute_b32 v60, v41, v45 offset:4
	s_waitcnt vmcnt(0)
	v_add_f32_e32 v3, v61, v3
	ds_bpermute_b32 v61, v41, v46 offset:4
	v_add_f32_e32 v3, v4, v3
	v_add_f32_e32 v3, v5, v3
	;; [unrolled: 1-line block ×4, first 2 shown]
	s_waitcnt lgkmcnt(0)
	v_sub_f32_e32 v50, v50, v61
	v_mul_f32_e32 v50, v4, v50
	v_fmac_f32_e32 v42, v50, v60
	buffer_load_dword v60, off, s[36:39], 0 offset:228 ; 4-byte Folded Reload
	ds_bpermute_b32 v50, v41, v46 offset:8
	ds_bpermute_b32 v4, v41, v45 offset:8
	v_add_f32_e32 v3, v8, v3
	v_add_f32_e32 v3, v9, v3
	;; [unrolled: 1-line block ×10, first 2 shown]
	s_waitcnt vmcnt(0) lgkmcnt(1)
	v_sub_f32_e32 v50, v60, v50
	v_mul_f32_e32 v50, v5, v50
	ds_bpermute_b32 v5, v41, v46 offset:12
	s_waitcnt lgkmcnt(1)
	v_fmac_f32_e32 v42, v50, v4
	ds_bpermute_b32 v4, v41, v45 offset:12
	s_waitcnt lgkmcnt(1)
	v_sub_f32_e32 v5, v52, v5
	v_mul_f32_e32 v5, v6, v5
	buffer_load_dword v6, off, s[36:39], 0 offset:232 ; 4-byte Folded Reload
	s_waitcnt lgkmcnt(0)
	v_fmac_f32_e32 v42, v5, v4
	ds_bpermute_b32 v5, v41, v46 offset:16
	ds_bpermute_b32 v4, v41, v45 offset:16
	s_waitcnt vmcnt(0) lgkmcnt(1)
	v_sub_f32_e32 v5, v6, v5
	v_mul_f32_e32 v5, v7, v5
	s_waitcnt lgkmcnt(0)
	v_fmac_f32_e32 v42, v5, v4
	ds_bpermute_b32 v5, v41, v46 offset:20
	ds_bpermute_b32 v4, v41, v45 offset:20
	s_waitcnt lgkmcnt(1)
	v_sub_f32_e32 v5, v53, v5
	v_mul_f32_e32 v5, v8, v5
	s_waitcnt lgkmcnt(0)
	v_fmac_f32_e32 v42, v5, v4
	ds_bpermute_b32 v5, v41, v46 offset:24
	ds_bpermute_b32 v4, v41, v45 offset:24
	s_waitcnt lgkmcnt(1)
	;; [unrolled: 7-line block ×9, first 2 shown]
	v_sub_f32_e32 v5, v35, v5
	v_mul_f32_e32 v5, v16, v5
	s_waitcnt lgkmcnt(0)
	v_fmac_f32_e32 v42, v5, v4
	ds_bpermute_b32 v5, v41, v46 offset:56
	ds_bpermute_b32 v4, v41, v45 offset:56
	;; [unrolled: 1-line block ×3, first 2 shown]
	s_waitcnt lgkmcnt(2)
	v_sub_f32_e32 v5, v56, v5
	v_mul_f32_e32 v5, v17, v5
	s_waitcnt lgkmcnt(1)
	v_fmac_f32_e32 v42, v5, v4
	ds_bpermute_b32 v4, v41, v46 offset:60
.LBB59_41:                              ;   in Loop: Header=BB59_3 Depth=1
	s_and_b64 vcc, exec, s[8:9]
	s_cbranch_vccz .LBB59_77
; %bb.42:                               ;   in Loop: Header=BB59_3 Depth=1
	s_load_dword s8, s[24:25], 0x0
	v_mov_b32_e32 v46, 0
	s_waitcnt lgkmcnt(0)
	v_mov_b32_e32 v35, 0
	v_mov_b32_e32 v45, 0
	s_cmp_lt_u32 s6, s8
	s_cselect_b32 s8, 12, 18
	s_add_u32 s8, s24, s8
	s_addc_u32 s9, s25, 0
	global_load_ushort v3, v2, s[8:9]
	buffer_load_dword v4, off, s[36:39], 0 offset:372 ; 4-byte Folded Reload
	buffer_load_dword v5, off, s[36:39], 0 offset:224 ; 4-byte Folded Reload
	s_waitcnt vmcnt(0)
	v_mad_u32_u24 v3, v5, v3, v4
	v_and_b32_e32 v3, 63, v3
	v_cmp_gt_u32_e32 vcc, 16, v3
	s_and_saveexec_b64 s[8:9], vcc
	s_cbranch_execz .LBB59_46
; %bb.43:                               ;   in Loop: Header=BB59_3 Depth=1
	v_add_co_u32_e32 v3, vcc, v43, v3
	v_addc_co_u32_e32 v4, vcc, 0, v44, vcc
	v_add_co_u32_e32 v3, vcc, 0xffffff01, v3
	v_addc_co_u32_e32 v4, vcc, -1, v4, vcc
	v_cmp_gt_i64_e32 vcc, s[12:13], v[3:4]
	v_mov_b32_e32 v45, 0
	v_mov_b32_e32 v35, 0
	s_and_saveexec_b64 s[34:35], vcc
	s_cbranch_execz .LBB59_45
; %bb.44:                               ;   in Loop: Header=BB59_3 Depth=1
	v_lshlrev_b64 v[3:4], 2, v[3:4]
	v_mov_b32_e32 v6, s23
	v_add_co_u32_e32 v5, vcc, s22, v3
	v_addc_co_u32_e32 v6, vcc, v6, v4, vcc
	v_mov_b32_e32 v7, s21
	v_add_co_u32_e32 v3, vcc, s20, v3
	v_addc_co_u32_e32 v4, vcc, v7, v4, vcc
	global_load_dword v45, v[3:4], off
	global_load_dword v35, v[5:6], off
.LBB59_45:                              ;   in Loop: Header=BB59_3 Depth=1
	s_or_b64 exec, exec, s[34:35]
.LBB59_46:                              ;   in Loop: Header=BB59_3 Depth=1
	s_or_b64 exec, exec, s[8:9]
	v_mov_b32_e32 v3, v2
	v_mov_b32_e32 v4, v2
	;; [unrolled: 1-line block ×31, first 2 shown]
	s_and_saveexec_b64 s[8:9], s[2:3]
	s_cbranch_execz .LBB59_48
; %bb.47:                               ;   in Loop: Header=BB59_3 Depth=1
	buffer_load_dword v3, off, s[36:39], 0 offset:8 ; 4-byte Folded Reload
	buffer_load_dword v4, off, s[36:39], 0 offset:12 ; 4-byte Folded Reload
	;; [unrolled: 1-line block ×3, first 2 shown]
	v_mov_b32_e32 v6, v2
	v_mov_b32_e32 v7, v2
	;; [unrolled: 1-line block ×13, first 2 shown]
	s_waitcnt vmcnt(2)
	v_add_co_u32_e32 v3, vcc, v3, v0
	s_waitcnt vmcnt(1)
	v_addc_co_u32_e32 v4, vcc, v4, v1, vcc
	global_load_dword v3, v[3:4], off
	s_nop 0
	buffer_load_dword v4, off, s[36:39], 0 offset:16 ; 4-byte Folded Reload
	s_waitcnt vmcnt(0)
	v_add_co_u32_e32 v4, vcc, v4, v0
	v_addc_co_u32_e32 v5, vcc, v5, v1, vcc
	global_load_dword v46, v[4:5], off
	v_mov_b32_e32 v4, v2
	v_mov_b32_e32 v5, v2
.LBB59_48:                              ;   in Loop: Header=BB59_3 Depth=1
	s_or_b64 exec, exec, s[8:9]
	v_mov_b32_e32 v54, 0
	v_mov_b32_e32 v58, 0
	s_and_saveexec_b64 s[8:9], s[2:3]
	s_cbranch_execz .LBB59_50
; %bb.49:                               ;   in Loop: Header=BB59_3 Depth=1
	v_add_co_u32_e32 v42, vcc, v37, v0
	v_addc_co_u32_e32 v43, vcc, v38, v1, vcc
	global_load_dword v4, v[42:43], off
	v_add_co_u32_e32 v42, vcc, v39, v0
	v_addc_co_u32_e32 v43, vcc, v40, v1, vcc
	global_load_dword v58, v[42:43], off
.LBB59_50:                              ;   in Loop: Header=BB59_3 Depth=1
	s_or_b64 exec, exec, s[8:9]
	s_and_saveexec_b64 s[8:9], s[2:3]
	s_cbranch_execz .LBB59_52
; %bb.51:                               ;   in Loop: Header=BB59_3 Depth=1
	v_add_co_u32_e32 v42, vcc, v32, v0
	v_addc_co_u32_e32 v43, vcc, v33, v1, vcc
	global_load_dword v5, v[42:43], off
	v_add_co_u32_e32 v42, vcc, v34, v0
	v_addc_co_u32_e32 v43, vcc, v36, v1, vcc
	global_load_dword v54, v[42:43], off
.LBB59_52:                              ;   in Loop: Header=BB59_3 Depth=1
	s_or_b64 exec, exec, s[8:9]
	v_mov_b32_e32 v52, 0
	v_mov_b32_e32 v57, 0
	s_and_saveexec_b64 s[8:9], s[2:3]
	s_cbranch_execz .LBB59_54
; %bb.53:                               ;   in Loop: Header=BB59_3 Depth=1
	v_add_co_u32_e32 v42, vcc, v28, v0
	v_addc_co_u32_e32 v43, vcc, v29, v1, vcc
	global_load_dword v6, v[42:43], off
	v_add_co_u32_e32 v42, vcc, v30, v0
	v_addc_co_u32_e32 v43, vcc, v31, v1, vcc
	global_load_dword v57, v[42:43], off
.LBB59_54:                              ;   in Loop: Header=BB59_3 Depth=1
	s_or_b64 exec, exec, s[8:9]
	s_and_saveexec_b64 s[8:9], s[2:3]
	s_cbranch_execz .LBB59_56
; %bb.55:                               ;   in Loop: Header=BB59_3 Depth=1
	v_add_co_u32_e32 v42, vcc, v24, v0
	v_addc_co_u32_e32 v43, vcc, v25, v1, vcc
	global_load_dword v7, v[42:43], off
	v_add_co_u32_e32 v42, vcc, v26, v0
	v_addc_co_u32_e32 v43, vcc, v27, v1, vcc
	global_load_dword v52, v[42:43], off
.LBB59_56:                              ;   in Loop: Header=BB59_3 Depth=1
	s_or_b64 exec, exec, s[8:9]
	v_mov_b32_e32 v50, 0
	v_mov_b32_e32 v56, 0
	s_and_saveexec_b64 s[8:9], s[2:3]
	s_cbranch_execz .LBB59_58
; %bb.57:                               ;   in Loop: Header=BB59_3 Depth=1
	v_add_co_u32_e32 v42, vcc, v20, v0
	v_addc_co_u32_e32 v43, vcc, v21, v1, vcc
	global_load_dword v8, v[42:43], off
	v_add_co_u32_e32 v42, vcc, v22, v0
	v_addc_co_u32_e32 v43, vcc, v23, v1, vcc
	global_load_dword v56, v[42:43], off
.LBB59_58:                              ;   in Loop: Header=BB59_3 Depth=1
	s_or_b64 exec, exec, s[8:9]
	s_and_saveexec_b64 s[8:9], s[2:3]
	s_cbranch_execz .LBB59_60
; %bb.59:                               ;   in Loop: Header=BB59_3 Depth=1
	buffer_load_dword v9, off, s[36:39], 0 offset:220 ; 4-byte Folded Reload
	s_waitcnt vmcnt(0)
	v_add_co_u32_e32 v42, vcc, v9, v0
	v_addc_co_u32_e32 v43, vcc, v62, v1, vcc
	global_load_dword v9, v[42:43], off
	v_add_co_u32_e32 v42, vcc, v63, v0
	v_addc_co_u32_e32 v43, vcc, v19, v1, vcc
	global_load_dword v50, v[42:43], off
.LBB59_60:                              ;   in Loop: Header=BB59_3 Depth=1
	s_or_b64 exec, exec, s[8:9]
	v_mov_b32_e32 v48, 0
	v_mov_b32_e32 v55, 0
	s_and_saveexec_b64 s[8:9], s[2:3]
	s_cbranch_execz .LBB59_62
; %bb.61:                               ;   in Loop: Header=BB59_3 Depth=1
	buffer_load_dword v10, off, s[36:39], 0 offset:204 ; 4-byte Folded Reload
	s_waitcnt vmcnt(0)
	v_add_co_u32_e32 v42, vcc, v10, v0
	buffer_load_dword v10, off, s[36:39], 0 offset:208 ; 4-byte Folded Reload
	s_waitcnt vmcnt(0)
	v_addc_co_u32_e32 v43, vcc, v10, v1, vcc
	global_load_dword v10, v[42:43], off
	s_nop 0
	buffer_load_dword v42, off, s[36:39], 0 offset:212 ; 4-byte Folded Reload
	buffer_load_dword v43, off, s[36:39], 0 offset:216 ; 4-byte Folded Reload
	s_waitcnt vmcnt(1)
	v_add_co_u32_e32 v42, vcc, v42, v0
	s_waitcnt vmcnt(0)
	v_addc_co_u32_e32 v43, vcc, v43, v1, vcc
	global_load_dword v55, v[42:43], off
.LBB59_62:                              ;   in Loop: Header=BB59_3 Depth=1
	s_or_b64 exec, exec, s[8:9]
	s_and_saveexec_b64 s[8:9], s[2:3]
	s_cbranch_execz .LBB59_64
; %bb.63:                               ;   in Loop: Header=BB59_3 Depth=1
	buffer_load_dword v11, off, s[36:39], 0 offset:188 ; 4-byte Folded Reload
	s_waitcnt vmcnt(0)
	v_add_co_u32_e32 v42, vcc, v11, v0
	buffer_load_dword v11, off, s[36:39], 0 offset:192 ; 4-byte Folded Reload
	s_waitcnt vmcnt(0)
	v_addc_co_u32_e32 v43, vcc, v11, v1, vcc
	global_load_dword v11, v[42:43], off
	s_nop 0
	buffer_load_dword v42, off, s[36:39], 0 offset:196 ; 4-byte Folded Reload
	buffer_load_dword v43, off, s[36:39], 0 offset:200 ; 4-byte Folded Reload
	s_waitcnt vmcnt(1)
	v_add_co_u32_e32 v42, vcc, v42, v0
	s_waitcnt vmcnt(0)
	v_addc_co_u32_e32 v43, vcc, v43, v1, vcc
	global_load_dword v48, v[42:43], off
.LBB59_64:                              ;   in Loop: Header=BB59_3 Depth=1
	s_or_b64 exec, exec, s[8:9]
	v_mov_b32_e32 v44, 0
	v_mov_b32_e32 v53, 0
	s_and_saveexec_b64 s[8:9], s[2:3]
	s_cbranch_execz .LBB59_66
; %bb.65:                               ;   in Loop: Header=BB59_3 Depth=1
	buffer_load_dword v12, off, s[36:39], 0 offset:172 ; 4-byte Folded Reload
	s_waitcnt vmcnt(0)
	v_add_co_u32_e32 v42, vcc, v12, v0
	buffer_load_dword v12, off, s[36:39], 0 offset:176 ; 4-byte Folded Reload
	s_waitcnt vmcnt(0)
	v_addc_co_u32_e32 v43, vcc, v12, v1, vcc
	global_load_dword v12, v[42:43], off
	s_nop 0
	buffer_load_dword v42, off, s[36:39], 0 offset:180 ; 4-byte Folded Reload
	buffer_load_dword v43, off, s[36:39], 0 offset:184 ; 4-byte Folded Reload
	s_waitcnt vmcnt(1)
	v_add_co_u32_e32 v42, vcc, v42, v0
	s_waitcnt vmcnt(0)
	v_addc_co_u32_e32 v43, vcc, v43, v1, vcc
	global_load_dword v53, v[42:43], off
.LBB59_66:                              ;   in Loop: Header=BB59_3 Depth=1
	s_or_b64 exec, exec, s[8:9]
	s_and_saveexec_b64 s[8:9], s[2:3]
	s_cbranch_execz .LBB59_68
; %bb.67:                               ;   in Loop: Header=BB59_3 Depth=1
	buffer_load_dword v13, off, s[36:39], 0 offset:156 ; 4-byte Folded Reload
	s_waitcnt vmcnt(0)
	v_add_co_u32_e32 v42, vcc, v13, v0
	buffer_load_dword v13, off, s[36:39], 0 offset:160 ; 4-byte Folded Reload
	s_waitcnt vmcnt(0)
	v_addc_co_u32_e32 v43, vcc, v13, v1, vcc
	global_load_dword v13, v[42:43], off
	s_nop 0
	buffer_load_dword v42, off, s[36:39], 0 offset:164 ; 4-byte Folded Reload
	buffer_load_dword v43, off, s[36:39], 0 offset:168 ; 4-byte Folded Reload
	s_waitcnt vmcnt(1)
	v_add_co_u32_e32 v42, vcc, v42, v0
	s_waitcnt vmcnt(0)
	v_addc_co_u32_e32 v43, vcc, v43, v1, vcc
	global_load_dword v44, v[42:43], off
.LBB59_68:                              ;   in Loop: Header=BB59_3 Depth=1
	s_or_b64 exec, exec, s[8:9]
	v_mov_b32_e32 v42, 0
	v_mov_b32_e32 v51, 0
	s_and_saveexec_b64 s[8:9], s[2:3]
	s_cbranch_execz .LBB59_70
; %bb.69:                               ;   in Loop: Header=BB59_3 Depth=1
	buffer_load_dword v14, off, s[36:39], 0 offset:140 ; 4-byte Folded Reload
	buffer_load_dword v43, off, s[36:39], 0 offset:148 ; 4-byte Folded Reload
	s_waitcnt vmcnt(1)
	v_add_co_u32_e32 v60, vcc, v14, v0
	buffer_load_dword v14, off, s[36:39], 0 offset:144 ; 4-byte Folded Reload
	s_waitcnt vmcnt(0)
	v_addc_co_u32_e32 v61, vcc, v14, v1, vcc
	global_load_dword v14, v[60:61], off
	v_add_co_u32_e32 v60, vcc, v43, v0
	buffer_load_dword v43, off, s[36:39], 0 offset:152 ; 4-byte Folded Reload
	s_waitcnt vmcnt(0)
	v_addc_co_u32_e32 v61, vcc, v43, v1, vcc
	global_load_dword v51, v[60:61], off
.LBB59_70:                              ;   in Loop: Header=BB59_3 Depth=1
	s_or_b64 exec, exec, s[8:9]
	s_and_saveexec_b64 s[8:9], s[2:3]
	s_cbranch_execz .LBB59_72
; %bb.71:                               ;   in Loop: Header=BB59_3 Depth=1
	buffer_load_dword v15, off, s[36:39], 0 offset:120 ; 4-byte Folded Reload
	s_waitcnt vmcnt(0)
	v_add_co_u32_e32 v42, vcc, v15, v0
	buffer_load_dword v15, off, s[36:39], 0 offset:128 ; 4-byte Folded Reload
	s_waitcnt vmcnt(0)
	v_addc_co_u32_e32 v43, vcc, v15, v1, vcc
	global_load_dword v15, v[42:43], off
	s_nop 0
	buffer_load_dword v42, off, s[36:39], 0 offset:132 ; 4-byte Folded Reload
	buffer_load_dword v43, off, s[36:39], 0 offset:136 ; 4-byte Folded Reload
	s_waitcnt vmcnt(1)
	v_add_co_u32_e32 v42, vcc, v42, v0
	s_waitcnt vmcnt(0)
	v_addc_co_u32_e32 v43, vcc, v43, v1, vcc
	global_load_dword v42, v[42:43], off
.LBB59_72:                              ;   in Loop: Header=BB59_3 Depth=1
	s_or_b64 exec, exec, s[8:9]
	v_mov_b32_e32 v43, 0
	v_mov_b32_e32 v49, 0
	s_and_saveexec_b64 s[8:9], s[2:3]
	s_cbranch_execnz .LBB59_79
; %bb.73:                               ;   in Loop: Header=BB59_3 Depth=1
	s_or_b64 exec, exec, s[8:9]
	s_and_saveexec_b64 s[8:9], s[2:3]
	s_cbranch_execnz .LBB59_80
.LBB59_74:                              ;   in Loop: Header=BB59_3 Depth=1
	s_or_b64 exec, exec, s[8:9]
	v_mov_b32_e32 v47, 0
	s_and_saveexec_b64 s[8:9], s[2:3]
	s_cbranch_execz .LBB59_76
.LBB59_75:                              ;   in Loop: Header=BB59_3 Depth=1
	buffer_load_dword v18, off, s[36:39], 0 offset:24 ; 4-byte Folded Reload
	buffer_load_dword v47, off, s[36:39], 0 offset:40 ; 4-byte Folded Reload
	s_waitcnt vmcnt(1)
	v_add_co_u32_e32 v60, vcc, v18, v0
	buffer_load_dword v18, off, s[36:39], 0 offset:32 ; 4-byte Folded Reload
	s_waitcnt vmcnt(0)
	v_addc_co_u32_e32 v61, vcc, v18, v1, vcc
	global_load_dword v18, v[60:61], off
	v_add_co_u32_e32 v60, vcc, v47, v0
	buffer_load_dword v47, off, s[36:39], 0 offset:48 ; 4-byte Folded Reload
	s_waitcnt vmcnt(0)
	v_addc_co_u32_e32 v61, vcc, v47, v1, vcc
	global_load_dword v47, v[60:61], off
.LBB59_76:                              ;   in Loop: Header=BB59_3 Depth=1
	s_or_b64 exec, exec, s[8:9]
	s_waitcnt vmcnt(1)
	ds_bpermute_b32 v61, v41, v45
	s_waitcnt vmcnt(0)
	ds_bpermute_b32 v60, v41, v35
	s_waitcnt lgkmcnt(1)
	v_sub_f32_e32 v46, v46, v61
	v_mul_f32_e32 v46, v3, v46
	s_waitcnt lgkmcnt(0)
	v_fmac_f32_e32 v59, v46, v60
	buffer_load_dword v60, off, s[36:39], 0 ; 4-byte Folded Reload
	buffer_load_dword v61, off, s[36:39], 0 offset:4 ; 4-byte Folded Reload
	s_waitcnt vmcnt(1)
	ds_bpermute_b32 v60, v41, v45 offset:4
	ds_bpermute_b32 v46, v41, v35 offset:4
	s_waitcnt lgkmcnt(1)
	v_sub_f32_e32 v58, v58, v60
	v_mul_f32_e32 v58, v4, v58
	s_waitcnt lgkmcnt(0)
	v_fmac_f32_e32 v59, v58, v46
	ds_bpermute_b32 v46, v41, v45 offset:8
	s_waitcnt lgkmcnt(0)
	v_sub_f32_e32 v46, v54, v46
	v_mul_f32_e32 v46, v5, v46
	s_waitcnt vmcnt(0)
	v_add_f32_e32 v3, v61, v3
	v_add_f32_e32 v3, v4, v3
	ds_bpermute_b32 v4, v41, v35 offset:8
	v_add_f32_e32 v3, v5, v3
	ds_bpermute_b32 v5, v41, v45 offset:12
	v_add_f32_e32 v3, v6, v3
	v_add_f32_e32 v3, v7, v3
	s_waitcnt lgkmcnt(1)
	v_fmac_f32_e32 v59, v46, v4
	ds_bpermute_b32 v4, v41, v35 offset:12
	s_waitcnt lgkmcnt(1)
	v_sub_f32_e32 v5, v57, v5
	v_mul_f32_e32 v5, v6, v5
	v_add_f32_e32 v3, v8, v3
	v_add_f32_e32 v3, v9, v3
	s_waitcnt lgkmcnt(0)
	v_fmac_f32_e32 v59, v5, v4
	ds_bpermute_b32 v5, v41, v45 offset:16
	ds_bpermute_b32 v4, v41, v35 offset:16
	v_add_f32_e32 v3, v10, v3
	v_add_f32_e32 v3, v11, v3
	;; [unrolled: 1-line block ×3, first 2 shown]
	s_waitcnt lgkmcnt(1)
	v_sub_f32_e32 v5, v52, v5
	v_mul_f32_e32 v5, v7, v5
	s_waitcnt lgkmcnt(0)
	v_fmac_f32_e32 v59, v5, v4
	ds_bpermute_b32 v5, v41, v45 offset:20
	ds_bpermute_b32 v4, v41, v35 offset:20
	v_add_f32_e32 v3, v13, v3
	v_add_f32_e32 v3, v14, v3
	;; [unrolled: 1-line block ×3, first 2 shown]
	s_waitcnt lgkmcnt(1)
	v_sub_f32_e32 v5, v56, v5
	v_mul_f32_e32 v5, v8, v5
	s_waitcnt lgkmcnt(0)
	v_fmac_f32_e32 v59, v5, v4
	ds_bpermute_b32 v5, v41, v45 offset:24
	ds_bpermute_b32 v4, v41, v35 offset:24
	v_add_f32_e32 v3, v16, v3
	v_add_f32_e32 v3, v17, v3
	s_waitcnt lgkmcnt(1)
	v_sub_f32_e32 v5, v50, v5
	v_mul_f32_e32 v5, v9, v5
	s_waitcnt lgkmcnt(0)
	v_fmac_f32_e32 v59, v5, v4
	ds_bpermute_b32 v5, v41, v45 offset:28
	ds_bpermute_b32 v4, v41, v35 offset:28
	s_waitcnt lgkmcnt(1)
	v_sub_f32_e32 v5, v55, v5
	v_mul_f32_e32 v5, v10, v5
	s_waitcnt lgkmcnt(0)
	v_fmac_f32_e32 v59, v5, v4
	ds_bpermute_b32 v5, v41, v45 offset:32
	ds_bpermute_b32 v4, v41, v35 offset:32
	;; [unrolled: 7-line block ×8, first 2 shown]
	ds_bpermute_b32 v35, v41, v35 offset:60
	s_waitcnt lgkmcnt(2)
	v_sub_f32_e32 v5, v43, v5
	v_mul_f32_e32 v5, v17, v5
	s_waitcnt lgkmcnt(1)
	v_fmac_f32_e32 v59, v5, v4
	ds_bpermute_b32 v4, v41, v45 offset:60
	v_mov_b32_e32 v42, v59
.LBB59_77:                              ;   in Loop: Header=BB59_3 Depth=1
	v_add_f32_e32 v3, v3, v18
	buffer_store_dword v2, off, s[36:39], 0 ; 4-byte Folded Spill
	s_nop 0
	buffer_store_dword v3, off, s[36:39], 0 offset:4 ; 4-byte Folded Spill
	s_waitcnt lgkmcnt(0)
	v_sub_f32_e32 v4, v47, v4
	buffer_load_dword v3, off, s[36:39], 0 offset:8 ; 4-byte Folded Reload
	v_mul_f32_e32 v4, v18, v4
	v_fmac_f32_e32 v42, v4, v35
	buffer_load_dword v4, off, s[36:39], 0 offset:12 ; 4-byte Folded Reload
	s_add_u32 s30, s30, s7
	s_addc_u32 s31, s31, 0
	s_add_u32 s28, s28, s7
	s_addc_u32 s29, s29, 0
	s_waitcnt vmcnt(1)
	v_add_co_u32_e32 v3, vcc, s26, v3
	buffer_store_dword v3, off, s[36:39], 0 offset:8 ; 4-byte Folded Spill
	v_mov_b32_e32 v3, s27
	s_waitcnt vmcnt(1)
	v_addc_co_u32_e32 v4, vcc, v4, v3, vcc
	buffer_store_dword v4, off, s[36:39], 0 offset:12 ; 4-byte Folded Spill
	buffer_load_dword v4, off, s[36:39], 0 offset:16 ; 4-byte Folded Reload
	s_waitcnt vmcnt(0)
	v_add_co_u32_e32 v4, vcc, s26, v4
	buffer_store_dword v4, off, s[36:39], 0 offset:16 ; 4-byte Folded Spill
	buffer_load_dword v4, off, s[36:39], 0 offset:20 ; 4-byte Folded Reload
	s_waitcnt vmcnt(0)
	v_addc_co_u32_e32 v4, vcc, v4, v3, vcc
	buffer_store_dword v4, off, s[36:39], 0 offset:20 ; 4-byte Folded Spill
	buffer_load_dword v4, off, s[36:39], 0 offset:24 ; 4-byte Folded Reload
	s_waitcnt vmcnt(0)
	v_add_co_u32_e32 v4, vcc, s26, v4
	buffer_store_dword v4, off, s[36:39], 0 offset:24 ; 4-byte Folded Spill
	buffer_load_dword v4, off, s[36:39], 0 offset:32 ; 4-byte Folded Reload
	;; [unrolled: 8-line block ×19, first 2 shown]
	s_waitcnt vmcnt(0)
	v_addc_co_u32_e32 v4, vcc, v4, v3, vcc
	buffer_store_dword v4, off, s[36:39], 0 offset:216 ; 4-byte Folded Spill
	buffer_load_dword v4, off, s[36:39], 0 offset:220 ; 4-byte Folded Reload
	s_waitcnt vmcnt(0)
	v_add_co_u32_e32 v4, vcc, s26, v4
	v_addc_co_u32_e32 v62, vcc, v62, v3, vcc
	v_add_co_u32_e32 v63, vcc, s26, v63
	v_addc_co_u32_e32 v19, vcc, v19, v3, vcc
	;; [unrolled: 2-line block ×11, first 2 shown]
	v_add_co_u32_e32 v39, vcc, s26, v39
	buffer_store_dword v4, off, s[36:39], 0 offset:220 ; 4-byte Folded Spill
	v_addc_co_u32_e32 v40, vcc, v40, v3, vcc
	v_mov_b32_e32 v3, s12
	v_mov_b32_e32 v4, s13
	v_cmp_lt_i64_e32 vcc, s[30:31], v[3:4]
	s_cbranch_vccz .LBB59_82
; %bb.78:                               ;   in Loop: Header=BB59_3 Depth=1
	v_mov_b32_e32 v59, v42
	s_branch .LBB59_3
.LBB59_79:                              ;   in Loop: Header=BB59_3 Depth=1
	buffer_load_dword v16, off, s[36:39], 0 offset:88 ; 4-byte Folded Reload
	buffer_load_dword v47, off, s[36:39], 0 offset:104 ; 4-byte Folded Reload
	s_waitcnt vmcnt(1)
	v_add_co_u32_e32 v60, vcc, v16, v0
	buffer_load_dword v16, off, s[36:39], 0 offset:96 ; 4-byte Folded Reload
	s_waitcnt vmcnt(0)
	v_addc_co_u32_e32 v61, vcc, v16, v1, vcc
	global_load_dword v16, v[60:61], off
	v_add_co_u32_e32 v60, vcc, v47, v0
	buffer_load_dword v47, off, s[36:39], 0 offset:112 ; 4-byte Folded Reload
	s_waitcnt vmcnt(0)
	v_addc_co_u32_e32 v61, vcc, v47, v1, vcc
	global_load_dword v49, v[60:61], off
	s_or_b64 exec, exec, s[8:9]
	s_and_saveexec_b64 s[8:9], s[2:3]
	s_cbranch_execz .LBB59_74
.LBB59_80:                              ;   in Loop: Header=BB59_3 Depth=1
	buffer_load_dword v17, off, s[36:39], 0 offset:56 ; 4-byte Folded Reload
	buffer_load_dword v43, off, s[36:39], 0 offset:72 ; 4-byte Folded Reload
	s_waitcnt vmcnt(1)
	v_add_co_u32_e32 v60, vcc, v17, v0
	buffer_load_dword v17, off, s[36:39], 0 offset:64 ; 4-byte Folded Reload
	s_waitcnt vmcnt(0)
	v_addc_co_u32_e32 v61, vcc, v17, v1, vcc
	global_load_dword v17, v[60:61], off
	v_add_co_u32_e32 v60, vcc, v43, v0
	buffer_load_dword v43, off, s[36:39], 0 offset:80 ; 4-byte Folded Reload
	s_waitcnt vmcnt(0)
	v_addc_co_u32_e32 v61, vcc, v43, v1, vcc
	global_load_dword v43, v[60:61], off
	s_or_b64 exec, exec, s[8:9]
	v_mov_b32_e32 v47, 0
	s_and_saveexec_b64 s[8:9], s[2:3]
	s_cbranch_execnz .LBB59_75
	s_branch .LBB59_76
.LBB59_81:
                                        ; implicit-def: $vgpr1
	buffer_store_dword v0, off, s[36:39], 0 ; 4-byte Folded Spill
	s_nop 0
	buffer_store_dword v1, off, s[36:39], 0 offset:4 ; 4-byte Folded Spill
                                        ; implicit-def: $vgpr42
	s_branch .LBB59_84
.LBB59_82:
	buffer_load_dword v15, off, s[36:39], 0 offset:372 ; 4-byte Folded Reload
.LBB59_83:
	s_cbranch_execnz .LBB59_132
.LBB59_84:
	v_mov_b32_e32 v1, 0
	s_and_b64 vcc, exec, s[0:1]
	v_mov_b32_e32 v42, 0
	buffer_store_dword v0, off, s[36:39], 0 ; 4-byte Folded Spill
	s_nop 0
	buffer_store_dword v1, off, s[36:39], 0 offset:4 ; 4-byte Folded Spill
	s_cbranch_vccnz .LBB59_132
; %bb.85:
	buffer_load_dword v5, off, s[36:39], 0 offset:224 ; 4-byte Folded Reload
	s_load_dword s7, s[4:5], 0x44
	s_add_u32 s2, s4, 64
	s_addc_u32 s3, s5, 0
	v_mov_b32_e32 v4, s17
	v_mov_b32_e32 v12, s15
	s_waitcnt lgkmcnt(0)
	s_lshl_b32 s7, s7, 8
	v_mov_b32_e32 v42, 0
	s_waitcnt vmcnt(0)
	v_lshlrev_b32_e32 v0, 4, v5
	v_add_co_u32_e32 v8, vcc, s10, v0
	v_addc_co_u32_e64 v9, s[0:1], 0, 0, vcc
	buffer_store_dword v0, off, s[36:39], 0 offset:428 ; 4-byte Folded Spill
	v_mul_lo_u32 v2, s15, v8
	v_mul_lo_u32 v3, s14, v9
	v_mad_u64_u32 v[0:1], s[0:1], s14, v8, 0
	s_mul_i32 s0, s15, s7
	s_mul_hi_u32 s1, s14, s7
	v_add3_u32 v1, v1, v3, v2
	v_lshlrev_b64 v[2:3], 2, v[0:1]
	s_add_i32 s1, s1, s0
	v_add_co_u32_e32 v6, vcc, s16, v2
	v_addc_co_u32_e32 v4, vcc, v4, v3, vcc
	s_mul_i32 s0, s14, s7
	buffer_store_dword v4, off, s[36:39], 0 offset:12 ; 4-byte Folded Spill
	s_lshl_b64 s[8:9], s[0:1], 2
	v_mov_b32_e32 v4, s19
	v_add_co_u32_e32 v2, vcc, s18, v2
	buffer_store_dword v2, off, s[36:39], 0 offset:16 ; 4-byte Folded Spill
	v_addc_co_u32_e32 v2, vcc, v4, v3, vcc
	s_add_u32 s24, s10, 0xff
	buffer_store_dword v2, off, s[36:39], 0 offset:20 ; 4-byte Folded Spill
	s_addc_u32 s25, 0, 0
	v_lshlrev_b32_e32 v2, 6, v5
	s_lshl_b64 s[0:1], s[10:11], 2
	v_mov_b32_e32 v3, s1
	v_add_co_u32_e32 v10, vcc, s0, v2
	v_addc_co_u32_e32 v11, vcc, 0, v3, vcc
	buffer_store_dword v6, off, s[36:39], 0 offset:8 ; 4-byte Folded Spill
	v_add_co_u32_e32 v4, vcc, 4, v10
	v_mov_b32_e32 v2, s16
	v_mov_b32_e32 v6, s18
	v_addc_co_u32_e32 v5, vcc, 0, v11, vcc
	v_mov_b32_e32 v3, s17
	v_mov_b32_e32 v7, s19
	v_mad_u64_u32 v[16:17], s[0:1], s14, v4, v[2:3]
	v_mul_lo_u32 v13, s14, v5
	v_mul_lo_u32 v14, s15, v4
	v_mad_u64_u32 v[18:19], s[0:1], s14, v4, v[6:7]
	v_add_co_u32_e32 v4, vcc, s14, v0
	v_addc_co_u32_e32 v5, vcc, v1, v12, vcc
	v_add3_u32 v17, v14, v17, v13
	v_add3_u32 v19, v14, v19, v13
	v_add_co_u32_e32 v0, vcc, 8, v10
	buffer_store_dword v16, off, s[36:39], 0 offset:24 ; 4-byte Folded Spill
	s_nop 0
	buffer_store_dword v17, off, s[36:39], 0 offset:28 ; 4-byte Folded Spill
	buffer_store_dword v18, off, s[36:39], 0 offset:32 ; 4-byte Folded Spill
	s_nop 0
	buffer_store_dword v19, off, s[36:39], 0 offset:36 ; 4-byte Folded Spill
	v_addc_co_u32_e32 v1, vcc, 0, v11, vcc
	v_mul_lo_u32 v1, s14, v1
	v_mul_lo_u32 v12, s15, v0
	v_mad_u64_u32 v[16:17], s[0:1], s14, v0, v[2:3]
	v_mad_u64_u32 v[18:19], s[0:1], s14, v0, v[6:7]
	v_add_co_u32_e32 v0, vcc, 12, v10
	v_addc_co_u32_e32 v13, vcc, 0, v11, vcc
	v_mul_lo_u32 v13, s14, v13
	v_mul_lo_u32 v14, s15, v0
	v_mad_u64_u32 v[20:21], s[0:1], s14, v0, v[2:3]
	v_mad_u64_u32 v[22:23], s[0:1], s14, v0, v[6:7]
	v_add3_u32 v17, v12, v17, v1
	v_add3_u32 v19, v12, v19, v1
	v_add_co_u32_e32 v0, vcc, 16, v10
	buffer_store_dword v16, off, s[36:39], 0 offset:40 ; 4-byte Folded Spill
	s_nop 0
	buffer_store_dword v17, off, s[36:39], 0 offset:44 ; 4-byte Folded Spill
	buffer_store_dword v18, off, s[36:39], 0 offset:48 ; 4-byte Folded Spill
	s_nop 0
	buffer_store_dword v19, off, s[36:39], 0 offset:52 ; 4-byte Folded Spill
	v_addc_co_u32_e32 v1, vcc, 0, v11, vcc
	v_mul_lo_u32 v1, s14, v1
	v_mul_lo_u32 v12, s15, v0
	v_mad_u64_u32 v[16:17], s[0:1], s14, v0, v[2:3]
	v_mad_u64_u32 v[18:19], s[0:1], s14, v0, v[6:7]
	v_add3_u32 v21, v14, v21, v13
	v_add_co_u32_e32 v0, vcc, 20, v10
	buffer_store_dword v20, off, s[36:39], 0 offset:56 ; 4-byte Folded Spill
	s_nop 0
	buffer_store_dword v21, off, s[36:39], 0 offset:60 ; 4-byte Folded Spill
	v_add3_u32 v23, v14, v23, v13
	v_addc_co_u32_e32 v13, vcc, 0, v11, vcc
	buffer_store_dword v22, off, s[36:39], 0 offset:64 ; 4-byte Folded Spill
	s_nop 0
	buffer_store_dword v23, off, s[36:39], 0 offset:68 ; 4-byte Folded Spill
	v_mul_lo_u32 v13, s14, v13
	v_mul_lo_u32 v14, s15, v0
	v_mad_u64_u32 v[20:21], s[0:1], s14, v0, v[2:3]
	v_mad_u64_u32 v[22:23], s[0:1], s14, v0, v[6:7]
	v_add3_u32 v17, v12, v17, v1
	v_add3_u32 v19, v12, v19, v1
	v_add_co_u32_e32 v0, vcc, 24, v10
	buffer_store_dword v16, off, s[36:39], 0 offset:72 ; 4-byte Folded Spill
	s_nop 0
	buffer_store_dword v17, off, s[36:39], 0 offset:76 ; 4-byte Folded Spill
	buffer_store_dword v18, off, s[36:39], 0 offset:80 ; 4-byte Folded Spill
	s_nop 0
	buffer_store_dword v19, off, s[36:39], 0 offset:84 ; 4-byte Folded Spill
	v_addc_co_u32_e32 v1, vcc, 0, v11, vcc
	v_mul_lo_u32 v1, s14, v1
	v_mul_lo_u32 v12, s15, v0
	v_mad_u64_u32 v[16:17], s[0:1], s14, v0, v[2:3]
	v_mad_u64_u32 v[18:19], s[0:1], s14, v0, v[6:7]
	v_add3_u32 v21, v14, v21, v13
	v_add_co_u32_e32 v0, vcc, 28, v10
	buffer_store_dword v20, off, s[36:39], 0 offset:88 ; 4-byte Folded Spill
	s_nop 0
	buffer_store_dword v21, off, s[36:39], 0 offset:92 ; 4-byte Folded Spill
	v_add3_u32 v23, v14, v23, v13
	v_addc_co_u32_e32 v13, vcc, 0, v11, vcc
	v_mul_lo_u32 v13, s14, v13
	v_mul_lo_u32 v14, s15, v0
	v_mad_u64_u32 v[20:21], s[0:1], s14, v0, v[2:3]
	v_mad_u64_u32 v[46:47], s[0:1], s14, v0, v[6:7]
	v_add_co_u32_e32 v0, vcc, 32, v10
	v_add3_u32 v17, v12, v17, v1
	v_add3_u32 v19, v12, v19, v1
	v_addc_co_u32_e32 v1, vcc, 0, v11, vcc
	v_mul_lo_u32 v1, s14, v1
	v_mul_lo_u32 v12, s15, v0
	v_mad_u64_u32 v[48:49], s[0:1], s14, v0, v[2:3]
	v_mad_u64_u32 v[50:51], s[0:1], s14, v0, v[6:7]
	v_add_co_u32_e32 v0, vcc, 36, v10
	v_add3_u32 v21, v14, v21, v13
	v_add3_u32 v47, v14, v47, v13
	v_addc_co_u32_e32 v13, vcc, 0, v11, vcc
	v_mul_lo_u32 v14, s15, v0
	v_mad_u64_u32 v[52:53], s[0:1], s14, v0, v[2:3]
	v_mad_u64_u32 v[54:55], s[0:1], s14, v0, v[6:7]
	v_add_co_u32_e32 v0, vcc, 40, v10
	v_add3_u32 v49, v12, v49, v1
	v_add3_u32 v51, v12, v51, v1
	v_addc_co_u32_e32 v1, vcc, 0, v11, vcc
	v_mul_lo_u32 v1, s14, v1
	v_mul_lo_u32 v12, s15, v0
	v_mad_u64_u32 v[56:57], s[0:1], s14, v0, v[2:3]
	v_mad_u64_u32 v[58:59], s[0:1], s14, v0, v[6:7]
	v_add_co_u32_e32 v0, vcc, 44, v10
	v_add3_u32 v57, v12, v57, v1
	v_add3_u32 v59, v12, v59, v1
	v_addc_co_u32_e32 v1, vcc, 0, v11, vcc
	v_mul_lo_u32 v1, s14, v1
	v_mul_lo_u32 v12, s15, v0
	v_mad_u64_u32 v[60:61], s[0:1], s14, v0, v[2:3]
	v_mad_u64_u32 v[62:63], s[0:1], s14, v0, v[6:7]
	v_mul_lo_u32 v13, s14, v13
	v_add_co_u32_e32 v0, vcc, 48, v10
	buffer_store_dword v22, off, s[36:39], 0 offset:96 ; 4-byte Folded Spill
	s_nop 0
	buffer_store_dword v23, off, s[36:39], 0 offset:100 ; 4-byte Folded Spill
	buffer_store_dword v16, off, s[36:39], 0 offset:104 ; 4-byte Folded Spill
	s_nop 0
	buffer_store_dword v17, off, s[36:39], 0 offset:108 ; 4-byte Folded Spill
	;; [unrolled: 3-line block ×4, first 2 shown]
	v_add3_u32 v61, v12, v61, v1
	v_add3_u32 v63, v12, v63, v1
	v_addc_co_u32_e32 v1, vcc, 0, v11, vcc
	v_add3_u32 v53, v14, v53, v13
	v_add3_u32 v55, v14, v55, v13
	v_mul_lo_u32 v12, s14, v1
	v_mul_lo_u32 v13, s15, v0
	v_mad_u64_u32 v[19:20], s[0:1], s14, v0, v[2:3]
	v_mad_u64_u32 v[0:1], s[0:1], s14, v0, v[6:7]
	v_add3_u32 v20, v13, v20, v12
	v_add3_u32 v1, v13, v1, v12
	v_add_co_u32_e32 v12, vcc, 52, v10
	v_addc_co_u32_e32 v13, vcc, 0, v11, vcc
	v_mul_lo_u32 v13, s14, v13
	v_mul_lo_u32 v14, s15, v12
	v_mad_u64_u32 v[21:22], s[0:1], s14, v12, v[2:3]
	v_mad_u64_u32 v[23:24], s[0:1], s14, v12, v[6:7]
	v_add_co_u32_e32 v12, vcc, 56, v10
	v_add3_u32 v22, v14, v22, v13
	v_add3_u32 v24, v14, v24, v13
	v_addc_co_u32_e32 v13, vcc, 0, v11, vcc
	v_add_co_u32_e32 v10, vcc, 60, v10
	v_addc_co_u32_e32 v11, vcc, 0, v11, vcc
	v_mad_u64_u32 v[25:26], s[0:1], s14, v12, v[2:3]
	v_mad_u64_u32 v[29:30], s[0:1], s14, v10, v[2:3]
	v_mul_lo_u32 v2, s14, v11
	v_mad_u64_u32 v[31:32], s[0:1], s14, v10, v[6:7]
	v_mul_lo_u32 v3, s15, v10
	;; [unrolled: 2-line block ×3, first 2 shown]
	v_add3_u32 v30, v3, v30, v2
	v_add3_u32 v32, v3, v32, v2
	v_add_co_u32_e32 v2, vcc, 15, v8
	v_addc_co_u32_e32 v3, vcc, 0, v9, vcc
	v_mul_lo_u32 v6, s14, v3
	v_mul_lo_u32 v7, s15, v2
	v_mad_u64_u32 v[2:3], s[0:1], s14, v2, 0
	v_mul_lo_u32 v14, s15, v12
	v_add3_u32 v3, v3, v6, v7
	v_lshlrev_b64 v[2:3], 2, v[2:3]
	v_mov_b32_e32 v6, s17
	v_add_co_u32_e32 v7, vcc, s16, v2
	v_addc_co_u32_e32 v6, vcc, v6, v3, vcc
	buffer_store_dword v6, off, s[36:39], 0 offset:132 ; 4-byte Folded Spill
	v_mov_b32_e32 v6, s19
	v_add_co_u32_e32 v2, vcc, s18, v2
	buffer_store_dword v2, off, s[36:39], 0 offset:136 ; 4-byte Folded Spill
	v_addc_co_u32_e32 v2, vcc, v6, v3, vcc
	buffer_store_dword v2, off, s[36:39], 0 offset:140 ; 4-byte Folded Spill
	v_add_co_u32_e32 v2, vcc, 14, v8
	v_addc_co_u32_e32 v3, vcc, 0, v9, vcc
	buffer_store_dword v7, off, s[36:39], 0 offset:128 ; 4-byte Folded Spill
	v_mul_lo_u32 v6, s14, v3
	v_mul_lo_u32 v7, s15, v2
	v_mad_u64_u32 v[2:3], s[0:1], s14, v2, 0
	v_add3_u32 v26, v14, v26, v13
	v_add3_u32 v28, v14, v28, v13
	v_add3_u32 v3, v3, v6, v7
	v_lshlrev_b64 v[2:3], 2, v[2:3]
	v_mov_b32_e32 v6, s17
	v_add_co_u32_e32 v7, vcc, s16, v2
	v_addc_co_u32_e32 v6, vcc, v6, v3, vcc
	buffer_store_dword v6, off, s[36:39], 0 offset:148 ; 4-byte Folded Spill
	v_mov_b32_e32 v6, s19
	v_add_co_u32_e32 v2, vcc, s18, v2
	buffer_store_dword v2, off, s[36:39], 0 offset:152 ; 4-byte Folded Spill
	v_addc_co_u32_e32 v2, vcc, v6, v3, vcc
	buffer_store_dword v2, off, s[36:39], 0 offset:156 ; 4-byte Folded Spill
	v_add_co_u32_e32 v2, vcc, 13, v8
	v_addc_co_u32_e32 v3, vcc, 0, v9, vcc
	buffer_store_dword v7, off, s[36:39], 0 offset:144 ; 4-byte Folded Spill
	v_mul_lo_u32 v6, s14, v3
	v_mul_lo_u32 v7, s15, v2
	v_mad_u64_u32 v[2:3], s[0:1], s14, v2, 0
	v_add3_u32 v3, v3, v6, v7
	v_lshlrev_b64 v[2:3], 2, v[2:3]
	v_mov_b32_e32 v6, s17
	v_add_co_u32_e32 v7, vcc, s16, v2
	v_addc_co_u32_e32 v6, vcc, v6, v3, vcc
	buffer_store_dword v6, off, s[36:39], 0 offset:164 ; 4-byte Folded Spill
	v_mov_b32_e32 v6, s19
	v_add_co_u32_e32 v2, vcc, s18, v2
	buffer_store_dword v2, off, s[36:39], 0 offset:168 ; 4-byte Folded Spill
	v_addc_co_u32_e32 v2, vcc, v6, v3, vcc
	buffer_store_dword v2, off, s[36:39], 0 offset:172 ; 4-byte Folded Spill
	v_add_co_u32_e32 v2, vcc, 12, v8
	v_addc_co_u32_e32 v3, vcc, 0, v9, vcc
	buffer_store_dword v7, off, s[36:39], 0 offset:160 ; 4-byte Folded Spill
	v_mul_lo_u32 v6, s14, v3
	v_mul_lo_u32 v7, s15, v2
	v_mad_u64_u32 v[2:3], s[0:1], s14, v2, 0
	v_add3_u32 v3, v3, v6, v7
	;; [unrolled: 17-line block ×12, first 2 shown]
	v_lshlrev_b64 v[2:3], 2, v[2:3]
	v_mov_b32_e32 v6, s17
	v_add_co_u32_e32 v7, vcc, s16, v2
	v_addc_co_u32_e32 v6, vcc, v6, v3, vcc
	buffer_store_dword v6, off, s[36:39], 0 offset:344 ; 4-byte Folded Spill
	v_mov_b32_e32 v6, s19
	v_add_co_u32_e32 v2, vcc, s18, v2
	buffer_store_dword v2, off, s[36:39], 0 offset:348 ; 4-byte Folded Spill
	v_addc_co_u32_e32 v2, vcc, v6, v3, vcc
	buffer_store_dword v2, off, s[36:39], 0 offset:352 ; 4-byte Folded Spill
	v_lshlrev_b64 v[2:3], 2, v[4:5]
	v_mov_b32_e32 v4, s17
	v_add_co_u32_e32 v5, vcc, s16, v2
	v_addc_co_u32_e32 v4, vcc, v4, v3, vcc
	buffer_store_dword v4, off, s[36:39], 0 offset:360 ; 4-byte Folded Spill
	v_mov_b32_e32 v4, s19
	v_add_co_u32_e32 v2, vcc, s18, v2
	buffer_store_dword v2, off, s[36:39], 0 offset:364 ; 4-byte Folded Spill
	v_addc_co_u32_e32 v2, vcc, v4, v3, vcc
	buffer_store_dword v7, off, s[36:39], 0 offset:340 ; 4-byte Folded Spill
	buffer_store_dword v5, off, s[36:39], 0 offset:356 ; 4-byte Folded Spill
	;; [unrolled: 1-line block ×4, first 2 shown]
	v_mov_b32_e32 v2, 0
	v_add_u32_e32 v3, s33, v15
	v_mov_b32_e32 v4, v2
	v_lshlrev_b64 v[33:34], 2, v[3:4]
	v_mbcnt_lo_u32_b32 v3, -1, 0
	v_mbcnt_hi_u32_b32 v3, -1, v3
	v_lshlrev_b32_e32 v3, 2, v3
	v_and_b32_e32 v36, 0x100, v3
	v_mov_b32_e32 v3, 0
	buffer_store_dword v2, off, s[36:39], 0 ; 4-byte Folded Spill
	s_nop 0
	buffer_store_dword v3, off, s[36:39], 0 offset:4 ; 4-byte Folded Spill
	s_branch .LBB59_89
.LBB59_86:                              ;   in Loop: Header=BB59_89 Depth=1
	s_or_b64 exec, exec, s[16:17]
.LBB59_87:                              ;   in Loop: Header=BB59_89 Depth=1
	s_or_b64 exec, exec, s[0:1]
	buffer_load_dword v3, off, s[36:39], 0 offset:16 ; 4-byte Folded Reload
	buffer_load_dword v4, off, s[36:39], 0 offset:20 ; 4-byte Folded Reload
	s_waitcnt vmcnt(1)
	v_add_co_u32_e32 v3, vcc, v3, v33
	s_waitcnt vmcnt(0)
	v_addc_co_u32_e32 v4, vcc, v4, v34, vcc
	global_load_dword v3, v[3:4], off
	s_nop 0
	buffer_load_dword v4, off, s[36:39], 0 offset:8 ; 4-byte Folded Reload
	s_waitcnt vmcnt(0)
	v_add_co_u32_e32 v7, vcc, v4, v33
	buffer_load_dword v4, off, s[36:39], 0 offset:12 ; 4-byte Folded Reload
	s_waitcnt vmcnt(0)
	v_addc_co_u32_e32 v8, vcc, v4, v34, vcc
	global_load_dword v4, v[7:8], off
	s_nop 0
	buffer_load_dword v8, off, s[36:39], 0  ; 4-byte Folded Reload
	buffer_load_dword v9, off, s[36:39], 0 offset:4 ; 4-byte Folded Reload
	ds_bpermute_b32 v7, v36, v6
	s_waitcnt lgkmcnt(0)
	v_sub_f32_e32 v7, v3, v7
	s_waitcnt vmcnt(0)
	v_add_f32_e32 v3, v9, v4
	v_mul_f32_e32 v4, v4, v7
	ds_bpermute_b32 v7, v36, v5
	s_waitcnt lgkmcnt(0)
	v_fmac_f32_e32 v42, v4, v7
	buffer_load_dword v7, off, s[36:39], 0 offset:32 ; 4-byte Folded Reload
	buffer_load_dword v8, off, s[36:39], 0 offset:36 ; 4-byte Folded Reload
	s_waitcnt vmcnt(1)
	v_add_co_u32_e32 v7, vcc, v7, v33
	s_waitcnt vmcnt(0)
	v_addc_co_u32_e32 v8, vcc, v8, v34, vcc
	global_load_dword v9, v[7:8], off
	s_nop 0
	buffer_load_dword v7, off, s[36:39], 0 offset:24 ; 4-byte Folded Reload
	buffer_load_dword v8, off, s[36:39], 0 offset:28 ; 4-byte Folded Reload
	s_waitcnt vmcnt(1)
	v_add_co_u32_e32 v7, vcc, v7, v33
	s_waitcnt vmcnt(0)
	v_addc_co_u32_e32 v8, vcc, v8, v34, vcc
	global_load_dword v4, v[7:8], off
	ds_bpermute_b32 v7, v36, v6 offset:4
	ds_bpermute_b32 v8, v36, v5 offset:4
	s_waitcnt lgkmcnt(1)
	v_sub_f32_e32 v7, v9, v7
	s_waitcnt vmcnt(0)
	v_mul_f32_e32 v7, v4, v7
	s_waitcnt lgkmcnt(0)
	v_fmac_f32_e32 v42, v7, v8
	buffer_load_dword v7, off, s[36:39], 0 offset:48 ; 4-byte Folded Reload
	buffer_load_dword v8, off, s[36:39], 0 offset:52 ; 4-byte Folded Reload
	v_add_f32_e32 v3, v3, v4
	ds_bpermute_b32 v4, v36, v6 offset:60
	s_waitcnt vmcnt(1)
	v_add_co_u32_e32 v7, vcc, v7, v33
	s_waitcnt vmcnt(0)
	v_addc_co_u32_e32 v8, vcc, v8, v34, vcc
	global_load_dword v9, v[7:8], off
	s_nop 0
	buffer_load_dword v7, off, s[36:39], 0 offset:40 ; 4-byte Folded Reload
	buffer_load_dword v8, off, s[36:39], 0 offset:44 ; 4-byte Folded Reload
	s_waitcnt vmcnt(1)
	v_add_co_u32_e32 v7, vcc, v7, v33
	s_waitcnt vmcnt(0)
	v_addc_co_u32_e32 v8, vcc, v8, v34, vcc
	global_load_dword v7, v[7:8], off
	ds_bpermute_b32 v8, v36, v6 offset:8
	s_waitcnt lgkmcnt(0)
	v_sub_f32_e32 v8, v9, v8
	ds_bpermute_b32 v9, v36, v5 offset:8
	s_waitcnt vmcnt(0)
	v_mul_f32_e32 v8, v7, v8
	s_waitcnt lgkmcnt(0)
	v_fmac_f32_e32 v42, v8, v9
	buffer_load_dword v8, off, s[36:39], 0 offset:64 ; 4-byte Folded Reload
	buffer_load_dword v9, off, s[36:39], 0 offset:68 ; 4-byte Folded Reload
	v_add_f32_e32 v3, v3, v7
	s_waitcnt vmcnt(1)
	v_add_co_u32_e32 v8, vcc, v8, v33
	s_waitcnt vmcnt(0)
	v_addc_co_u32_e32 v9, vcc, v9, v34, vcc
	global_load_dword v10, v[8:9], off
	s_nop 0
	buffer_load_dword v8, off, s[36:39], 0 offset:56 ; 4-byte Folded Reload
	buffer_load_dword v9, off, s[36:39], 0 offset:60 ; 4-byte Folded Reload
	s_waitcnt vmcnt(1)
	v_add_co_u32_e32 v8, vcc, v8, v33
	s_waitcnt vmcnt(0)
	v_addc_co_u32_e32 v9, vcc, v9, v34, vcc
	global_load_dword v8, v[8:9], off
	ds_bpermute_b32 v9, v36, v6 offset:12
	s_waitcnt lgkmcnt(0)
	v_sub_f32_e32 v9, v10, v9
	ds_bpermute_b32 v10, v36, v5 offset:12
	s_waitcnt vmcnt(0)
	v_mul_f32_e32 v9, v8, v9
	s_waitcnt lgkmcnt(0)
	v_fmac_f32_e32 v42, v9, v10
	buffer_load_dword v9, off, s[36:39], 0 offset:80 ; 4-byte Folded Reload
	buffer_load_dword v10, off, s[36:39], 0 offset:84 ; 4-byte Folded Reload
	v_add_f32_e32 v3, v3, v8
	;; [unrolled: 24-line block ×4, first 2 shown]
	s_waitcnt vmcnt(1)
	v_add_co_u32_e32 v11, vcc, v11, v33
	s_waitcnt vmcnt(0)
	v_addc_co_u32_e32 v12, vcc, v12, v34, vcc
	global_load_dword v13, v[11:12], off
	s_nop 0
	buffer_load_dword v11, off, s[36:39], 0 offset:104 ; 4-byte Folded Reload
	buffer_load_dword v12, off, s[36:39], 0 offset:108 ; 4-byte Folded Reload
	s_waitcnt vmcnt(1)
	v_add_co_u32_e32 v11, vcc, v11, v33
	s_waitcnt vmcnt(0)
	v_addc_co_u32_e32 v12, vcc, v12, v34, vcc
	global_load_dword v11, v[11:12], off
	ds_bpermute_b32 v12, v36, v6 offset:24
	s_waitcnt lgkmcnt(0)
	v_sub_f32_e32 v12, v13, v12
	ds_bpermute_b32 v13, v36, v5 offset:24
	s_waitcnt vmcnt(0)
	v_mul_f32_e32 v12, v11, v12
	s_waitcnt lgkmcnt(0)
	v_fmac_f32_e32 v42, v12, v13
	v_add_co_u32_e32 v12, vcc, v46, v33
	v_addc_co_u32_e32 v13, vcc, v47, v34, vcc
	global_load_dword v14, v[12:13], off
	s_nop 0
	buffer_load_dword v12, off, s[36:39], 0 offset:120 ; 4-byte Folded Reload
	buffer_load_dword v13, off, s[36:39], 0 offset:124 ; 4-byte Folded Reload
	v_add_f32_e32 v3, v3, v11
	s_waitcnt vmcnt(1)
	v_add_co_u32_e32 v12, vcc, v12, v33
	s_waitcnt vmcnt(0)
	v_addc_co_u32_e32 v13, vcc, v13, v34, vcc
	global_load_dword v15, v[12:13], off
	ds_bpermute_b32 v12, v36, v6 offset:28
	ds_bpermute_b32 v13, v36, v5 offset:28
	s_waitcnt lgkmcnt(1)
	v_sub_f32_e32 v12, v14, v12
	s_waitcnt vmcnt(0)
	v_mul_f32_e32 v12, v15, v12
	s_waitcnt lgkmcnt(0)
	v_fmac_f32_e32 v42, v12, v13
	v_add_co_u32_e32 v12, vcc, v50, v33
	v_addc_co_u32_e32 v13, vcc, v51, v34, vcc
	global_load_dword v14, v[12:13], off
	v_add_co_u32_e32 v12, vcc, v48, v33
	v_addc_co_u32_e32 v13, vcc, v49, v34, vcc
	global_load_dword v16, v[12:13], off
	ds_bpermute_b32 v12, v36, v6 offset:32
	ds_bpermute_b32 v13, v36, v5 offset:32
	v_add_f32_e32 v3, v3, v15
	s_waitcnt vmcnt(1) lgkmcnt(1)
	v_sub_f32_e32 v12, v14, v12
	s_waitcnt vmcnt(0)
	v_mul_f32_e32 v12, v16, v12
	s_waitcnt lgkmcnt(0)
	v_fmac_f32_e32 v42, v12, v13
	v_add_co_u32_e32 v12, vcc, v54, v33
	v_addc_co_u32_e32 v13, vcc, v55, v34, vcc
	global_load_dword v14, v[12:13], off
	v_add_co_u32_e32 v12, vcc, v52, v33
	v_addc_co_u32_e32 v13, vcc, v53, v34, vcc
	global_load_dword v17, v[12:13], off
	ds_bpermute_b32 v12, v36, v6 offset:36
	ds_bpermute_b32 v13, v36, v5 offset:36
	v_add_f32_e32 v3, v3, v16
	s_waitcnt vmcnt(1) lgkmcnt(1)
	;; [unrolled: 15-line block ×6, first 2 shown]
	v_sub_f32_e32 v12, v14, v12
	s_waitcnt vmcnt(0)
	v_mul_f32_e32 v12, v38, v12
	s_waitcnt lgkmcnt(0)
	v_fmac_f32_e32 v42, v12, v13
	v_add_co_u32_e32 v12, vcc, v27, v33
	v_addc_co_u32_e32 v13, vcc, v28, v34, vcc
	global_load_dword v14, v[12:13], off
	v_add_co_u32_e32 v12, vcc, v25, v33
	v_addc_co_u32_e32 v13, vcc, v26, v34, vcc
	global_load_dword v39, v[12:13], off
	ds_bpermute_b32 v12, v36, v6 offset:56
	ds_bpermute_b32 v13, v36, v5 offset:56
	;; [unrolled: 1-line block ×3, first 2 shown]
	v_add_f32_e32 v3, v3, v38
	s_waitcnt vmcnt(1) lgkmcnt(2)
	v_sub_f32_e32 v12, v14, v12
	s_waitcnt vmcnt(0)
	v_mul_f32_e32 v12, v39, v12
	s_waitcnt lgkmcnt(1)
	v_fmac_f32_e32 v42, v12, v13
	v_add_co_u32_e32 v12, vcc, v31, v33
	v_addc_co_u32_e32 v13, vcc, v32, v34, vcc
	v_add_co_u32_e32 v6, vcc, v29, v33
	global_load_dword v12, v[12:13], off
	v_addc_co_u32_e32 v7, vcc, v30, v34, vcc
	global_load_dword v18, v[6:7], off
	v_add_f32_e32 v3, v3, v39
	v_mov_b32_e32 v35, v42
	s_waitcnt vmcnt(1)
	v_sub_f32_e32 v4, v12, v4
	s_waitcnt vmcnt(0)
	v_mul_f32_e32 v4, v18, v4
	s_waitcnt lgkmcnt(0)
	v_mul_f32_e32 v4, v4, v5
.LBB59_88:                              ;   in Loop: Header=BB59_89 Depth=1
	v_add_f32_e32 v3, v3, v18
	buffer_store_dword v2, off, s[36:39], 0 ; 4-byte Folded Spill
	s_nop 0
	buffer_store_dword v3, off, s[36:39], 0 offset:4 ; 4-byte Folded Spill
	buffer_load_dword v3, off, s[36:39], 0 offset:8 ; 4-byte Folded Reload
	v_add_f32_e32 v42, v35, v4
	buffer_load_dword v4, off, s[36:39], 0 offset:12 ; 4-byte Folded Reload
	s_add_u32 s10, s10, s7
	s_addc_u32 s11, s11, 0
	s_add_u32 s24, s24, s7
	s_addc_u32 s25, s25, 0
	s_waitcnt vmcnt(1)
	v_add_co_u32_e32 v3, vcc, s8, v3
	buffer_store_dword v3, off, s[36:39], 0 offset:8 ; 4-byte Folded Spill
	v_mov_b32_e32 v3, s9
	s_waitcnt vmcnt(1)
	v_addc_co_u32_e32 v4, vcc, v4, v3, vcc
	buffer_store_dword v4, off, s[36:39], 0 offset:12 ; 4-byte Folded Spill
	buffer_load_dword v4, off, s[36:39], 0 offset:16 ; 4-byte Folded Reload
	s_waitcnt vmcnt(0)
	v_add_co_u32_e32 v4, vcc, s8, v4
	buffer_store_dword v4, off, s[36:39], 0 offset:16 ; 4-byte Folded Spill
	buffer_load_dword v4, off, s[36:39], 0 offset:20 ; 4-byte Folded Reload
	s_waitcnt vmcnt(0)
	v_addc_co_u32_e32 v4, vcc, v4, v3, vcc
	buffer_store_dword v4, off, s[36:39], 0 offset:20 ; 4-byte Folded Spill
	buffer_load_dword v4, off, s[36:39], 0 offset:24 ; 4-byte Folded Reload
	s_nop 0
	buffer_load_dword v5, off, s[36:39], 0 offset:28 ; 4-byte Folded Reload
	s_waitcnt vmcnt(1)
	v_add_co_u32_e32 v4, vcc, s8, v4
	s_waitcnt vmcnt(0)
	v_addc_co_u32_e32 v5, vcc, v5, v3, vcc
	buffer_store_dword v4, off, s[36:39], 0 offset:24 ; 4-byte Folded Spill
	s_nop 0
	buffer_store_dword v5, off, s[36:39], 0 offset:28 ; 4-byte Folded Spill
	buffer_load_dword v4, off, s[36:39], 0 offset:40 ; 4-byte Folded Reload
	s_nop 0
	buffer_load_dword v5, off, s[36:39], 0 offset:44 ; 4-byte Folded Reload
	s_waitcnt vmcnt(1)
	v_add_co_u32_e32 v4, vcc, s8, v4
	s_waitcnt vmcnt(0)
	v_addc_co_u32_e32 v5, vcc, v5, v3, vcc
	buffer_store_dword v4, off, s[36:39], 0 offset:40 ; 4-byte Folded Spill
	s_nop 0
	;; [unrolled: 10-line block ×7, first 2 shown]
	buffer_store_dword v5, off, s[36:39], 0 offset:124 ; 4-byte Folded Spill
	buffer_load_dword v4, off, s[36:39], 0 offset:32 ; 4-byte Folded Reload
	s_nop 0
	buffer_load_dword v5, off, s[36:39], 0 offset:36 ; 4-byte Folded Reload
	v_add_co_u32_e32 v48, vcc, s8, v48
	v_addc_co_u32_e32 v49, vcc, v49, v3, vcc
	v_add_co_u32_e32 v52, vcc, s8, v52
	v_addc_co_u32_e32 v53, vcc, v53, v3, vcc
	;; [unrolled: 2-line block ×8, first 2 shown]
	s_waitcnt vmcnt(1)
	v_add_co_u32_e32 v4, vcc, s8, v4
	s_waitcnt vmcnt(0)
	v_addc_co_u32_e32 v5, vcc, v5, v3, vcc
	buffer_store_dword v4, off, s[36:39], 0 offset:32 ; 4-byte Folded Spill
	s_nop 0
	buffer_store_dword v5, off, s[36:39], 0 offset:36 ; 4-byte Folded Spill
	buffer_load_dword v4, off, s[36:39], 0 offset:48 ; 4-byte Folded Reload
	s_nop 0
	buffer_load_dword v5, off, s[36:39], 0 offset:52 ; 4-byte Folded Reload
	s_waitcnt vmcnt(1)
	v_add_co_u32_e32 v4, vcc, s8, v4
	s_waitcnt vmcnt(0)
	v_addc_co_u32_e32 v5, vcc, v5, v3, vcc
	buffer_store_dword v4, off, s[36:39], 0 offset:48 ; 4-byte Folded Spill
	s_nop 0
	buffer_store_dword v5, off, s[36:39], 0 offset:52 ; 4-byte Folded Spill
	buffer_load_dword v4, off, s[36:39], 0 offset:64 ; 4-byte Folded Reload
	s_nop 0
	buffer_load_dword v5, off, s[36:39], 0 offset:68 ; 4-byte Folded Reload
	;; [unrolled: 10-line block ×5, first 2 shown]
	s_waitcnt vmcnt(1)
	v_add_co_u32_e32 v4, vcc, s8, v4
	s_waitcnt vmcnt(0)
	v_addc_co_u32_e32 v5, vcc, v5, v3, vcc
	buffer_store_dword v4, off, s[36:39], 0 offset:112 ; 4-byte Folded Spill
	s_nop 0
	buffer_store_dword v5, off, s[36:39], 0 offset:116 ; 4-byte Folded Spill
	buffer_load_dword v4, off, s[36:39], 0 offset:128 ; 4-byte Folded Reload
	v_add_co_u32_e32 v46, vcc, s8, v46
	v_addc_co_u32_e32 v47, vcc, v47, v3, vcc
	v_add_co_u32_e32 v50, vcc, s8, v50
	v_addc_co_u32_e32 v51, vcc, v51, v3, vcc
	v_add_co_u32_e32 v54, vcc, s8, v54
	v_addc_co_u32_e32 v55, vcc, v55, v3, vcc
	v_add_co_u32_e32 v58, vcc, s8, v58
	v_addc_co_u32_e32 v59, vcc, v59, v3, vcc
	v_add_co_u32_e32 v62, vcc, s8, v62
	v_addc_co_u32_e32 v63, vcc, v63, v3, vcc
	v_add_co_u32_e32 v0, vcc, s8, v0
	v_addc_co_u32_e32 v1, vcc, v1, v3, vcc
	v_add_co_u32_e32 v23, vcc, s8, v23
	v_addc_co_u32_e32 v24, vcc, v24, v3, vcc
	v_add_co_u32_e32 v27, vcc, s8, v27
	v_addc_co_u32_e32 v28, vcc, v28, v3, vcc
	v_add_co_u32_e32 v31, vcc, s8, v31
	v_addc_co_u32_e32 v32, vcc, v32, v3, vcc
	s_waitcnt vmcnt(0)
	v_add_co_u32_e32 v4, vcc, s8, v4
	buffer_store_dword v4, off, s[36:39], 0 offset:128 ; 4-byte Folded Spill
	buffer_load_dword v4, off, s[36:39], 0 offset:132 ; 4-byte Folded Reload
	s_waitcnt vmcnt(0)
	v_addc_co_u32_e32 v4, vcc, v4, v3, vcc
	buffer_store_dword v4, off, s[36:39], 0 offset:132 ; 4-byte Folded Spill
	buffer_load_dword v4, off, s[36:39], 0 offset:136 ; 4-byte Folded Reload
	s_waitcnt vmcnt(0)
	v_add_co_u32_e32 v4, vcc, s8, v4
	buffer_store_dword v4, off, s[36:39], 0 offset:136 ; 4-byte Folded Spill
	buffer_load_dword v4, off, s[36:39], 0 offset:140 ; 4-byte Folded Reload
	s_waitcnt vmcnt(0)
	v_addc_co_u32_e32 v4, vcc, v4, v3, vcc
	buffer_store_dword v4, off, s[36:39], 0 offset:140 ; 4-byte Folded Spill
	buffer_load_dword v4, off, s[36:39], 0 offset:144 ; 4-byte Folded Reload
	s_waitcnt vmcnt(0)
	v_add_co_u32_e32 v4, vcc, s8, v4
	buffer_store_dword v4, off, s[36:39], 0 offset:144 ; 4-byte Folded Spill
	buffer_load_dword v4, off, s[36:39], 0 offset:148 ; 4-byte Folded Reload
	s_waitcnt vmcnt(0)
	v_addc_co_u32_e32 v4, vcc, v4, v3, vcc
	buffer_store_dword v4, off, s[36:39], 0 offset:148 ; 4-byte Folded Spill
	buffer_load_dword v4, off, s[36:39], 0 offset:152 ; 4-byte Folded Reload
	s_waitcnt vmcnt(0)
	v_add_co_u32_e32 v4, vcc, s8, v4
	buffer_store_dword v4, off, s[36:39], 0 offset:152 ; 4-byte Folded Spill
	buffer_load_dword v4, off, s[36:39], 0 offset:156 ; 4-byte Folded Reload
	s_waitcnt vmcnt(0)
	v_addc_co_u32_e32 v4, vcc, v4, v3, vcc
	buffer_store_dword v4, off, s[36:39], 0 offset:156 ; 4-byte Folded Spill
	buffer_load_dword v4, off, s[36:39], 0 offset:160 ; 4-byte Folded Reload
	s_waitcnt vmcnt(0)
	v_add_co_u32_e32 v4, vcc, s8, v4
	buffer_store_dword v4, off, s[36:39], 0 offset:160 ; 4-byte Folded Spill
	buffer_load_dword v4, off, s[36:39], 0 offset:164 ; 4-byte Folded Reload
	s_waitcnt vmcnt(0)
	v_addc_co_u32_e32 v4, vcc, v4, v3, vcc
	buffer_store_dword v4, off, s[36:39], 0 offset:164 ; 4-byte Folded Spill
	buffer_load_dword v4, off, s[36:39], 0 offset:168 ; 4-byte Folded Reload
	s_waitcnt vmcnt(0)
	v_add_co_u32_e32 v4, vcc, s8, v4
	buffer_store_dword v4, off, s[36:39], 0 offset:168 ; 4-byte Folded Spill
	buffer_load_dword v4, off, s[36:39], 0 offset:172 ; 4-byte Folded Reload
	s_waitcnt vmcnt(0)
	v_addc_co_u32_e32 v4, vcc, v4, v3, vcc
	buffer_store_dword v4, off, s[36:39], 0 offset:172 ; 4-byte Folded Spill
	buffer_load_dword v4, off, s[36:39], 0 offset:176 ; 4-byte Folded Reload
	s_waitcnt vmcnt(0)
	v_add_co_u32_e32 v4, vcc, s8, v4
	buffer_store_dword v4, off, s[36:39], 0 offset:176 ; 4-byte Folded Spill
	buffer_load_dword v4, off, s[36:39], 0 offset:180 ; 4-byte Folded Reload
	s_waitcnt vmcnt(0)
	v_addc_co_u32_e32 v4, vcc, v4, v3, vcc
	buffer_store_dword v4, off, s[36:39], 0 offset:180 ; 4-byte Folded Spill
	buffer_load_dword v4, off, s[36:39], 0 offset:184 ; 4-byte Folded Reload
	s_waitcnt vmcnt(0)
	v_add_co_u32_e32 v4, vcc, s8, v4
	buffer_store_dword v4, off, s[36:39], 0 offset:184 ; 4-byte Folded Spill
	buffer_load_dword v4, off, s[36:39], 0 offset:188 ; 4-byte Folded Reload
	s_waitcnt vmcnt(0)
	v_addc_co_u32_e32 v4, vcc, v4, v3, vcc
	buffer_store_dword v4, off, s[36:39], 0 offset:188 ; 4-byte Folded Spill
	buffer_load_dword v4, off, s[36:39], 0 offset:192 ; 4-byte Folded Reload
	s_waitcnt vmcnt(0)
	v_add_co_u32_e32 v4, vcc, s8, v4
	buffer_store_dword v4, off, s[36:39], 0 offset:192 ; 4-byte Folded Spill
	buffer_load_dword v4, off, s[36:39], 0 offset:196 ; 4-byte Folded Reload
	s_waitcnt vmcnt(0)
	v_addc_co_u32_e32 v4, vcc, v4, v3, vcc
	buffer_store_dword v4, off, s[36:39], 0 offset:196 ; 4-byte Folded Spill
	buffer_load_dword v4, off, s[36:39], 0 offset:200 ; 4-byte Folded Reload
	s_waitcnt vmcnt(0)
	v_add_co_u32_e32 v4, vcc, s8, v4
	buffer_store_dword v4, off, s[36:39], 0 offset:200 ; 4-byte Folded Spill
	buffer_load_dword v4, off, s[36:39], 0 offset:204 ; 4-byte Folded Reload
	s_waitcnt vmcnt(0)
	v_addc_co_u32_e32 v4, vcc, v4, v3, vcc
	buffer_store_dword v4, off, s[36:39], 0 offset:204 ; 4-byte Folded Spill
	buffer_load_dword v4, off, s[36:39], 0 offset:208 ; 4-byte Folded Reload
	s_waitcnt vmcnt(0)
	v_add_co_u32_e32 v4, vcc, s8, v4
	buffer_store_dword v4, off, s[36:39], 0 offset:208 ; 4-byte Folded Spill
	buffer_load_dword v4, off, s[36:39], 0 offset:212 ; 4-byte Folded Reload
	s_waitcnt vmcnt(0)
	v_addc_co_u32_e32 v4, vcc, v4, v3, vcc
	buffer_store_dword v4, off, s[36:39], 0 offset:212 ; 4-byte Folded Spill
	buffer_load_dword v4, off, s[36:39], 0 offset:216 ; 4-byte Folded Reload
	s_waitcnt vmcnt(0)
	v_add_co_u32_e32 v4, vcc, s8, v4
	buffer_store_dword v4, off, s[36:39], 0 offset:216 ; 4-byte Folded Spill
	buffer_load_dword v4, off, s[36:39], 0 offset:220 ; 4-byte Folded Reload
	s_waitcnt vmcnt(0)
	v_addc_co_u32_e32 v4, vcc, v4, v3, vcc
	buffer_store_dword v4, off, s[36:39], 0 offset:220 ; 4-byte Folded Spill
	buffer_load_dword v4, off, s[36:39], 0 offset:228 ; 4-byte Folded Reload
	s_waitcnt vmcnt(0)
	v_add_co_u32_e32 v4, vcc, s8, v4
	buffer_store_dword v4, off, s[36:39], 0 offset:228 ; 4-byte Folded Spill
	buffer_load_dword v4, off, s[36:39], 0 offset:232 ; 4-byte Folded Reload
	s_waitcnt vmcnt(0)
	v_addc_co_u32_e32 v4, vcc, v4, v3, vcc
	buffer_store_dword v4, off, s[36:39], 0 offset:232 ; 4-byte Folded Spill
	buffer_load_dword v4, off, s[36:39], 0 offset:236 ; 4-byte Folded Reload
	s_waitcnt vmcnt(0)
	v_add_co_u32_e32 v4, vcc, s8, v4
	buffer_store_dword v4, off, s[36:39], 0 offset:236 ; 4-byte Folded Spill
	buffer_load_dword v4, off, s[36:39], 0 offset:240 ; 4-byte Folded Reload
	s_waitcnt vmcnt(0)
	v_addc_co_u32_e32 v4, vcc, v4, v3, vcc
	buffer_store_dword v4, off, s[36:39], 0 offset:240 ; 4-byte Folded Spill
	buffer_load_dword v4, off, s[36:39], 0 offset:244 ; 4-byte Folded Reload
	s_waitcnt vmcnt(0)
	v_add_co_u32_e32 v4, vcc, s8, v4
	buffer_store_dword v4, off, s[36:39], 0 offset:244 ; 4-byte Folded Spill
	buffer_load_dword v4, off, s[36:39], 0 offset:248 ; 4-byte Folded Reload
	s_waitcnt vmcnt(0)
	v_addc_co_u32_e32 v4, vcc, v4, v3, vcc
	buffer_store_dword v4, off, s[36:39], 0 offset:248 ; 4-byte Folded Spill
	buffer_load_dword v4, off, s[36:39], 0 offset:252 ; 4-byte Folded Reload
	s_waitcnt vmcnt(0)
	v_add_co_u32_e32 v4, vcc, s8, v4
	buffer_store_dword v4, off, s[36:39], 0 offset:252 ; 4-byte Folded Spill
	buffer_load_dword v4, off, s[36:39], 0 offset:256 ; 4-byte Folded Reload
	s_waitcnt vmcnt(0)
	v_addc_co_u32_e32 v4, vcc, v4, v3, vcc
	buffer_store_dword v4, off, s[36:39], 0 offset:256 ; 4-byte Folded Spill
	buffer_load_dword v4, off, s[36:39], 0 offset:260 ; 4-byte Folded Reload
	s_waitcnt vmcnt(0)
	v_add_co_u32_e32 v4, vcc, s8, v4
	buffer_store_dword v4, off, s[36:39], 0 offset:260 ; 4-byte Folded Spill
	buffer_load_dword v4, off, s[36:39], 0 offset:264 ; 4-byte Folded Reload
	s_waitcnt vmcnt(0)
	v_addc_co_u32_e32 v4, vcc, v4, v3, vcc
	buffer_store_dword v4, off, s[36:39], 0 offset:264 ; 4-byte Folded Spill
	buffer_load_dword v4, off, s[36:39], 0 offset:268 ; 4-byte Folded Reload
	s_waitcnt vmcnt(0)
	v_add_co_u32_e32 v4, vcc, s8, v4
	buffer_store_dword v4, off, s[36:39], 0 offset:268 ; 4-byte Folded Spill
	buffer_load_dword v4, off, s[36:39], 0 offset:272 ; 4-byte Folded Reload
	s_waitcnt vmcnt(0)
	v_addc_co_u32_e32 v4, vcc, v4, v3, vcc
	buffer_store_dword v4, off, s[36:39], 0 offset:272 ; 4-byte Folded Spill
	buffer_load_dword v4, off, s[36:39], 0 offset:276 ; 4-byte Folded Reload
	s_waitcnt vmcnt(0)
	v_add_co_u32_e32 v4, vcc, s8, v4
	buffer_store_dword v4, off, s[36:39], 0 offset:276 ; 4-byte Folded Spill
	buffer_load_dword v4, off, s[36:39], 0 offset:280 ; 4-byte Folded Reload
	s_waitcnt vmcnt(0)
	v_addc_co_u32_e32 v4, vcc, v4, v3, vcc
	buffer_store_dword v4, off, s[36:39], 0 offset:280 ; 4-byte Folded Spill
	buffer_load_dword v4, off, s[36:39], 0 offset:284 ; 4-byte Folded Reload
	s_waitcnt vmcnt(0)
	v_add_co_u32_e32 v4, vcc, s8, v4
	buffer_store_dword v4, off, s[36:39], 0 offset:284 ; 4-byte Folded Spill
	buffer_load_dword v4, off, s[36:39], 0 offset:288 ; 4-byte Folded Reload
	s_waitcnt vmcnt(0)
	v_addc_co_u32_e32 v4, vcc, v4, v3, vcc
	buffer_store_dword v4, off, s[36:39], 0 offset:288 ; 4-byte Folded Spill
	buffer_load_dword v4, off, s[36:39], 0 offset:292 ; 4-byte Folded Reload
	s_waitcnt vmcnt(0)
	v_add_co_u32_e32 v4, vcc, s8, v4
	buffer_store_dword v4, off, s[36:39], 0 offset:292 ; 4-byte Folded Spill
	buffer_load_dword v4, off, s[36:39], 0 offset:296 ; 4-byte Folded Reload
	s_waitcnt vmcnt(0)
	v_addc_co_u32_e32 v4, vcc, v4, v3, vcc
	buffer_store_dword v4, off, s[36:39], 0 offset:296 ; 4-byte Folded Spill
	buffer_load_dword v4, off, s[36:39], 0 offset:300 ; 4-byte Folded Reload
	s_waitcnt vmcnt(0)
	v_add_co_u32_e32 v4, vcc, s8, v4
	buffer_store_dword v4, off, s[36:39], 0 offset:300 ; 4-byte Folded Spill
	buffer_load_dword v4, off, s[36:39], 0 offset:304 ; 4-byte Folded Reload
	s_waitcnt vmcnt(0)
	v_addc_co_u32_e32 v4, vcc, v4, v3, vcc
	buffer_store_dword v4, off, s[36:39], 0 offset:304 ; 4-byte Folded Spill
	buffer_load_dword v4, off, s[36:39], 0 offset:308 ; 4-byte Folded Reload
	s_waitcnt vmcnt(0)
	v_add_co_u32_e32 v4, vcc, s8, v4
	buffer_store_dword v4, off, s[36:39], 0 offset:308 ; 4-byte Folded Spill
	buffer_load_dword v4, off, s[36:39], 0 offset:312 ; 4-byte Folded Reload
	s_waitcnt vmcnt(0)
	v_addc_co_u32_e32 v4, vcc, v4, v3, vcc
	buffer_store_dword v4, off, s[36:39], 0 offset:312 ; 4-byte Folded Spill
	buffer_load_dword v4, off, s[36:39], 0 offset:316 ; 4-byte Folded Reload
	s_waitcnt vmcnt(0)
	v_add_co_u32_e32 v4, vcc, s8, v4
	buffer_store_dword v4, off, s[36:39], 0 offset:316 ; 4-byte Folded Spill
	buffer_load_dword v4, off, s[36:39], 0 offset:320 ; 4-byte Folded Reload
	s_waitcnt vmcnt(0)
	v_addc_co_u32_e32 v4, vcc, v4, v3, vcc
	buffer_store_dword v4, off, s[36:39], 0 offset:320 ; 4-byte Folded Spill
	buffer_load_dword v4, off, s[36:39], 0 offset:324 ; 4-byte Folded Reload
	s_waitcnt vmcnt(0)
	v_add_co_u32_e32 v4, vcc, s8, v4
	buffer_store_dword v4, off, s[36:39], 0 offset:324 ; 4-byte Folded Spill
	buffer_load_dword v4, off, s[36:39], 0 offset:328 ; 4-byte Folded Reload
	s_waitcnt vmcnt(0)
	v_addc_co_u32_e32 v4, vcc, v4, v3, vcc
	buffer_store_dword v4, off, s[36:39], 0 offset:328 ; 4-byte Folded Spill
	buffer_load_dword v4, off, s[36:39], 0 offset:332 ; 4-byte Folded Reload
	s_waitcnt vmcnt(0)
	v_add_co_u32_e32 v4, vcc, s8, v4
	buffer_store_dword v4, off, s[36:39], 0 offset:332 ; 4-byte Folded Spill
	buffer_load_dword v4, off, s[36:39], 0 offset:336 ; 4-byte Folded Reload
	s_waitcnt vmcnt(0)
	v_addc_co_u32_e32 v4, vcc, v4, v3, vcc
	buffer_store_dword v4, off, s[36:39], 0 offset:336 ; 4-byte Folded Spill
	buffer_load_dword v4, off, s[36:39], 0 offset:340 ; 4-byte Folded Reload
	s_waitcnt vmcnt(0)
	v_add_co_u32_e32 v4, vcc, s8, v4
	buffer_store_dword v4, off, s[36:39], 0 offset:340 ; 4-byte Folded Spill
	buffer_load_dword v4, off, s[36:39], 0 offset:344 ; 4-byte Folded Reload
	s_waitcnt vmcnt(0)
	v_addc_co_u32_e32 v4, vcc, v4, v3, vcc
	buffer_store_dword v4, off, s[36:39], 0 offset:344 ; 4-byte Folded Spill
	buffer_load_dword v4, off, s[36:39], 0 offset:348 ; 4-byte Folded Reload
	s_waitcnt vmcnt(0)
	v_add_co_u32_e32 v4, vcc, s8, v4
	buffer_store_dword v4, off, s[36:39], 0 offset:348 ; 4-byte Folded Spill
	buffer_load_dword v4, off, s[36:39], 0 offset:352 ; 4-byte Folded Reload
	s_waitcnt vmcnt(0)
	v_addc_co_u32_e32 v4, vcc, v4, v3, vcc
	buffer_store_dword v4, off, s[36:39], 0 offset:352 ; 4-byte Folded Spill
	buffer_load_dword v4, off, s[36:39], 0 offset:356 ; 4-byte Folded Reload
	s_waitcnt vmcnt(0)
	v_add_co_u32_e32 v4, vcc, s8, v4
	buffer_store_dword v4, off, s[36:39], 0 offset:356 ; 4-byte Folded Spill
	buffer_load_dword v4, off, s[36:39], 0 offset:360 ; 4-byte Folded Reload
	s_waitcnt vmcnt(0)
	v_addc_co_u32_e32 v4, vcc, v4, v3, vcc
	buffer_store_dword v4, off, s[36:39], 0 offset:360 ; 4-byte Folded Spill
	buffer_load_dword v4, off, s[36:39], 0 offset:364 ; 4-byte Folded Reload
	s_waitcnt vmcnt(0)
	v_add_co_u32_e32 v4, vcc, s8, v4
	buffer_store_dword v4, off, s[36:39], 0 offset:364 ; 4-byte Folded Spill
	buffer_load_dword v4, off, s[36:39], 0 offset:368 ; 4-byte Folded Reload
	s_waitcnt vmcnt(0)
	v_addc_co_u32_e32 v4, vcc, v4, v3, vcc
	buffer_store_dword v4, off, s[36:39], 0 offset:368 ; 4-byte Folded Spill
	v_mov_b32_e32 v3, s12
	v_mov_b32_e32 v4, s13
	v_cmp_ge_i64_e32 vcc, s[10:11], v[3:4]
	s_cbranch_vccnz .LBB59_131
.LBB59_89:                              ; =>This Inner Loop Header: Depth=1
	v_mov_b32_e32 v3, s12
	v_mov_b32_e32 v4, s13
	v_cmp_ge_i64_e32 vcc, s[24:25], v[3:4]
	buffer_load_dword v4, off, s[36:39], 0 offset:428 ; 4-byte Folded Reload
	v_mov_b32_e32 v3, s25
	s_and_b64 vcc, exec, vcc
                                        ; implicit-def: $vgpr18
                                        ; implicit-def: $vgpr35
	s_waitcnt vmcnt(0)
	v_add_co_u32_e64 v37, s[0:1], s24, v4
	v_addc_co_u32_e64 v38, s[0:1], 0, v3, s[0:1]
	s_mov_b64 s[0:1], -1
                                        ; implicit-def: $vgpr4
                                        ; implicit-def: $vgpr3
	s_cbranch_vccz .LBB59_127
; %bb.90:                               ;   in Loop: Header=BB59_89 Depth=1
	s_load_dword s0, s[2:3], 0xc
	buffer_load_dword v3, off, s[36:39], 0 offset:372 ; 4-byte Folded Reload
	buffer_load_dword v4, off, s[36:39], 0 offset:224 ; 4-byte Folded Reload
	v_mov_b32_e32 v35, 0
	v_mov_b32_e32 v40, 0
	;; [unrolled: 1-line block ×3, first 2 shown]
	s_waitcnt lgkmcnt(0)
	s_and_b32 s0, s0, 0xffff
	s_waitcnt vmcnt(0)
	v_mad_u32_u24 v3, v4, s0, v3
	v_and_b32_e32 v3, 63, v3
	v_cmp_gt_u32_e32 vcc, 16, v3
	s_and_saveexec_b64 s[0:1], vcc
	s_cbranch_execz .LBB59_94
; %bb.91:                               ;   in Loop: Header=BB59_89 Depth=1
	v_add_co_u32_e32 v3, vcc, v37, v3
	v_addc_co_u32_e32 v4, vcc, 0, v38, vcc
	v_add_co_u32_e32 v3, vcc, 0xffffff01, v3
	v_addc_co_u32_e32 v4, vcc, -1, v4, vcc
	v_cmp_gt_i64_e32 vcc, s[12:13], v[3:4]
	v_mov_b32_e32 v39, 0
	v_mov_b32_e32 v40, 0
	s_and_saveexec_b64 s[16:17], vcc
	s_cbranch_execz .LBB59_93
; %bb.92:                               ;   in Loop: Header=BB59_89 Depth=1
	v_lshlrev_b64 v[3:4], 2, v[3:4]
	v_mov_b32_e32 v6, s23
	v_add_co_u32_e32 v5, vcc, s22, v3
	v_addc_co_u32_e32 v6, vcc, v6, v4, vcc
	v_mov_b32_e32 v7, s21
	v_add_co_u32_e32 v3, vcc, s20, v3
	v_addc_co_u32_e32 v4, vcc, v7, v4, vcc
	global_load_dword v39, v[3:4], off
	global_load_dword v40, v[5:6], off
.LBB59_93:                              ;   in Loop: Header=BB59_89 Depth=1
	s_or_b64 exec, exec, s[16:17]
.LBB59_94:                              ;   in Loop: Header=BB59_89 Depth=1
	s_or_b64 exec, exec, s[0:1]
	v_add_co_u32_e32 v3, vcc, 0xffffff01, v37
	v_addc_co_u32_e32 v4, vcc, -1, v38, vcc
	v_cmp_gt_i64_e32 vcc, s[12:13], v[3:4]
	v_mov_b32_e32 v3, v2
	v_mov_b32_e32 v4, v2
	;; [unrolled: 1-line block ×31, first 2 shown]
	s_and_saveexec_b64 s[0:1], vcc
	s_cbranch_execz .LBB59_96
; %bb.95:                               ;   in Loop: Header=BB59_89 Depth=1
	buffer_load_dword v3, off, s[36:39], 0 offset:8 ; 4-byte Folded Reload
	buffer_load_dword v4, off, s[36:39], 0 offset:12 ; 4-byte Folded Reload
	;; [unrolled: 1-line block ×3, first 2 shown]
	v_mov_b32_e32 v6, v2
	v_mov_b32_e32 v7, v2
	;; [unrolled: 1-line block ×13, first 2 shown]
	s_waitcnt vmcnt(2)
	v_add_co_u32_e32 v3, vcc, v3, v33
	s_waitcnt vmcnt(1)
	v_addc_co_u32_e32 v4, vcc, v4, v34, vcc
	global_load_dword v3, v[3:4], off
	s_nop 0
	buffer_load_dword v4, off, s[36:39], 0 offset:16 ; 4-byte Folded Reload
	s_waitcnt vmcnt(0)
	v_add_co_u32_e32 v4, vcc, v4, v33
	v_addc_co_u32_e32 v5, vcc, v5, v34, vcc
	global_load_dword v35, v[4:5], off
	v_mov_b32_e32 v4, v2
	v_mov_b32_e32 v5, v2
.LBB59_96:                              ;   in Loop: Header=BB59_89 Depth=1
	s_or_b64 exec, exec, s[0:1]
	v_add_co_u32_e32 v43, vcc, 0xffffff02, v37
	v_addc_co_u32_e32 v44, vcc, -1, v38, vcc
	s_waitcnt vmcnt(0)
	buffer_store_dword v35, off, s[36:39], 0 offset:432 ; 4-byte Folded Spill
	v_cmp_gt_i64_e32 vcc, s[12:13], v[43:44]
	v_mov_b32_e32 v35, 0
	buffer_store_dword v35, off, s[36:39], 0 offset:376 ; 4-byte Folded Spill
	v_mov_b32_e32 v35, 0
	buffer_store_dword v35, off, s[36:39], 0 offset:392 ; 4-byte Folded Spill
	s_and_saveexec_b64 s[0:1], vcc
	s_cbranch_execz .LBB59_98
; %bb.97:                               ;   in Loop: Header=BB59_89 Depth=1
	buffer_load_dword v4, off, s[36:39], 0 offset:356 ; 4-byte Folded Reload
	buffer_load_dword v35, off, s[36:39], 0 offset:364 ; 4-byte Folded Reload
	s_waitcnt vmcnt(1)
	v_add_co_u32_e32 v43, vcc, v4, v33
	buffer_load_dword v4, off, s[36:39], 0 offset:360 ; 4-byte Folded Reload
	s_waitcnt vmcnt(0)
	v_addc_co_u32_e32 v44, vcc, v4, v34, vcc
	global_load_dword v4, v[43:44], off
	v_add_co_u32_e32 v43, vcc, v35, v33
	buffer_load_dword v35, off, s[36:39], 0 offset:368 ; 4-byte Folded Reload
	s_waitcnt vmcnt(0)
	v_addc_co_u32_e32 v44, vcc, v35, v34, vcc
	global_load_dword v35, v[43:44], off
	s_waitcnt vmcnt(0)
	buffer_store_dword v35, off, s[36:39], 0 offset:392 ; 4-byte Folded Spill
.LBB59_98:                              ;   in Loop: Header=BB59_89 Depth=1
	s_or_b64 exec, exec, s[0:1]
	v_add_co_u32_e32 v43, vcc, 0xffffff03, v37
	v_addc_co_u32_e32 v44, vcc, -1, v38, vcc
	v_cmp_gt_i64_e32 vcc, s[12:13], v[43:44]
	s_and_saveexec_b64 s[0:1], vcc
	s_cbranch_execz .LBB59_100
; %bb.99:                               ;   in Loop: Header=BB59_89 Depth=1
	buffer_load_dword v5, off, s[36:39], 0 offset:340 ; 4-byte Folded Reload
	buffer_load_dword v35, off, s[36:39], 0 offset:348 ; 4-byte Folded Reload
	s_waitcnt vmcnt(1)
	v_add_co_u32_e32 v43, vcc, v5, v33
	buffer_load_dword v5, off, s[36:39], 0 offset:344 ; 4-byte Folded Reload
	s_waitcnt vmcnt(0)
	v_addc_co_u32_e32 v44, vcc, v5, v34, vcc
	global_load_dword v5, v[43:44], off
	v_add_co_u32_e32 v43, vcc, v35, v33
	buffer_load_dword v35, off, s[36:39], 0 offset:352 ; 4-byte Folded Reload
	s_waitcnt vmcnt(0)
	v_addc_co_u32_e32 v44, vcc, v35, v34, vcc
	global_load_dword v35, v[43:44], off
	s_waitcnt vmcnt(0)
	buffer_store_dword v35, off, s[36:39], 0 offset:376 ; 4-byte Folded Spill
.LBB59_100:                             ;   in Loop: Header=BB59_89 Depth=1
	s_or_b64 exec, exec, s[0:1]
	v_add_co_u32_e32 v43, vcc, 0xffffff04, v37
	v_addc_co_u32_e32 v44, vcc, -1, v38, vcc
	v_cmp_gt_i64_e32 vcc, s[12:13], v[43:44]
	v_mov_b32_e32 v35, 0
	buffer_store_dword v35, off, s[36:39], 0 offset:380 ; 4-byte Folded Spill
	v_mov_b32_e32 v35, 0
	buffer_store_dword v35, off, s[36:39], 0 offset:400 ; 4-byte Folded Spill
	s_and_saveexec_b64 s[0:1], vcc
	s_cbranch_execz .LBB59_102
; %bb.101:                              ;   in Loop: Header=BB59_89 Depth=1
	buffer_load_dword v6, off, s[36:39], 0 offset:324 ; 4-byte Folded Reload
	buffer_load_dword v35, off, s[36:39], 0 offset:332 ; 4-byte Folded Reload
	s_waitcnt vmcnt(1)
	v_add_co_u32_e32 v43, vcc, v6, v33
	buffer_load_dword v6, off, s[36:39], 0 offset:328 ; 4-byte Folded Reload
	s_waitcnt vmcnt(0)
	v_addc_co_u32_e32 v44, vcc, v6, v34, vcc
	global_load_dword v6, v[43:44], off
	v_add_co_u32_e32 v43, vcc, v35, v33
	buffer_load_dword v35, off, s[36:39], 0 offset:336 ; 4-byte Folded Reload
	s_waitcnt vmcnt(0)
	v_addc_co_u32_e32 v44, vcc, v35, v34, vcc
	global_load_dword v35, v[43:44], off
	s_waitcnt vmcnt(0)
	buffer_store_dword v35, off, s[36:39], 0 offset:400 ; 4-byte Folded Spill
.LBB59_102:                             ;   in Loop: Header=BB59_89 Depth=1
	s_or_b64 exec, exec, s[0:1]
	v_add_co_u32_e32 v43, vcc, 0xffffff05, v37
	v_addc_co_u32_e32 v44, vcc, -1, v38, vcc
	v_cmp_gt_i64_e32 vcc, s[12:13], v[43:44]
	s_and_saveexec_b64 s[0:1], vcc
	s_cbranch_execz .LBB59_104
; %bb.103:                              ;   in Loop: Header=BB59_89 Depth=1
	buffer_load_dword v7, off, s[36:39], 0 offset:308 ; 4-byte Folded Reload
	buffer_load_dword v35, off, s[36:39], 0 offset:316 ; 4-byte Folded Reload
	s_waitcnt vmcnt(1)
	v_add_co_u32_e32 v43, vcc, v7, v33
	buffer_load_dword v7, off, s[36:39], 0 offset:312 ; 4-byte Folded Reload
	s_waitcnt vmcnt(0)
	v_addc_co_u32_e32 v44, vcc, v7, v34, vcc
	global_load_dword v7, v[43:44], off
	v_add_co_u32_e32 v43, vcc, v35, v33
	buffer_load_dword v35, off, s[36:39], 0 offset:320 ; 4-byte Folded Reload
	s_waitcnt vmcnt(0)
	v_addc_co_u32_e32 v44, vcc, v35, v34, vcc
	global_load_dword v35, v[43:44], off
	s_waitcnt vmcnt(0)
	buffer_store_dword v35, off, s[36:39], 0 offset:380 ; 4-byte Folded Spill
.LBB59_104:                             ;   in Loop: Header=BB59_89 Depth=1
	s_or_b64 exec, exec, s[0:1]
	v_add_co_u32_e32 v43, vcc, 0xffffff06, v37
	v_addc_co_u32_e32 v44, vcc, -1, v38, vcc
	v_cmp_gt_i64_e32 vcc, s[12:13], v[43:44]
	v_mov_b32_e32 v35, 0
	buffer_store_dword v35, off, s[36:39], 0 offset:384 ; 4-byte Folded Spill
	v_mov_b32_e32 v35, 0
	buffer_store_dword v35, off, s[36:39], 0 offset:408 ; 4-byte Folded Spill
	s_and_saveexec_b64 s[0:1], vcc
	s_cbranch_execz .LBB59_106
; %bb.105:                              ;   in Loop: Header=BB59_89 Depth=1
	buffer_load_dword v8, off, s[36:39], 0 offset:292 ; 4-byte Folded Reload
	buffer_load_dword v35, off, s[36:39], 0 offset:300 ; 4-byte Folded Reload
	s_waitcnt vmcnt(1)
	v_add_co_u32_e32 v43, vcc, v8, v33
	buffer_load_dword v8, off, s[36:39], 0 offset:296 ; 4-byte Folded Reload
	s_waitcnt vmcnt(0)
	v_addc_co_u32_e32 v44, vcc, v8, v34, vcc
	global_load_dword v8, v[43:44], off
	v_add_co_u32_e32 v43, vcc, v35, v33
	buffer_load_dword v35, off, s[36:39], 0 offset:304 ; 4-byte Folded Reload
	s_waitcnt vmcnt(0)
	v_addc_co_u32_e32 v44, vcc, v35, v34, vcc
	global_load_dword v35, v[43:44], off
	s_waitcnt vmcnt(0)
	buffer_store_dword v35, off, s[36:39], 0 offset:408 ; 4-byte Folded Spill
.LBB59_106:                             ;   in Loop: Header=BB59_89 Depth=1
	s_or_b64 exec, exec, s[0:1]
	v_add_co_u32_e32 v43, vcc, 0xffffff07, v37
	v_addc_co_u32_e32 v44, vcc, -1, v38, vcc
	v_cmp_gt_i64_e32 vcc, s[12:13], v[43:44]
	s_and_saveexec_b64 s[0:1], vcc
	s_cbranch_execz .LBB59_108
; %bb.107:                              ;   in Loop: Header=BB59_89 Depth=1
	buffer_load_dword v9, off, s[36:39], 0 offset:276 ; 4-byte Folded Reload
	buffer_load_dword v35, off, s[36:39], 0 offset:284 ; 4-byte Folded Reload
	s_waitcnt vmcnt(1)
	v_add_co_u32_e32 v43, vcc, v9, v33
	buffer_load_dword v9, off, s[36:39], 0 offset:280 ; 4-byte Folded Reload
	s_waitcnt vmcnt(0)
	v_addc_co_u32_e32 v44, vcc, v9, v34, vcc
	global_load_dword v9, v[43:44], off
	v_add_co_u32_e32 v43, vcc, v35, v33
	buffer_load_dword v35, off, s[36:39], 0 offset:288 ; 4-byte Folded Reload
	s_waitcnt vmcnt(0)
	v_addc_co_u32_e32 v44, vcc, v35, v34, vcc
	global_load_dword v35, v[43:44], off
	s_waitcnt vmcnt(0)
	buffer_store_dword v35, off, s[36:39], 0 offset:384 ; 4-byte Folded Spill
.LBB59_108:                             ;   in Loop: Header=BB59_89 Depth=1
	;; [unrolled: 50-line block ×5, first 2 shown]
	s_or_b64 exec, exec, s[0:1]
	v_add_co_u32_e32 v43, vcc, 0xffffff0e, v37
	v_addc_co_u32_e32 v44, vcc, -1, v38, vcc
	v_cmp_gt_i64_e32 vcc, s[12:13], v[43:44]
	v_mov_b32_e32 v35, 0
	buffer_store_dword v35, off, s[36:39], 0 offset:412 ; 4-byte Folded Spill
	v_mov_b32_e32 v35, 0
	s_and_saveexec_b64 s[0:1], vcc
	s_cbranch_execz .LBB59_122
; %bb.121:                              ;   in Loop: Header=BB59_89 Depth=1
	buffer_load_dword v16, off, s[36:39], 0 offset:160 ; 4-byte Folded Reload
	buffer_load_dword v35, off, s[36:39], 0 offset:168 ; 4-byte Folded Reload
	s_waitcnt vmcnt(1)
	v_add_co_u32_e32 v43, vcc, v16, v33
	buffer_load_dword v16, off, s[36:39], 0 offset:164 ; 4-byte Folded Reload
	s_waitcnt vmcnt(0)
	v_addc_co_u32_e32 v44, vcc, v16, v34, vcc
	global_load_dword v16, v[43:44], off
	v_add_co_u32_e32 v43, vcc, v35, v33
	buffer_load_dword v35, off, s[36:39], 0 offset:172 ; 4-byte Folded Reload
	s_waitcnt vmcnt(0)
	v_addc_co_u32_e32 v44, vcc, v35, v34, vcc
	global_load_dword v35, v[43:44], off
.LBB59_122:                             ;   in Loop: Header=BB59_89 Depth=1
	s_or_b64 exec, exec, s[0:1]
	v_add_co_u32_e32 v44, vcc, 0xffffff0f, v37
	v_addc_co_u32_e32 v45, vcc, -1, v38, vcc
	v_cmp_gt_i64_e32 vcc, s[12:13], v[44:45]
	s_waitcnt vmcnt(0)
	buffer_store_dword v35, off, s[36:39], 0 offset:436 ; 4-byte Folded Spill
	s_and_saveexec_b64 s[0:1], vcc
	s_cbranch_execz .LBB59_124
; %bb.123:                              ;   in Loop: Header=BB59_89 Depth=1
	buffer_load_dword v17, off, s[36:39], 0 offset:144 ; 4-byte Folded Reload
	buffer_load_dword v35, off, s[36:39], 0 offset:152 ; 4-byte Folded Reload
	s_waitcnt vmcnt(1)
	v_add_co_u32_e32 v44, vcc, v17, v33
	buffer_load_dword v17, off, s[36:39], 0 offset:148 ; 4-byte Folded Reload
	s_waitcnt vmcnt(0)
	v_addc_co_u32_e32 v45, vcc, v17, v34, vcc
	global_load_dword v17, v[44:45], off
	v_add_co_u32_e32 v44, vcc, v35, v33
	buffer_load_dword v35, off, s[36:39], 0 offset:156 ; 4-byte Folded Reload
	s_waitcnt vmcnt(0)
	v_addc_co_u32_e32 v45, vcc, v35, v34, vcc
	global_load_dword v35, v[44:45], off
	s_waitcnt vmcnt(0)
	buffer_store_dword v35, off, s[36:39], 0 offset:412 ; 4-byte Folded Spill
.LBB59_124:                             ;   in Loop: Header=BB59_89 Depth=1
	s_or_b64 exec, exec, s[0:1]
	v_add_co_u32_e32 v44, vcc, 0xffffff10, v37
	v_addc_co_u32_e32 v45, vcc, -1, v38, vcc
	v_cmp_gt_i64_e32 vcc, s[12:13], v[44:45]
	v_mov_b32_e32 v41, 0
	s_and_saveexec_b64 s[0:1], vcc
	s_cbranch_execz .LBB59_126
; %bb.125:                              ;   in Loop: Header=BB59_89 Depth=1
	buffer_load_dword v18, off, s[36:39], 0 offset:128 ; 4-byte Folded Reload
	buffer_load_dword v35, off, s[36:39], 0 offset:136 ; 4-byte Folded Reload
	s_waitcnt vmcnt(1)
	v_add_co_u32_e32 v44, vcc, v18, v33
	buffer_load_dword v18, off, s[36:39], 0 offset:132 ; 4-byte Folded Reload
	s_waitcnt vmcnt(0)
	v_addc_co_u32_e32 v45, vcc, v18, v34, vcc
	global_load_dword v18, v[44:45], off
	v_add_co_u32_e32 v44, vcc, v35, v33
	buffer_load_dword v35, off, s[36:39], 0 offset:140 ; 4-byte Folded Reload
	s_waitcnt vmcnt(0)
	v_addc_co_u32_e32 v45, vcc, v35, v34, vcc
	global_load_dword v41, v[44:45], off
.LBB59_126:                             ;   in Loop: Header=BB59_89 Depth=1
	s_or_b64 exec, exec, s[0:1]
	buffer_load_dword v45, off, s[36:39], 0 offset:432 ; 4-byte Folded Reload
	ds_bpermute_b32 v44, v36, v39
	ds_bpermute_b32 v35, v36, v40
	s_mov_b64 s[0:1], 0
	s_waitcnt vmcnt(0) lgkmcnt(1)
	v_sub_f32_e32 v44, v45, v44
	v_mul_f32_e32 v44, v3, v44
	s_waitcnt lgkmcnt(0)
	v_fma_f32 v35, v44, v35, v42
	buffer_load_dword v44, off, s[36:39], 0 ; 4-byte Folded Reload
	buffer_load_dword v45, off, s[36:39], 0 offset:4 ; 4-byte Folded Reload
	buffer_load_dword v43, off, s[36:39], 0 offset:392 ; 4-byte Folded Reload
	s_waitcnt vmcnt(2)
	ds_bpermute_b32 v44, v36, v40 offset:4
	s_waitcnt vmcnt(1)
	v_add_f32_e32 v3, v45, v3
	ds_bpermute_b32 v45, v36, v39 offset:4
	v_add_f32_e32 v3, v4, v3
	v_add_f32_e32 v3, v5, v3
	;; [unrolled: 1-line block ×4, first 2 shown]
	s_waitcnt vmcnt(0) lgkmcnt(0)
	v_sub_f32_e32 v45, v43, v45
	v_mul_f32_e32 v45, v4, v45
	v_fmac_f32_e32 v35, v45, v44
	buffer_load_dword v45, off, s[36:39], 0 offset:376 ; 4-byte Folded Reload
	buffer_load_dword v43, off, s[36:39], 0 offset:400 ; 4-byte Folded Reload
	ds_bpermute_b32 v44, v36, v39 offset:8
	ds_bpermute_b32 v4, v36, v40 offset:8
	v_add_f32_e32 v3, v8, v3
	v_add_f32_e32 v3, v9, v3
	;; [unrolled: 1-line block ×10, first 2 shown]
	s_waitcnt vmcnt(1) lgkmcnt(1)
	v_sub_f32_e32 v44, v45, v44
	v_mul_f32_e32 v44, v5, v44
	ds_bpermute_b32 v5, v36, v39 offset:12
	s_waitcnt lgkmcnt(1)
	v_fmac_f32_e32 v35, v44, v4
	ds_bpermute_b32 v4, v36, v40 offset:12
	s_waitcnt vmcnt(0) lgkmcnt(1)
	v_sub_f32_e32 v5, v43, v5
	v_mul_f32_e32 v5, v6, v5
	buffer_load_dword v6, off, s[36:39], 0 offset:380 ; 4-byte Folded Reload
	s_waitcnt lgkmcnt(0)
	v_fmac_f32_e32 v35, v5, v4
	ds_bpermute_b32 v5, v36, v39 offset:16
	ds_bpermute_b32 v4, v36, v40 offset:16
	s_waitcnt vmcnt(0) lgkmcnt(1)
	v_sub_f32_e32 v5, v6, v5
	buffer_load_dword v6, off, s[36:39], 0 offset:408 ; 4-byte Folded Reload
	v_mul_f32_e32 v5, v7, v5
	s_waitcnt lgkmcnt(0)
	v_fmac_f32_e32 v35, v5, v4
	ds_bpermute_b32 v5, v36, v39 offset:20
	ds_bpermute_b32 v4, v36, v40 offset:20
	s_waitcnt vmcnt(0) lgkmcnt(1)
	v_sub_f32_e32 v5, v6, v5
	buffer_load_dword v6, off, s[36:39], 0 offset:384 ; 4-byte Folded Reload
	v_mul_f32_e32 v5, v8, v5
	;; [unrolled: 8-line block ×10, first 2 shown]
	s_waitcnt lgkmcnt(0)
	v_fmac_f32_e32 v35, v5, v4
	ds_bpermute_b32 v5, v36, v39 offset:56
	ds_bpermute_b32 v4, v36, v40 offset:56
	s_waitcnt vmcnt(0) lgkmcnt(1)
	v_sub_f32_e32 v5, v6, v5
	v_mul_f32_e32 v5, v17, v5
	s_waitcnt lgkmcnt(0)
	v_fmac_f32_e32 v35, v5, v4
	ds_bpermute_b32 v5, v36, v39 offset:60
	ds_bpermute_b32 v4, v36, v40 offset:60
	s_waitcnt lgkmcnt(1)
	v_sub_f32_e32 v5, v41, v5
	v_mul_f32_e32 v5, v18, v5
	s_waitcnt lgkmcnt(0)
	v_mul_f32_e32 v4, v5, v4
.LBB59_127:                             ;   in Loop: Header=BB59_89 Depth=1
	s_and_b64 vcc, exec, s[0:1]
	s_cbranch_vccz .LBB59_88
; %bb.128:                              ;   in Loop: Header=BB59_89 Depth=1
	s_load_dword s0, s[2:3], 0x0
	v_mov_b32_e32 v5, 0
	s_waitcnt lgkmcnt(0)
	s_cmp_lt_u32 s6, s0
	s_cselect_b32 s0, 12, 18
	s_add_u32 s0, s2, s0
	s_addc_u32 s1, s3, 0
	global_load_ushort v3, v2, s[0:1]
	buffer_load_dword v4, off, s[36:39], 0 offset:372 ; 4-byte Folded Reload
	buffer_load_dword v6, off, s[36:39], 0 offset:224 ; 4-byte Folded Reload
	s_waitcnt vmcnt(0)
	v_mad_u32_u24 v3, v6, v3, v4
	v_and_b32_e32 v3, 63, v3
	v_cmp_gt_u32_e32 vcc, 16, v3
	v_mov_b32_e32 v6, 0
	s_and_saveexec_b64 s[0:1], vcc
	s_cbranch_execz .LBB59_87
; %bb.129:                              ;   in Loop: Header=BB59_89 Depth=1
	v_add_co_u32_e32 v3, vcc, v37, v3
	v_addc_co_u32_e32 v4, vcc, 0, v38, vcc
	v_add_co_u32_e32 v3, vcc, 0xffffff01, v3
	v_addc_co_u32_e32 v4, vcc, -1, v4, vcc
	v_cmp_gt_i64_e32 vcc, s[12:13], v[3:4]
	v_mov_b32_e32 v6, 0
	v_mov_b32_e32 v5, 0
	s_and_saveexec_b64 s[16:17], vcc
	s_cbranch_execz .LBB59_86
; %bb.130:                              ;   in Loop: Header=BB59_89 Depth=1
	v_lshlrev_b64 v[3:4], 2, v[3:4]
	v_mov_b32_e32 v5, s23
	v_add_co_u32_e32 v7, vcc, s22, v3
	v_addc_co_u32_e32 v8, vcc, v5, v4, vcc
	v_mov_b32_e32 v5, s21
	v_add_co_u32_e32 v3, vcc, s20, v3
	v_addc_co_u32_e32 v4, vcc, v5, v4, vcc
	global_load_dword v6, v[3:4], off
	global_load_dword v5, v[7:8], off
	s_branch .LBB59_86
.LBB59_131:
	buffer_load_dword v15, off, s[36:39], 0 offset:372 ; 4-byte Folded Reload
.LBB59_132:
	buffer_load_dword v1, off, s[36:39], 0 offset:224 ; 4-byte Folded Reload
	s_movk_i32 s0, 0x41
	s_waitcnt vmcnt(0)
	v_mad_u32_u24 v0, v1, s0, v15
	v_lshl_add_u32 v0, v0, 2, 0
	ds_write_b32 v0, v42
	buffer_load_dword v2, off, s[36:39], 0  ; 4-byte Folded Reload
	buffer_load_dword v3, off, s[36:39], 0 offset:4 ; 4-byte Folded Reload
	s_waitcnt vmcnt(0)
	ds_write_b32 v0, v3 offset:4160
	v_lshrrev_b32_e32 v0, 6, v15
	v_add_u32_e32 v2, v0, v1
	v_cmp_gt_u32_e32 vcc, 64, v2
	s_waitcnt lgkmcnt(0)
	s_barrier
	s_and_saveexec_b64 s[0:1], vcc
	s_cbranch_execz .LBB59_164
; %bb.133:
	s_load_dwordx4 s[8:11], s[4:5], 0x30
	v_and_b32_e32 v0, 63, v15
	v_cmp_gt_u32_e64 s[0:1], 16, v0
	v_mul_u32_u24_e32 v3, 0x41, v0
                                        ; implicit-def: $vgpr0
                                        ; implicit-def: $vgpr1
	s_and_saveexec_b64 s[2:3], s[0:1]
	s_cbranch_execz .LBB59_135
; %bb.134:
	v_add_u32_e32 v0, v2, v3
	v_lshl_add_u32 v0, v0, 2, 0
	ds_read_b32 v1, v0
	ds_read_b32 v0, v0 offset:4160
.LBB59_135:
	s_or_b64 exec, exec, s[2:3]
	v_mbcnt_lo_u32_b32 v4, -1, 0
	v_mbcnt_hi_u32_b32 v7, -1, v4
	v_and_b32_e32 v4, 64, v7
	v_add_u32_e32 v8, 64, v4
	v_xor_b32_e32 v4, 8, v7
	v_cmp_lt_i32_e32 vcc, v4, v8
	v_cndmask_b32_e32 v4, v7, v4, vcc
	v_lshlrev_b32_e32 v4, 2, v4
	s_waitcnt lgkmcnt(0)
	ds_bpermute_b32 v5, v4, v1
	v_xor_b32_e32 v6, 4, v7
	v_cmp_lt_i32_e32 vcc, v6, v8
	ds_bpermute_b32 v9, v4, v0
	s_mov_b32 s7, 0
	s_waitcnt lgkmcnt(1)
	v_add_f32_e32 v1, v1, v5
	v_cndmask_b32_e32 v5, v7, v6, vcc
	v_lshlrev_b32_e32 v5, 2, v5
	ds_bpermute_b32 v6, v5, v1
	s_waitcnt lgkmcnt(1)
	v_add_f32_e32 v0, v0, v9
	ds_bpermute_b32 v9, v5, v0
	s_lshl_b64 s[4:5], s[6:7], 6
	s_cmp_lg_u64 s[8:9], 0
	s_waitcnt lgkmcnt(1)
	v_add_f32_e32 v1, v1, v6
	v_xor_b32_e32 v6, 2, v7
	v_cmp_lt_i32_e32 vcc, v6, v8
	v_cndmask_b32_e32 v6, v7, v6, vcc
	v_lshlrev_b32_e32 v6, 2, v6
	ds_bpermute_b32 v10, v6, v1
	s_waitcnt lgkmcnt(1)
	v_add_f32_e32 v0, v0, v9
	ds_bpermute_b32 v9, v6, v0
	v_cmp_eq_u32_e64 s[2:3], 0, v15
	s_cselect_b64 s[12:13], -1, 0
	s_waitcnt lgkmcnt(1)
	v_add_f32_e32 v1, v1, v10
	v_xor_b32_e32 v10, 1, v7
	v_cmp_lt_i32_e32 vcc, v10, v8
	v_cndmask_b32_e32 v7, v7, v10, vcc
	v_lshlrev_b32_e32 v7, 2, v7
	ds_bpermute_b32 v8, v7, v1
	s_waitcnt lgkmcnt(1)
	v_add_f32_e32 v9, v0, v9
	ds_bpermute_b32 v10, v7, v9
	v_or_b32_e32 v0, s4, v2
	s_cmp_lg_u64 s[10:11], 0
	s_waitcnt lgkmcnt(1)
	v_add_f32_e32 v8, v1, v8
	v_mov_b32_e32 v1, s5
	v_cmp_gt_i64_e32 vcc, s[14:15], v[0:1]
	s_cselect_b64 s[6:7], -1, 0
	s_waitcnt lgkmcnt(0)
	v_add_f32_e32 v9, v9, v10
	s_and_b64 s[18:19], s[2:3], vcc
	s_and_saveexec_b64 s[16:17], s[18:19]
	s_cbranch_execz .LBB59_140
; %bb.136:
	v_lshlrev_b64 v[0:1], 2, v[0:1]
	s_andn2_b64 vcc, exec, s[12:13]
	s_cbranch_vccnz .LBB59_138
; %bb.137:
	v_mov_b32_e32 v11, s9
	v_add_co_u32_e32 v10, vcc, s8, v0
	v_addc_co_u32_e32 v11, vcc, v11, v1, vcc
	global_store_dword v[10:11], v8, off
.LBB59_138:
	s_andn2_b64 vcc, exec, s[6:7]
	s_cbranch_vccnz .LBB59_140
; %bb.139:
	v_mov_b32_e32 v10, s11
	v_add_co_u32_e32 v0, vcc, s10, v0
	v_addc_co_u32_e32 v1, vcc, v10, v1, vcc
	global_store_dword v[0:1], v9, off
.LBB59_140:
	s_or_b64 exec, exec, s[16:17]
	v_cmp_gt_u32_e32 vcc, 48, v2
	s_and_b64 exec, exec, vcc
	s_cbranch_execz .LBB59_164
; %bb.141:
	s_and_saveexec_b64 s[16:17], s[0:1]
	s_cbranch_execz .LBB59_143
; %bb.142:
	v_add_u32_e32 v0, v2, v3
	v_lshl_add_u32 v0, v0, 2, 0
	ds_read_b32 v8, v0 offset:64
	ds_read_b32 v9, v0 offset:4224
.LBB59_143:
	s_or_b64 exec, exec, s[16:17]
	s_waitcnt lgkmcnt(1)
	ds_bpermute_b32 v0, v4, v8
	s_waitcnt lgkmcnt(1)
	ds_bpermute_b32 v1, v4, v9
	v_add_u32_e32 v10, 16, v2
	v_mov_b32_e32 v11, s5
	s_waitcnt lgkmcnt(1)
	v_add_f32_e32 v0, v8, v0
	s_waitcnt lgkmcnt(0)
	v_add_f32_e32 v1, v9, v1
	ds_bpermute_b32 v8, v5, v0
	ds_bpermute_b32 v9, v5, v1
	s_waitcnt lgkmcnt(1)
	v_add_f32_e32 v0, v0, v8
	s_waitcnt lgkmcnt(0)
	v_add_f32_e32 v1, v1, v9
	ds_bpermute_b32 v8, v6, v0
	ds_bpermute_b32 v9, v6, v1
	s_waitcnt lgkmcnt(1)
	v_add_f32_e32 v8, v0, v8
	s_waitcnt lgkmcnt(0)
	v_add_f32_e32 v9, v1, v9
	ds_bpermute_b32 v12, v7, v8
	ds_bpermute_b32 v13, v7, v9
	v_add_co_u32_e32 v0, vcc, s4, v10
	v_addc_co_u32_e32 v1, vcc, 0, v11, vcc
	v_cmp_gt_i64_e32 vcc, s[14:15], v[0:1]
	s_waitcnt lgkmcnt(1)
	v_add_f32_e32 v0, v8, v12
	s_waitcnt lgkmcnt(0)
	v_add_f32_e32 v1, v9, v13
	s_and_b64 s[18:19], s[2:3], vcc
	s_and_saveexec_b64 s[16:17], s[18:19]
	s_cbranch_execz .LBB59_148
; %bb.144:
	s_andn2_b64 vcc, exec, s[12:13]
	s_cbranch_vccnz .LBB59_146
; %bb.145:
	v_mov_b32_e32 v9, s5
	v_add_co_u32_e32 v8, vcc, s4, v2
	v_addc_co_u32_e32 v9, vcc, 0, v9, vcc
	v_lshlrev_b64 v[8:9], 2, v[8:9]
	v_mov_b32_e32 v10, s9
	v_add_co_u32_e32 v8, vcc, s8, v8
	v_addc_co_u32_e32 v9, vcc, v10, v9, vcc
	global_store_dword v[8:9], v0, off offset:64
.LBB59_146:
	s_andn2_b64 vcc, exec, s[6:7]
	s_cbranch_vccnz .LBB59_148
; %bb.147:
	v_mov_b32_e32 v9, s5
	v_add_co_u32_e32 v8, vcc, s4, v2
	v_addc_co_u32_e32 v9, vcc, 0, v9, vcc
	v_lshlrev_b64 v[8:9], 2, v[8:9]
	v_mov_b32_e32 v10, s11
	v_add_co_u32_e32 v8, vcc, s10, v8
	v_addc_co_u32_e32 v9, vcc, v10, v9, vcc
	global_store_dword v[8:9], v1, off offset:64
.LBB59_148:
	s_or_b64 exec, exec, s[16:17]
	v_cmp_gt_u32_e32 vcc, 32, v2
	s_and_b64 exec, exec, vcc
	s_cbranch_execz .LBB59_164
; %bb.149:
	s_and_saveexec_b64 s[16:17], s[0:1]
	s_cbranch_execz .LBB59_151
; %bb.150:
	v_add_u32_e32 v0, v2, v3
	v_lshl_add_u32 v1, v0, 2, 0
	ds_read_b32 v0, v1 offset:128
	ds_read_b32 v1, v1 offset:4288
.LBB59_151:
	s_or_b64 exec, exec, s[16:17]
	s_waitcnt lgkmcnt(1)
	ds_bpermute_b32 v8, v4, v0
	s_waitcnt lgkmcnt(1)
	ds_bpermute_b32 v9, v4, v1
	v_add_u32_e32 v10, 32, v2
	s_waitcnt lgkmcnt(1)
	v_add_f32_e32 v0, v0, v8
	s_waitcnt lgkmcnt(0)
	v_add_f32_e32 v1, v1, v9
	ds_bpermute_b32 v8, v5, v0
	ds_bpermute_b32 v9, v5, v1
	s_waitcnt lgkmcnt(1)
	v_add_f32_e32 v0, v0, v8
	s_waitcnt lgkmcnt(0)
	v_add_f32_e32 v1, v1, v9
	ds_bpermute_b32 v8, v6, v0
	ds_bpermute_b32 v9, v6, v1
	;; [unrolled: 6-line block ×3, first 2 shown]
	v_mov_b32_e32 v1, s5
	v_or_b32_e32 v0, s4, v10
	v_cmp_gt_i64_e32 vcc, s[14:15], v[0:1]
	s_waitcnt lgkmcnt(1)
	v_add_f32_e32 v0, v8, v11
	s_waitcnt lgkmcnt(0)
	v_add_f32_e32 v1, v9, v12
	s_and_b64 s[18:19], s[2:3], vcc
	s_and_saveexec_b64 s[16:17], s[18:19]
	s_cbranch_execz .LBB59_156
; %bb.152:
	s_andn2_b64 vcc, exec, s[12:13]
	s_cbranch_vccnz .LBB59_154
; %bb.153:
	v_mov_b32_e32 v9, s5
	v_add_co_u32_e32 v8, vcc, s4, v2
	v_addc_co_u32_e32 v9, vcc, 0, v9, vcc
	v_lshlrev_b64 v[8:9], 2, v[8:9]
	v_mov_b32_e32 v10, s9
	v_add_co_u32_e32 v8, vcc, s8, v8
	v_addc_co_u32_e32 v9, vcc, v10, v9, vcc
	global_store_dword v[8:9], v0, off offset:128
.LBB59_154:
	s_andn2_b64 vcc, exec, s[6:7]
	s_cbranch_vccnz .LBB59_156
; %bb.155:
	v_mov_b32_e32 v9, s5
	v_add_co_u32_e32 v8, vcc, s4, v2
	v_addc_co_u32_e32 v9, vcc, 0, v9, vcc
	v_lshlrev_b64 v[8:9], 2, v[8:9]
	v_mov_b32_e32 v10, s11
	v_add_co_u32_e32 v8, vcc, s10, v8
	v_addc_co_u32_e32 v9, vcc, v10, v9, vcc
	global_store_dword v[8:9], v1, off offset:128
.LBB59_156:
	s_or_b64 exec, exec, s[16:17]
	v_cmp_gt_u32_e32 vcc, 16, v2
	s_and_b64 exec, exec, vcc
	s_cbranch_execz .LBB59_164
; %bb.157:
	s_and_saveexec_b64 s[16:17], s[0:1]
	s_cbranch_execz .LBB59_159
; %bb.158:
	v_add_u32_e32 v0, v2, v3
	v_lshl_add_u32 v1, v0, 2, 0
	ds_read_b32 v0, v1 offset:192
	ds_read_b32 v1, v1 offset:4352
.LBB59_159:
	s_or_b64 exec, exec, s[16:17]
	s_waitcnt lgkmcnt(1)
	ds_bpermute_b32 v3, v4, v0
	s_waitcnt lgkmcnt(1)
	ds_bpermute_b32 v4, v4, v1
	s_waitcnt lgkmcnt(1)
	v_add_f32_e32 v0, v0, v3
	s_waitcnt lgkmcnt(0)
	v_add_f32_e32 v1, v1, v4
	ds_bpermute_b32 v3, v5, v0
	ds_bpermute_b32 v4, v5, v1
	v_add_u32_e32 v5, 48, v2
	v_or_b32_e32 v5, s4, v5
	s_waitcnt lgkmcnt(1)
	v_add_f32_e32 v0, v0, v3
	s_waitcnt lgkmcnt(0)
	v_add_f32_e32 v1, v1, v4
	ds_bpermute_b32 v3, v6, v0
	ds_bpermute_b32 v4, v6, v1
	v_mov_b32_e32 v6, s5
	v_cmp_gt_i64_e32 vcc, s[14:15], v[5:6]
	s_waitcnt lgkmcnt(1)
	v_add_f32_e32 v3, v0, v3
	s_waitcnt lgkmcnt(0)
	v_add_f32_e32 v0, v1, v4
	ds_bpermute_b32 v4, v7, v3
	ds_bpermute_b32 v1, v7, v0
	s_and_b64 s[0:1], s[2:3], vcc
	s_and_b64 exec, exec, s[0:1]
	s_cbranch_execz .LBB59_164
; %bb.160:
	s_andn2_b64 vcc, exec, s[12:13]
	s_cbranch_vccnz .LBB59_162
; %bb.161:
	s_waitcnt lgkmcnt(1)
	v_add_f32_e32 v5, v3, v4
	v_mov_b32_e32 v4, s5
	v_add_co_u32_e32 v3, vcc, s4, v2
	v_addc_co_u32_e32 v4, vcc, 0, v4, vcc
	v_lshlrev_b64 v[3:4], 2, v[3:4]
	v_mov_b32_e32 v6, s9
	v_add_co_u32_e32 v3, vcc, s8, v3
	v_addc_co_u32_e32 v4, vcc, v6, v4, vcc
	global_store_dword v[3:4], v5, off offset:192
.LBB59_162:
	s_andn2_b64 vcc, exec, s[6:7]
	s_cbranch_vccnz .LBB59_164
; %bb.163:
	s_waitcnt lgkmcnt(0)
	v_add_f32_e32 v3, v0, v1
	v_mov_b32_e32 v1, s5
	v_add_co_u32_e32 v0, vcc, s4, v2
	v_addc_co_u32_e32 v1, vcc, 0, v1, vcc
	v_lshlrev_b64 v[0:1], 2, v[0:1]
	v_mov_b32_e32 v2, s11
	v_add_co_u32_e32 v0, vcc, s10, v0
	v_addc_co_u32_e32 v1, vcc, v2, v1, vcc
	global_store_dword v[0:1], v3, off offset:192
.LBB59_164:
	s_endpgm
	.section	.rodata,"a",@progbits
	.p2align	6, 0x0
	.amdhsa_kernel _ZN2at6native12_GLOBAL__N_135GammaBetaBackwardCUDAKernelTemplateIffLj64ELj16ELj256ELb0ELb0ELb0EEEvllPKT_S5_PKT0_S8_PS3_S9_
		.amdhsa_group_segment_fixed_size 0
		.amdhsa_private_segment_fixed_size 444
		.amdhsa_kernarg_size 320
		.amdhsa_user_sgpr_count 6
		.amdhsa_user_sgpr_private_segment_buffer 1
		.amdhsa_user_sgpr_dispatch_ptr 0
		.amdhsa_user_sgpr_queue_ptr 0
		.amdhsa_user_sgpr_kernarg_segment_ptr 1
		.amdhsa_user_sgpr_dispatch_id 0
		.amdhsa_user_sgpr_flat_scratch_init 0
		.amdhsa_user_sgpr_private_segment_size 0
		.amdhsa_uses_dynamic_stack 0
		.amdhsa_system_sgpr_private_segment_wavefront_offset 1
		.amdhsa_system_sgpr_workgroup_id_x 1
		.amdhsa_system_sgpr_workgroup_id_y 1
		.amdhsa_system_sgpr_workgroup_id_z 0
		.amdhsa_system_sgpr_workgroup_info 0
		.amdhsa_system_vgpr_workitem_id 1
		.amdhsa_next_free_vgpr 64
		.amdhsa_next_free_sgpr 40
		.amdhsa_reserve_vcc 1
		.amdhsa_reserve_flat_scratch 0
		.amdhsa_float_round_mode_32 0
		.amdhsa_float_round_mode_16_64 0
		.amdhsa_float_denorm_mode_32 3
		.amdhsa_float_denorm_mode_16_64 3
		.amdhsa_dx10_clamp 1
		.amdhsa_ieee_mode 1
		.amdhsa_fp16_overflow 0
		.amdhsa_exception_fp_ieee_invalid_op 0
		.amdhsa_exception_fp_denorm_src 0
		.amdhsa_exception_fp_ieee_div_zero 0
		.amdhsa_exception_fp_ieee_overflow 0
		.amdhsa_exception_fp_ieee_underflow 0
		.amdhsa_exception_fp_ieee_inexact 0
		.amdhsa_exception_int_div_zero 0
	.end_amdhsa_kernel
	.section	.text._ZN2at6native12_GLOBAL__N_135GammaBetaBackwardCUDAKernelTemplateIffLj64ELj16ELj256ELb0ELb0ELb0EEEvllPKT_S5_PKT0_S8_PS3_S9_,"axG",@progbits,_ZN2at6native12_GLOBAL__N_135GammaBetaBackwardCUDAKernelTemplateIffLj64ELj16ELj256ELb0ELb0ELb0EEEvllPKT_S5_PKT0_S8_PS3_S9_,comdat
.Lfunc_end59:
	.size	_ZN2at6native12_GLOBAL__N_135GammaBetaBackwardCUDAKernelTemplateIffLj64ELj16ELj256ELb0ELb0ELb0EEEvllPKT_S5_PKT0_S8_PS3_S9_, .Lfunc_end59-_ZN2at6native12_GLOBAL__N_135GammaBetaBackwardCUDAKernelTemplateIffLj64ELj16ELj256ELb0ELb0ELb0EEEvllPKT_S5_PKT0_S8_PS3_S9_
                                        ; -- End function
	.set _ZN2at6native12_GLOBAL__N_135GammaBetaBackwardCUDAKernelTemplateIffLj64ELj16ELj256ELb0ELb0ELb0EEEvllPKT_S5_PKT0_S8_PS3_S9_.num_vgpr, 64
	.set _ZN2at6native12_GLOBAL__N_135GammaBetaBackwardCUDAKernelTemplateIffLj64ELj16ELj256ELb0ELb0ELb0EEEvllPKT_S5_PKT0_S8_PS3_S9_.num_agpr, 0
	.set _ZN2at6native12_GLOBAL__N_135GammaBetaBackwardCUDAKernelTemplateIffLj64ELj16ELj256ELb0ELb0ELb0EEEvllPKT_S5_PKT0_S8_PS3_S9_.numbered_sgpr, 40
	.set _ZN2at6native12_GLOBAL__N_135GammaBetaBackwardCUDAKernelTemplateIffLj64ELj16ELj256ELb0ELb0ELb0EEEvllPKT_S5_PKT0_S8_PS3_S9_.num_named_barrier, 0
	.set _ZN2at6native12_GLOBAL__N_135GammaBetaBackwardCUDAKernelTemplateIffLj64ELj16ELj256ELb0ELb0ELb0EEEvllPKT_S5_PKT0_S8_PS3_S9_.private_seg_size, 444
	.set _ZN2at6native12_GLOBAL__N_135GammaBetaBackwardCUDAKernelTemplateIffLj64ELj16ELj256ELb0ELb0ELb0EEEvllPKT_S5_PKT0_S8_PS3_S9_.uses_vcc, 1
	.set _ZN2at6native12_GLOBAL__N_135GammaBetaBackwardCUDAKernelTemplateIffLj64ELj16ELj256ELb0ELb0ELb0EEEvllPKT_S5_PKT0_S8_PS3_S9_.uses_flat_scratch, 0
	.set _ZN2at6native12_GLOBAL__N_135GammaBetaBackwardCUDAKernelTemplateIffLj64ELj16ELj256ELb0ELb0ELb0EEEvllPKT_S5_PKT0_S8_PS3_S9_.has_dyn_sized_stack, 0
	.set _ZN2at6native12_GLOBAL__N_135GammaBetaBackwardCUDAKernelTemplateIffLj64ELj16ELj256ELb0ELb0ELb0EEEvllPKT_S5_PKT0_S8_PS3_S9_.has_recursion, 0
	.set _ZN2at6native12_GLOBAL__N_135GammaBetaBackwardCUDAKernelTemplateIffLj64ELj16ELj256ELb0ELb0ELb0EEEvllPKT_S5_PKT0_S8_PS3_S9_.has_indirect_call, 0
	.section	.AMDGPU.csdata,"",@progbits
; Kernel info:
; codeLenInByte = 19864
; TotalNumSgprs: 44
; NumVgprs: 64
; ScratchSize: 444
; MemoryBound: 0
; FloatMode: 240
; IeeeMode: 1
; LDSByteSize: 0 bytes/workgroup (compile time only)
; SGPRBlocks: 5
; VGPRBlocks: 15
; NumSGPRsForWavesPerEU: 44
; NumVGPRsForWavesPerEU: 64
; Occupancy: 4
; WaveLimiterHint : 0
; COMPUTE_PGM_RSRC2:SCRATCH_EN: 1
; COMPUTE_PGM_RSRC2:USER_SGPR: 6
; COMPUTE_PGM_RSRC2:TRAP_HANDLER: 0
; COMPUTE_PGM_RSRC2:TGID_X_EN: 1
; COMPUTE_PGM_RSRC2:TGID_Y_EN: 1
; COMPUTE_PGM_RSRC2:TGID_Z_EN: 0
; COMPUTE_PGM_RSRC2:TIDIG_COMP_CNT: 1
	.section	.text._ZN2at6native12_GLOBAL__N_135GammaBetaBackwardCUDAKernelTemplateIffLj32ELj1ELj32ELb1ELb1ELb0EEEvllPKT_S5_PKT0_S8_PS3_S9_,"axG",@progbits,_ZN2at6native12_GLOBAL__N_135GammaBetaBackwardCUDAKernelTemplateIffLj32ELj1ELj32ELb1ELb1ELb0EEEvllPKT_S5_PKT0_S8_PS3_S9_,comdat
	.globl	_ZN2at6native12_GLOBAL__N_135GammaBetaBackwardCUDAKernelTemplateIffLj32ELj1ELj32ELb1ELb1ELb0EEEvllPKT_S5_PKT0_S8_PS3_S9_ ; -- Begin function _ZN2at6native12_GLOBAL__N_135GammaBetaBackwardCUDAKernelTemplateIffLj32ELj1ELj32ELb1ELb1ELb0EEEvllPKT_S5_PKT0_S8_PS3_S9_
	.p2align	8
	.type	_ZN2at6native12_GLOBAL__N_135GammaBetaBackwardCUDAKernelTemplateIffLj32ELj1ELj32ELb1ELb1ELb0EEEvllPKT_S5_PKT0_S8_PS3_S9_,@function
_ZN2at6native12_GLOBAL__N_135GammaBetaBackwardCUDAKernelTemplateIffLj32ELj1ELj32ELb1ELb1ELb0EEEvllPKT_S5_PKT0_S8_PS3_S9_: ; @_ZN2at6native12_GLOBAL__N_135GammaBetaBackwardCUDAKernelTemplateIffLj32ELj1ELj32ELb1ELb1ELb0EEEvllPKT_S5_PKT0_S8_PS3_S9_
; %bb.0:
	s_load_dwordx4 s[16:19], s[4:5], 0x0
	s_lshl_b32 s24, s7, 5
	s_mov_b32 s25, 0
	v_mov_b32_e32 v2, s24
	v_mov_b32_e32 v3, s25
	s_waitcnt lgkmcnt(0)
	v_cmp_gt_i64_e32 vcc, s[16:17], v[2:3]
	s_mov_b32 s2, s7
	s_cbranch_vccnz .LBB60_2
; %bb.1:
	s_add_u32 s26, s4, 64
	s_addc_u32 s27, s5, 0
	s_mov_b64 s[0:1], 0
	s_branch .LBB60_3
.LBB60_2:
	s_mov_b64 s[0:1], -1
                                        ; implicit-def: $sgpr26_sgpr27
.LBB60_3:
	s_load_dwordx4 s[20:23], s[4:5], 0x30
	v_mov_b32_e32 v15, 0
	s_andn2_b64 vcc, exec, s[0:1]
	v_mov_b32_e32 v3, 0
	s_cbranch_vccnz .LBB60_10
; %bb.4:
	v_lshlrev_b32_e32 v4, 5, v1
	v_mbcnt_lo_u32_b32 v5, -1, 0
	s_add_u32 s26, s4, 64
	v_mbcnt_hi_u32_b32 v5, -1, v5
	v_add_co_u32_e32 v20, vcc, s24, v4
	s_load_dword s0, s[4:5], 0x4c
	s_load_dword s3, s[4:5], 0x44
	s_load_dwordx8 s[8:15], s[4:5], 0x10
	s_addc_u32 s27, s5, 0
	v_lshlrev_b32_e32 v5, 2, v5
	v_addc_co_u32_e64 v21, s[4:5], 0, 0, vcc
	v_and_b32_e32 v8, 0x100, v5
	v_mul_lo_u32 v6, s19, v20
	v_mul_lo_u32 v7, s18, v21
	v_mad_u64_u32 v[4:5], s[4:5], s18, v20, 0
	s_waitcnt lgkmcnt(0)
	s_and_b32 s0, s0, 0xffff
	v_mad_u32_u24 v2, v1, s0, v0
	v_and_b32_e32 v15, 63, v2
	v_mov_b32_e32 v3, 0
	v_lshl_or_b32 v2, s6, 5, v0
	v_add3_u32 v5, v5, v7, v6
	v_lshlrev_b64 v[4:5], 2, v[4:5]
	v_lshlrev_b64 v[6:7], 2, v[2:3]
	s_lshl_b32 s28, s3, 5
	v_add_co_u32_e32 v2, vcc, v4, v6
	v_addc_co_u32_e32 v16, vcc, v5, v7, vcc
	v_add_co_u32_e32 v4, vcc, v20, v15
	v_addc_co_u32_e32 v5, vcc, 0, v21, vcc
	s_mul_i32 s3, s19, s28
	s_mul_hi_u32 s4, s18, s28
	s_mov_b32 s29, 0
	s_add_i32 s5, s4, s3
	s_mul_i32 s4, s18, s28
	v_lshlrev_b64 v[6:7], 2, v[4:5]
	v_cmp_gt_u32_e64 s[0:1], 32, v15
	v_or_b32_e32 v9, 4, v8
	v_or_b32_e32 v10, 8, v8
	;; [unrolled: 1-line block ×10, first 2 shown]
	s_lshl_b64 s[30:31], s[28:29], 2
	s_lshl_b64 s[34:35], s[4:5], 2
	;; [unrolled: 1-line block ×3, first 2 shown]
	v_or_b32_e32 v21, 44, v8
	v_or_b32_e32 v22, 48, v8
	;; [unrolled: 1-line block ×21, first 2 shown]
	v_mov_b32_e32 v15, v3
	s_branch .LBB60_7
.LBB60_5:                               ;   in Loop: Header=BB60_7 Depth=1
	s_or_b64 exec, exec, s[38:39]
.LBB60_6:                               ;   in Loop: Header=BB60_7 Depth=1
	s_or_b64 exec, exec, s[4:5]
	v_mov_b32_e32 v45, s11
	v_add_co_u32_e32 v46, vcc, s10, v2
	v_addc_co_u32_e32 v47, vcc, v45, v16, vcc
	v_mov_b32_e32 v44, s9
	v_add_co_u32_e32 v48, vcc, s8, v2
	v_addc_co_u32_e32 v49, vcc, v44, v16, vcc
	global_load_dword v57, v[46:47], off
	v_mov_b32_e32 v45, s37
	v_add_co_u32_e32 v46, vcc, s36, v46
	v_addc_co_u32_e32 v47, vcc, v47, v45, vcc
	global_load_dword v44, v[48:49], off
	v_add_co_u32_e32 v48, vcc, s36, v48
	v_addc_co_u32_e32 v49, vcc, v49, v45, vcc
	v_add_co_u32_e32 v50, vcc, s36, v46
	v_addc_co_u32_e32 v51, vcc, v47, v45, vcc
	v_add_co_u32_e32 v52, vcc, s36, v48
	v_addc_co_u32_e32 v53, vcc, v49, v45, vcc
	v_add_co_u32_e32 v54, vcc, s36, v50
	global_load_dword v58, v[46:47], off
	v_addc_co_u32_e32 v55, vcc, v51, v45, vcc
	global_load_dword v46, v[48:49], off
	v_add_co_u32_e32 v49, vcc, s36, v52
	global_load_dword v59, v[50:51], off
	global_load_dword v47, v[52:53], off
	;; [unrolled: 1-line block ×3, first 2 shown]
	v_addc_co_u32_e32 v50, vcc, v53, v45, vcc
	global_load_dword v48, v[49:50], off
	v_add_co_u32_e32 v51, vcc, s36, v54
	v_addc_co_u32_e32 v52, vcc, v55, v45, vcc
	v_add_co_u32_e32 v49, vcc, s36, v49
	v_addc_co_u32_e32 v50, vcc, v50, v45, vcc
	;; [unrolled: 2-line block ×3, first 2 shown]
	global_load_dword v70, v[51:52], off
	global_load_dword v71, v[53:54], off
	v_add_co_u32_e32 v51, vcc, s36, v49
	global_load_dword v49, v[49:50], off
	s_waitcnt vmcnt(12)
	ds_bpermute_b32 v61, v8, v43
	ds_bpermute_b32 v63, v9, v43
	s_waitcnt vmcnt(11)
	ds_bpermute_b32 v62, v8, v42
	ds_bpermute_b32 v65, v10, v43
	;; [unrolled: 1-line block ×5, first 2 shown]
	v_addc_co_u32_e32 v52, vcc, v50, v45, vcc
	v_add_co_u32_e32 v55, vcc, s36, v53
	v_addc_co_u32_e32 v56, vcc, v54, v45, vcc
	ds_bpermute_b32 v69, v12, v43
	ds_bpermute_b32 v68, v11, v42
	s_add_u32 s24, s24, s28
	s_addc_u32 s25, s25, 0
	v_add_co_u32_e64 v2, s[4:5], s34, v2
	s_waitcnt vmcnt(10) lgkmcnt(8)
	v_sub_f32_e32 v50, v57, v61
	s_waitcnt vmcnt(9)
	v_mul_f32_e32 v50, v44, v50
	s_waitcnt lgkmcnt(6)
	v_fmac_f32_e32 v3, v50, v62
	v_add_f32_e32 v15, v15, v44
	v_mov_b32_e32 v44, s35
	v_addc_co_u32_e64 v16, s[4:5], v16, v44, s[4:5]
	s_waitcnt vmcnt(8)
	v_sub_f32_e32 v53, v58, v63
	s_waitcnt vmcnt(7)
	v_mul_f32_e32 v50, v46, v53
	s_waitcnt vmcnt(6) lgkmcnt(5)
	v_sub_f32_e32 v53, v59, v65
	s_waitcnt lgkmcnt(4)
	v_fmac_f32_e32 v3, v50, v64
	s_waitcnt vmcnt(5)
	v_mul_f32_e32 v50, v47, v53
	s_waitcnt vmcnt(4) lgkmcnt(3)
	v_sub_f32_e32 v53, v60, v67
	s_waitcnt lgkmcnt(2)
	v_fmac_f32_e32 v3, v50, v66
	s_waitcnt vmcnt(3)
	v_mul_f32_e32 v59, v48, v53
	v_add_co_u32_e32 v53, vcc, s36, v51
	v_addc_co_u32_e32 v54, vcc, v52, v45, vcc
	global_load_dword v50, v[51:52], off
	v_add_co_u32_e32 v57, vcc, s36, v55
	v_addc_co_u32_e32 v58, vcc, v56, v45, vcc
	global_load_dword v60, v[55:56], off
	global_load_dword v61, v[57:58], off
	v_add_co_u32_e32 v55, vcc, s36, v53
	v_addc_co_u32_e32 v56, vcc, v54, v45, vcc
	global_load_dword v51, v[53:54], off
	v_add_co_u32_e32 v53, vcc, s36, v57
	v_addc_co_u32_e32 v54, vcc, v58, v45, vcc
	v_add_co_u32_e32 v57, vcc, s36, v55
	global_load_dword v52, v[55:56], off
	v_addc_co_u32_e32 v58, vcc, v56, v45, vcc
	global_load_dword v63, v[57:58], off
	v_add_co_u32_e32 v55, vcc, s36, v53
	v_addc_co_u32_e32 v56, vcc, v54, v45, vcc
	global_load_dword v62, v[53:54], off
	v_add_co_u32_e32 v53, vcc, s36, v57
	v_addc_co_u32_e32 v54, vcc, v58, v45, vcc
	v_add_co_u32_e32 v57, vcc, s36, v55
	global_load_dword v64, v[55:56], off
	v_addc_co_u32_e32 v58, vcc, v56, v45, vcc
	global_load_dword v65, v[53:54], off
	v_add_co_u32_e32 v55, vcc, s36, v53
	v_addc_co_u32_e32 v56, vcc, v54, v45, vcc
	v_add_co_u32_e32 v53, vcc, s36, v57
	v_addc_co_u32_e32 v54, vcc, v58, v45, vcc
	global_load_dword v66, v[57:58], off
	v_add_co_u32_e32 v57, vcc, s36, v55
	global_load_dword v67, v[55:56], off
	v_addc_co_u32_e32 v58, vcc, v56, v45, vcc
	global_load_dword v72, v[53:54], off
	v_add_co_u32_e32 v55, vcc, s36, v53
	global_load_dword v73, v[57:58], off
	v_addc_co_u32_e32 v56, vcc, v54, v45, vcc
	v_add_co_u32_e32 v53, vcc, s36, v57
	v_addc_co_u32_e32 v54, vcc, v58, v45, vcc
	v_add_co_u32_e32 v57, vcc, s36, v55
	v_addc_co_u32_e32 v58, vcc, v56, v45, vcc
	global_load_dword v74, v[55:56], off
	global_load_dword v75, v[53:54], off
	v_add_co_u32_e32 v53, vcc, s36, v53
	v_addc_co_u32_e32 v54, vcc, v54, v45, vcc
	global_load_dword v76, v[57:58], off
	global_load_dword v77, v[53:54], off
	s_waitcnt vmcnt(19) lgkmcnt(1)
	v_sub_f32_e32 v55, v70, v69
	s_waitcnt lgkmcnt(0)
	v_fmac_f32_e32 v3, v59, v68
	s_waitcnt vmcnt(17)
	v_mul_f32_e32 v59, v49, v55
	v_add_co_u32_e32 v55, vcc, s36, v57
	v_addc_co_u32_e32 v56, vcc, v58, v45, vcc
	v_add_co_u32_e32 v53, vcc, s36, v53
	v_addc_co_u32_e32 v54, vcc, v54, v45, vcc
	;; [unrolled: 2-line block ×3, first 2 shown]
	ds_bpermute_b32 v68, v12, v42
	global_load_dword v70, v[55:56], off
	v_add_co_u32_e32 v55, vcc, s36, v53
	ds_bpermute_b32 v69, v13, v43
	v_addc_co_u32_e32 v56, vcc, v54, v45, vcc
	global_load_dword v78, v[53:54], off
	v_add_co_u32_e32 v53, vcc, s36, v57
	v_addc_co_u32_e32 v54, vcc, v58, v45, vcc
	global_load_dword v79, v[57:58], off
	global_load_dword v80, v[55:56], off
	ds_bpermute_b32 v58, v13, v42
	s_waitcnt lgkmcnt(2)
	v_fmac_f32_e32 v3, v59, v68
	ds_bpermute_b32 v68, v14, v43
	s_waitcnt lgkmcnt(2)
	v_sub_f32_e32 v59, v71, v69
	s_waitcnt vmcnt(20)
	v_mul_f32_e32 v59, v50, v59
	v_add_co_u32_e32 v55, vcc, s36, v55
	s_waitcnt lgkmcnt(1)
	v_fmac_f32_e32 v3, v59, v58
	ds_bpermute_b32 v58, v14, v42
	ds_bpermute_b32 v59, v17, v43
	v_addc_co_u32_e32 v56, vcc, v56, v45, vcc
	global_load_dword v57, v[53:54], off
	global_load_dword v81, v[55:56], off
	s_waitcnt vmcnt(21) lgkmcnt(2)
	v_sub_f32_e32 v60, v60, v68
	ds_bpermute_b32 v68, v17, v42
	s_waitcnt vmcnt(19)
	v_mul_f32_e32 v60, v51, v60
	s_waitcnt lgkmcnt(2)
	v_fmac_f32_e32 v3, v60, v58
	s_waitcnt lgkmcnt(1)
	v_sub_f32_e32 v58, v61, v59
	ds_bpermute_b32 v59, v18, v43
	s_waitcnt vmcnt(18)
	v_mul_f32_e32 v58, v52, v58
	s_waitcnt lgkmcnt(1)
	v_fmac_f32_e32 v3, v58, v68
	ds_bpermute_b32 v58, v18, v42
	ds_bpermute_b32 v60, v19, v43
	;; [unrolled: 1-line block ×3, first 2 shown]
	s_waitcnt vmcnt(16) lgkmcnt(3)
	v_sub_f32_e32 v59, v62, v59
	v_mul_f32_e32 v59, v63, v59
	s_waitcnt lgkmcnt(2)
	v_fmac_f32_e32 v3, v59, v58
	s_waitcnt vmcnt(15) lgkmcnt(1)
	v_sub_f32_e32 v58, v64, v60
	ds_bpermute_b32 v59, v20, v43
	s_waitcnt vmcnt(14)
	v_mul_f32_e32 v58, v65, v58
	s_waitcnt lgkmcnt(1)
	v_fmac_f32_e32 v3, v58, v61
	ds_bpermute_b32 v58, v20, v42
	ds_bpermute_b32 v60, v21, v43
	;; [unrolled: 1-line block ×3, first 2 shown]
	s_waitcnt vmcnt(13) lgkmcnt(3)
	v_sub_f32_e32 v59, v66, v59
	s_waitcnt vmcnt(12)
	v_mul_f32_e32 v59, v67, v59
	s_waitcnt lgkmcnt(2)
	v_fmac_f32_e32 v3, v59, v58
	s_waitcnt vmcnt(11) lgkmcnt(1)
	v_sub_f32_e32 v58, v72, v60
	ds_bpermute_b32 v59, v22, v43
	s_waitcnt vmcnt(10)
	v_mul_f32_e32 v58, v73, v58
	s_waitcnt lgkmcnt(1)
	v_fmac_f32_e32 v3, v58, v61
	ds_bpermute_b32 v58, v22, v42
	ds_bpermute_b32 v60, v23, v43
	;; [unrolled: 1-line block ×3, first 2 shown]
	v_add_co_u32_e32 v53, vcc, s36, v53
	s_waitcnt vmcnt(9) lgkmcnt(3)
	v_sub_f32_e32 v59, v74, v59
	s_waitcnt vmcnt(8)
	v_mul_f32_e32 v59, v75, v59
	v_addc_co_u32_e32 v54, vcc, v54, v45, vcc
	s_waitcnt lgkmcnt(2)
	v_fmac_f32_e32 v3, v59, v58
	s_waitcnt vmcnt(7) lgkmcnt(1)
	v_sub_f32_e32 v58, v76, v60
	v_add_co_u32_e32 v55, vcc, s36, v55
	s_waitcnt vmcnt(6)
	v_mul_f32_e32 v58, v77, v58
	global_load_dword v60, v[53:54], off
	v_addc_co_u32_e32 v56, vcc, v56, v45, vcc
	s_waitcnt lgkmcnt(0)
	v_fmac_f32_e32 v3, v58, v61
	global_load_dword v61, v[55:56], off
	v_add_co_u32_e32 v53, vcc, s36, v53
	v_addc_co_u32_e32 v54, vcc, v54, v45, vcc
	v_add_co_u32_e32 v55, vcc, s36, v55
	v_addc_co_u32_e32 v56, vcc, v56, v45, vcc
	global_load_dword v62, v[53:54], off
	global_load_dword v64, v[55:56], off
	ds_bpermute_b32 v58, v24, v43
	ds_bpermute_b32 v59, v24, v42
	;; [unrolled: 1-line block ×4, first 2 shown]
	v_add_co_u32_e32 v53, vcc, s36, v53
	s_waitcnt vmcnt(9) lgkmcnt(3)
	v_sub_f32_e32 v58, v70, v58
	s_waitcnt vmcnt(8)
	v_mul_f32_e32 v58, v78, v58
	s_waitcnt lgkmcnt(2)
	v_fmac_f32_e32 v3, v58, v59
	ds_bpermute_b32 v59, v26, v43
	ds_bpermute_b32 v58, v25, v42
	s_waitcnt vmcnt(7) lgkmcnt(3)
	v_sub_f32_e32 v66, v79, v66
	v_addc_co_u32_e32 v54, vcc, v54, v45, vcc
	s_waitcnt vmcnt(6)
	v_mul_f32_e32 v66, v80, v66
	v_add_co_u32_e32 v55, vcc, s36, v55
	s_waitcnt lgkmcnt(0)
	v_fmac_f32_e32 v3, v66, v58
	v_addc_co_u32_e32 v56, vcc, v56, v45, vcc
	global_load_dword v66, v[53:54], off
	v_add_f32_e32 v15, v15, v46
	s_waitcnt vmcnt(6)
	v_sub_f32_e32 v57, v57, v59
	s_waitcnt vmcnt(5)
	v_mul_f32_e32 v57, v81, v57
	v_fmac_f32_e32 v3, v57, v68
	global_load_dword v68, v[55:56], off
	v_add_co_u32_e32 v57, vcc, s36, v53
	v_addc_co_u32_e32 v58, vcc, v54, v45, vcc
	v_add_co_u32_e32 v53, vcc, s36, v55
	v_addc_co_u32_e32 v54, vcc, v56, v45, vcc
	global_load_dword v69, v[57:58], off
	global_load_dword v70, v[53:54], off
	v_add_co_u32_e32 v55, vcc, s36, v57
	v_addc_co_u32_e32 v56, vcc, v58, v45, vcc
	v_add_co_u32_e32 v57, vcc, s36, v53
	v_addc_co_u32_e32 v58, vcc, v54, v45, vcc
	global_load_dword v71, v[55:56], off
	v_add_co_u32_e32 v53, vcc, s36, v55
	global_load_dword v72, v[57:58], off
	v_addc_co_u32_e32 v54, vcc, v56, v45, vcc
	v_add_co_u32_e32 v55, vcc, s36, v57
	v_addc_co_u32_e32 v56, vcc, v58, v45, vcc
	v_add_co_u32_e32 v57, vcc, s36, v53
	v_addc_co_u32_e32 v58, vcc, v54, v45, vcc
	global_load_dword v74, v[53:54], off
	global_load_dword v76, v[55:56], off
	v_add_co_u32_e32 v53, vcc, s36, v55
	v_addc_co_u32_e32 v54, vcc, v56, v45, vcc
	global_load_dword v79, v[57:58], off
	global_load_dword v82, v[53:54], off
	ds_bpermute_b32 v59, v27, v43
	ds_bpermute_b32 v56, v27, v42
	v_add_f32_e32 v15, v15, v47
	v_add_f32_e32 v15, v15, v48
	;; [unrolled: 1-line block ×3, first 2 shown]
	s_waitcnt vmcnt(13) lgkmcnt(1)
	v_sub_f32_e32 v55, v60, v59
	s_waitcnt vmcnt(12)
	v_mul_f32_e32 v55, v61, v55
	s_waitcnt lgkmcnt(0)
	v_fmac_f32_e32 v3, v55, v56
	ds_bpermute_b32 v55, v28, v43
	ds_bpermute_b32 v56, v28, v42
	;; [unrolled: 1-line block ×3, first 2 shown]
	v_add_f32_e32 v15, v15, v50
	v_add_f32_e32 v15, v15, v51
	;; [unrolled: 1-line block ×3, first 2 shown]
	s_waitcnt vmcnt(11) lgkmcnt(2)
	v_sub_f32_e32 v55, v62, v55
	s_waitcnt vmcnt(10)
	v_mul_f32_e32 v55, v64, v55
	s_waitcnt lgkmcnt(1)
	v_fmac_f32_e32 v3, v55, v56
	v_add_co_u32_e32 v55, vcc, s36, v57
	v_addc_co_u32_e32 v56, vcc, v58, v45, vcc
	v_add_co_u32_e32 v53, vcc, s36, v53
	v_addc_co_u32_e32 v54, vcc, v54, v45, vcc
	global_load_dword v57, v[55:56], off
	global_load_dword v59, v[53:54], off
	ds_bpermute_b32 v58, v29, v43
	ds_bpermute_b32 v62, v31, v43
	v_add_co_u32_e32 v55, vcc, s36, v55
	v_addc_co_u32_e32 v56, vcc, v56, v45, vcc
	v_add_co_u32_e32 v53, vcc, s36, v53
	v_addc_co_u32_e32 v54, vcc, v54, v45, vcc
	s_waitcnt vmcnt(11) lgkmcnt(1)
	v_sub_f32_e32 v58, v66, v58
	ds_bpermute_b32 v66, v33, v42
	v_add_f32_e32 v15, v15, v63
	v_add_f32_e32 v15, v15, v65
	;; [unrolled: 1-line block ×3, first 2 shown]
	s_waitcnt vmcnt(10)
	v_mul_f32_e32 v58, v68, v58
	v_fmac_f32_e32 v3, v58, v60
	ds_bpermute_b32 v58, v30, v43
	ds_bpermute_b32 v60, v30, v42
	v_add_f32_e32 v15, v15, v73
	v_add_f32_e32 v15, v15, v75
	;; [unrolled: 1-line block ×5, first 2 shown]
	s_waitcnt vmcnt(9) lgkmcnt(1)
	v_sub_f32_e32 v58, v69, v58
	s_waitcnt vmcnt(8)
	v_mul_f32_e32 v58, v70, v58
	s_waitcnt lgkmcnt(0)
	v_fmac_f32_e32 v3, v58, v60
	ds_bpermute_b32 v58, v31, v42
	v_add_f32_e32 v15, v15, v81
	v_add_f32_e32 v15, v15, v61
	;; [unrolled: 1-line block ×5, first 2 shown]
	s_waitcnt vmcnt(7)
	v_sub_f32_e32 v60, v71, v62
	ds_bpermute_b32 v62, v32, v43
	s_waitcnt vmcnt(6)
	v_mul_f32_e32 v60, v72, v60
	s_waitcnt lgkmcnt(1)
	v_fmac_f32_e32 v3, v60, v58
	ds_bpermute_b32 v58, v32, v42
	ds_bpermute_b32 v60, v33, v43
	v_add_f32_e32 v15, v15, v72
	s_waitcnt vmcnt(5) lgkmcnt(2)
	v_sub_f32_e32 v62, v74, v62
	s_waitcnt vmcnt(4)
	v_mul_f32_e32 v62, v76, v62
	s_waitcnt lgkmcnt(1)
	v_fmac_f32_e32 v3, v62, v58
	ds_bpermute_b32 v62, v34, v42
	v_add_f32_e32 v15, v15, v76
	s_waitcnt vmcnt(3) lgkmcnt(1)
	v_sub_f32_e32 v58, v79, v60
	s_waitcnt vmcnt(2)
	v_mul_f32_e32 v58, v82, v58
	v_fmac_f32_e32 v3, v58, v66
	global_load_dword v58, v[55:56], off
	global_load_dword v66, v[53:54], off
	v_add_co_u32_e32 v55, vcc, s36, v55
	v_addc_co_u32_e32 v56, vcc, v56, v45, vcc
	v_add_co_u32_e32 v53, vcc, s36, v53
	ds_bpermute_b32 v60, v34, v43
	v_addc_co_u32_e32 v54, vcc, v54, v45, vcc
	global_load_dword v69, v[55:56], off
	global_load_dword v71, v[53:54], off
	v_add_co_u32_e32 v55, vcc, s36, v55
	v_addc_co_u32_e32 v56, vcc, v56, v45, vcc
	v_add_co_u32_e32 v53, vcc, s36, v53
	v_addc_co_u32_e32 v54, vcc, v54, v45, vcc
	v_add_f32_e32 v15, v15, v82
	s_waitcnt vmcnt(5) lgkmcnt(0)
	v_sub_f32_e32 v57, v57, v60
	s_waitcnt vmcnt(4)
	v_mul_f32_e32 v57, v59, v57
	v_fmac_f32_e32 v3, v57, v62
	global_load_dword v57, v[55:56], off
	global_load_dword v60, v[53:54], off
	ds_bpermute_b32 v62, v35, v43
	v_add_co_u32_e32 v55, vcc, s36, v55
	v_addc_co_u32_e32 v56, vcc, v56, v45, vcc
	v_add_co_u32_e32 v53, vcc, s36, v53
	v_addc_co_u32_e32 v54, vcc, v54, v45, vcc
	v_add_f32_e32 v15, v15, v59
	s_waitcnt vmcnt(5) lgkmcnt(0)
	v_sub_f32_e32 v58, v58, v62
	ds_bpermute_b32 v62, v35, v42
	s_waitcnt vmcnt(4)
	v_mul_f32_e32 v58, v66, v58
	v_add_f32_e32 v15, v15, v66
	s_waitcnt lgkmcnt(0)
	v_fmac_f32_e32 v3, v58, v62
	ds_bpermute_b32 v58, v36, v43
	ds_bpermute_b32 v62, v36, v42
	s_waitcnt vmcnt(2)
	v_add_f32_e32 v15, v15, v71
	s_waitcnt lgkmcnt(1)
	v_sub_f32_e32 v58, v69, v58
	v_mul_f32_e32 v58, v71, v58
	s_waitcnt lgkmcnt(0)
	v_fmac_f32_e32 v3, v58, v62
	ds_bpermute_b32 v58, v37, v43
	ds_bpermute_b32 v62, v37, v42
	global_load_dword v69, v[53:54], off
	s_waitcnt vmcnt(2) lgkmcnt(1)
	v_sub_f32_e32 v57, v57, v58
	s_waitcnt vmcnt(1)
	v_mul_f32_e32 v57, v60, v57
	s_waitcnt lgkmcnt(0)
	v_fmac_f32_e32 v3, v57, v62
	global_load_dword v62, v[55:56], off
	v_add_co_u32_e32 v57, vcc, s36, v55
	v_addc_co_u32_e32 v58, vcc, v56, v45, vcc
	v_add_co_u32_e32 v55, vcc, s36, v53
	v_addc_co_u32_e32 v56, vcc, v54, v45, vcc
	v_add_co_u32_e32 v53, vcc, s36, v57
	global_load_dword v74, v[57:58], off
	v_addc_co_u32_e32 v54, vcc, v58, v45, vcc
	global_load_dword v79, v[55:56], off
	v_add_co_u32_e32 v57, vcc, s36, v55
	v_addc_co_u32_e32 v58, vcc, v56, v45, vcc
	v_add_co_u32_e32 v55, vcc, s36, v53
	v_addc_co_u32_e32 v56, vcc, v54, v45, vcc
	global_load_dword v83, v[53:54], off
	v_add_co_u32_e32 v53, vcc, s36, v57
	v_addc_co_u32_e32 v54, vcc, v58, v45, vcc
	global_load_dword v45, v[57:58], off
	s_nop 0
	global_load_dword v57, v[55:56], off
	global_load_dword v58, v[53:54], off
	ds_bpermute_b32 v53, v38, v43
	ds_bpermute_b32 v54, v38, v42
	;; [unrolled: 1-line block ×3, first 2 shown]
	v_add_co_u32_e32 v6, vcc, s30, v6
	v_add_f32_e32 v15, v15, v60
	s_waitcnt vmcnt(7)
	v_add_f32_e32 v15, v15, v69
	s_waitcnt vmcnt(6) lgkmcnt(2)
	v_sub_f32_e32 v53, v62, v53
	v_mul_f32_e32 v53, v69, v53
	s_waitcnt lgkmcnt(1)
	v_fmac_f32_e32 v3, v53, v54
	ds_bpermute_b32 v53, v39, v43
	ds_bpermute_b32 v54, v39, v42
	;; [unrolled: 1-line block ×3, first 2 shown]
	s_waitcnt vmcnt(5) lgkmcnt(2)
	v_sub_f32_e32 v53, v74, v53
	s_waitcnt vmcnt(4)
	v_mul_f32_e32 v53, v79, v53
	s_waitcnt lgkmcnt(1)
	v_fmac_f32_e32 v3, v53, v54
	ds_bpermute_b32 v53, v40, v42
	ds_bpermute_b32 v42, v41, v42
	v_add_f32_e32 v15, v15, v79
	s_waitcnt vmcnt(3)
	v_sub_f32_e32 v54, v83, v55
	s_waitcnt vmcnt(2)
	v_mul_f32_e32 v54, v45, v54
	s_waitcnt vmcnt(1) lgkmcnt(2)
	v_sub_f32_e32 v43, v57, v43
	s_waitcnt lgkmcnt(1)
	v_fmac_f32_e32 v3, v54, v53
	s_waitcnt vmcnt(0)
	v_mul_f32_e32 v43, v58, v43
	s_waitcnt lgkmcnt(0)
	v_fmac_f32_e32 v3, v43, v42
	v_mov_b32_e32 v42, s31
	v_addc_co_u32_e32 v7, vcc, v7, v42, vcc
	v_add_co_u32_e32 v4, vcc, s28, v4
	v_mov_b32_e32 v43, s17
	v_addc_co_u32_e32 v5, vcc, 0, v5, vcc
	v_mov_b32_e32 v42, s16
	v_cmp_lt_i64_e32 vcc, s[24:25], v[42:43]
	v_add_f32_e32 v15, v15, v45
	v_add_f32_e32 v15, v15, v58
	s_cbranch_vccz .LBB60_10
.LBB60_7:                               ; =>This Inner Loop Header: Depth=1
	v_mov_b32_e32 v42, 0
	v_mov_b32_e32 v43, 0
	s_and_saveexec_b64 s[4:5], s[0:1]
	s_cbranch_execz .LBB60_6
; %bb.8:                                ;   in Loop: Header=BB60_7 Depth=1
	v_cmp_gt_i64_e32 vcc, s[16:17], v[4:5]
	v_mov_b32_e32 v43, 0
	v_mov_b32_e32 v42, 0
	s_and_saveexec_b64 s[38:39], vcc
	s_cbranch_execz .LBB60_5
; %bb.9:                                ;   in Loop: Header=BB60_7 Depth=1
	v_mov_b32_e32 v42, s15
	v_add_co_u32_e32 v44, vcc, s14, v6
	v_addc_co_u32_e32 v45, vcc, v42, v7, vcc
	v_mov_b32_e32 v42, s13
	v_add_co_u32_e32 v46, vcc, s12, v6
	v_addc_co_u32_e32 v47, vcc, v42, v7, vcc
	global_load_dword v43, v[46:47], off
	global_load_dword v42, v[44:45], off
	s_branch .LBB60_5
.LBB60_10:
	s_load_dword s0, s[26:27], 0xc
	v_mov_b32_e32 v2, 0
	v_mov_b32_e32 v4, s2
	s_mov_b32 s7, 0
	s_waitcnt lgkmcnt(0)
	s_lshr_b32 s0, s0, 16
	v_mad_u64_u32 v[4:5], s[0:1], s0, v4, v[1:2]
	s_lshl_b64 s[0:1], s[6:7], 5
	v_or_b32_e32 v0, s0, v0
	v_mul_lo_u32 v2, v5, s18
	v_mul_lo_u32 v5, v4, s19
	v_mov_b32_e32 v1, s1
	v_lshlrev_b64 v[0:1], 2, v[0:1]
	s_cmp_eq_u64 s[20:21], 0
	s_cbranch_scc1 .LBB60_12
; %bb.11:
	v_mad_u64_u32 v[6:7], s[0:1], v4, s18, 0
	v_mov_b32_e32 v8, s21
	v_add3_u32 v7, v7, v5, v2
	v_lshlrev_b64 v[6:7], 2, v[6:7]
	v_add_co_u32_e32 v6, vcc, s20, v6
	v_addc_co_u32_e32 v7, vcc, v8, v7, vcc
	v_add_co_u32_e32 v6, vcc, v6, v0
	v_addc_co_u32_e32 v7, vcc, v7, v1, vcc
	global_store_dword v[6:7], v3, off
.LBB60_12:
	s_cmp_eq_u64 s[22:23], 0
	s_cbranch_scc1 .LBB60_14
; %bb.13:
	v_mad_u64_u32 v[3:4], s[0:1], v4, s18, 0
	v_mov_b32_e32 v6, s23
	v_add3_u32 v4, v4, v5, v2
	v_lshlrev_b64 v[2:3], 2, v[3:4]
	v_add_co_u32_e32 v2, vcc, s22, v2
	v_addc_co_u32_e32 v3, vcc, v6, v3, vcc
	v_add_co_u32_e32 v0, vcc, v2, v0
	v_addc_co_u32_e32 v1, vcc, v3, v1, vcc
	global_store_dword v[0:1], v15, off
.LBB60_14:
	s_endpgm
	.section	.rodata,"a",@progbits
	.p2align	6, 0x0
	.amdhsa_kernel _ZN2at6native12_GLOBAL__N_135GammaBetaBackwardCUDAKernelTemplateIffLj32ELj1ELj32ELb1ELb1ELb0EEEvllPKT_S5_PKT0_S8_PS3_S9_
		.amdhsa_group_segment_fixed_size 0
		.amdhsa_private_segment_fixed_size 0
		.amdhsa_kernarg_size 320
		.amdhsa_user_sgpr_count 6
		.amdhsa_user_sgpr_private_segment_buffer 1
		.amdhsa_user_sgpr_dispatch_ptr 0
		.amdhsa_user_sgpr_queue_ptr 0
		.amdhsa_user_sgpr_kernarg_segment_ptr 1
		.amdhsa_user_sgpr_dispatch_id 0
		.amdhsa_user_sgpr_flat_scratch_init 0
		.amdhsa_user_sgpr_private_segment_size 0
		.amdhsa_uses_dynamic_stack 0
		.amdhsa_system_sgpr_private_segment_wavefront_offset 0
		.amdhsa_system_sgpr_workgroup_id_x 1
		.amdhsa_system_sgpr_workgroup_id_y 1
		.amdhsa_system_sgpr_workgroup_id_z 0
		.amdhsa_system_sgpr_workgroup_info 0
		.amdhsa_system_vgpr_workitem_id 1
		.amdhsa_next_free_vgpr 84
		.amdhsa_next_free_sgpr 40
		.amdhsa_reserve_vcc 1
		.amdhsa_reserve_flat_scratch 0
		.amdhsa_float_round_mode_32 0
		.amdhsa_float_round_mode_16_64 0
		.amdhsa_float_denorm_mode_32 3
		.amdhsa_float_denorm_mode_16_64 3
		.amdhsa_dx10_clamp 1
		.amdhsa_ieee_mode 1
		.amdhsa_fp16_overflow 0
		.amdhsa_exception_fp_ieee_invalid_op 0
		.amdhsa_exception_fp_denorm_src 0
		.amdhsa_exception_fp_ieee_div_zero 0
		.amdhsa_exception_fp_ieee_overflow 0
		.amdhsa_exception_fp_ieee_underflow 0
		.amdhsa_exception_fp_ieee_inexact 0
		.amdhsa_exception_int_div_zero 0
	.end_amdhsa_kernel
	.section	.text._ZN2at6native12_GLOBAL__N_135GammaBetaBackwardCUDAKernelTemplateIffLj32ELj1ELj32ELb1ELb1ELb0EEEvllPKT_S5_PKT0_S8_PS3_S9_,"axG",@progbits,_ZN2at6native12_GLOBAL__N_135GammaBetaBackwardCUDAKernelTemplateIffLj32ELj1ELj32ELb1ELb1ELb0EEEvllPKT_S5_PKT0_S8_PS3_S9_,comdat
.Lfunc_end60:
	.size	_ZN2at6native12_GLOBAL__N_135GammaBetaBackwardCUDAKernelTemplateIffLj32ELj1ELj32ELb1ELb1ELb0EEEvllPKT_S5_PKT0_S8_PS3_S9_, .Lfunc_end60-_ZN2at6native12_GLOBAL__N_135GammaBetaBackwardCUDAKernelTemplateIffLj32ELj1ELj32ELb1ELb1ELb0EEEvllPKT_S5_PKT0_S8_PS3_S9_
                                        ; -- End function
	.set _ZN2at6native12_GLOBAL__N_135GammaBetaBackwardCUDAKernelTemplateIffLj32ELj1ELj32ELb1ELb1ELb0EEEvllPKT_S5_PKT0_S8_PS3_S9_.num_vgpr, 84
	.set _ZN2at6native12_GLOBAL__N_135GammaBetaBackwardCUDAKernelTemplateIffLj32ELj1ELj32ELb1ELb1ELb0EEEvllPKT_S5_PKT0_S8_PS3_S9_.num_agpr, 0
	.set _ZN2at6native12_GLOBAL__N_135GammaBetaBackwardCUDAKernelTemplateIffLj32ELj1ELj32ELb1ELb1ELb0EEEvllPKT_S5_PKT0_S8_PS3_S9_.numbered_sgpr, 40
	.set _ZN2at6native12_GLOBAL__N_135GammaBetaBackwardCUDAKernelTemplateIffLj32ELj1ELj32ELb1ELb1ELb0EEEvllPKT_S5_PKT0_S8_PS3_S9_.num_named_barrier, 0
	.set _ZN2at6native12_GLOBAL__N_135GammaBetaBackwardCUDAKernelTemplateIffLj32ELj1ELj32ELb1ELb1ELb0EEEvllPKT_S5_PKT0_S8_PS3_S9_.private_seg_size, 0
	.set _ZN2at6native12_GLOBAL__N_135GammaBetaBackwardCUDAKernelTemplateIffLj32ELj1ELj32ELb1ELb1ELb0EEEvllPKT_S5_PKT0_S8_PS3_S9_.uses_vcc, 1
	.set _ZN2at6native12_GLOBAL__N_135GammaBetaBackwardCUDAKernelTemplateIffLj32ELj1ELj32ELb1ELb1ELb0EEEvllPKT_S5_PKT0_S8_PS3_S9_.uses_flat_scratch, 0
	.set _ZN2at6native12_GLOBAL__N_135GammaBetaBackwardCUDAKernelTemplateIffLj32ELj1ELj32ELb1ELb1ELb0EEEvllPKT_S5_PKT0_S8_PS3_S9_.has_dyn_sized_stack, 0
	.set _ZN2at6native12_GLOBAL__N_135GammaBetaBackwardCUDAKernelTemplateIffLj32ELj1ELj32ELb1ELb1ELb0EEEvllPKT_S5_PKT0_S8_PS3_S9_.has_recursion, 0
	.set _ZN2at6native12_GLOBAL__N_135GammaBetaBackwardCUDAKernelTemplateIffLj32ELj1ELj32ELb1ELb1ELb0EEEvllPKT_S5_PKT0_S8_PS3_S9_.has_indirect_call, 0
	.section	.AMDGPU.csdata,"",@progbits
; Kernel info:
; codeLenInByte = 3288
; TotalNumSgprs: 44
; NumVgprs: 84
; ScratchSize: 0
; MemoryBound: 0
; FloatMode: 240
; IeeeMode: 1
; LDSByteSize: 0 bytes/workgroup (compile time only)
; SGPRBlocks: 5
; VGPRBlocks: 20
; NumSGPRsForWavesPerEU: 44
; NumVGPRsForWavesPerEU: 84
; Occupancy: 3
; WaveLimiterHint : 0
; COMPUTE_PGM_RSRC2:SCRATCH_EN: 0
; COMPUTE_PGM_RSRC2:USER_SGPR: 6
; COMPUTE_PGM_RSRC2:TRAP_HANDLER: 0
; COMPUTE_PGM_RSRC2:TGID_X_EN: 1
; COMPUTE_PGM_RSRC2:TGID_Y_EN: 1
; COMPUTE_PGM_RSRC2:TGID_Z_EN: 0
; COMPUTE_PGM_RSRC2:TIDIG_COMP_CNT: 1
	.section	.text._ZN2at6native12_GLOBAL__N_135GammaBetaBackwardCUDAKernelTemplateIffLj32ELj1ELj32ELb1ELb0ELb0EEEvllPKT_S5_PKT0_S8_PS3_S9_,"axG",@progbits,_ZN2at6native12_GLOBAL__N_135GammaBetaBackwardCUDAKernelTemplateIffLj32ELj1ELj32ELb1ELb0ELb0EEEvllPKT_S5_PKT0_S8_PS3_S9_,comdat
	.globl	_ZN2at6native12_GLOBAL__N_135GammaBetaBackwardCUDAKernelTemplateIffLj32ELj1ELj32ELb1ELb0ELb0EEEvllPKT_S5_PKT0_S8_PS3_S9_ ; -- Begin function _ZN2at6native12_GLOBAL__N_135GammaBetaBackwardCUDAKernelTemplateIffLj32ELj1ELj32ELb1ELb0ELb0EEEvllPKT_S5_PKT0_S8_PS3_S9_
	.p2align	8
	.type	_ZN2at6native12_GLOBAL__N_135GammaBetaBackwardCUDAKernelTemplateIffLj32ELj1ELj32ELb1ELb0ELb0EEEvllPKT_S5_PKT0_S8_PS3_S9_,@function
_ZN2at6native12_GLOBAL__N_135GammaBetaBackwardCUDAKernelTemplateIffLj32ELj1ELj32ELb1ELb0ELb0EEEvllPKT_S5_PKT0_S8_PS3_S9_: ; @_ZN2at6native12_GLOBAL__N_135GammaBetaBackwardCUDAKernelTemplateIffLj32ELj1ELj32ELb1ELb0ELb0EEEvllPKT_S5_PKT0_S8_PS3_S9_
; %bb.0:
	s_mov_b64 s[42:43], s[2:3]
	s_mov_b64 s[40:41], s[0:1]
	s_add_u32 s40, s40, s8
	s_mov_b32 s8, s7
	s_load_dwordx8 s[12:19], s[4:5], 0x0
	s_load_dwordx4 s[20:23], s[4:5], 0x20
	s_addc_u32 s41, s41, 0
	s_lshl_b32 s24, s8, 5
	s_lshl_b32 s7, s6, 5
	s_mov_b32 s25, 0
	v_mov_b32_e32 v4, s24
	s_or_b32 s0, s7, 31
	v_mov_b32_e32 v5, s25
	v_mov_b32_e32 v2, s0
	;; [unrolled: 1-line block ×3, first 2 shown]
	s_waitcnt lgkmcnt(0)
	v_cmp_gt_i64_e64 s[0:1], s[12:13], v[4:5]
	v_cmp_le_i64_e32 vcc, s[14:15], v[2:3]
	v_cndmask_b32_e64 v2, 0, 1, s[0:1]
	v_cmp_ne_u32_e64 s[0:1], 1, v2
	s_cbranch_vccz .LBB61_145
; %bb.1:
	s_and_b64 vcc, exec, s[0:1]
	v_mov_b32_e32 v142, 0
	s_cbranch_vccnz .LBB61_146
; %bb.2:
	v_lshlrev_b32_e32 v210, 5, v1
	v_add_co_u32_e32 v9, vcc, s24, v210
	v_addc_co_u32_e64 v10, s[2:3], 0, 0, vcc
	v_mul_lo_u32 v12, s15, v9
	v_mul_lo_u32 v11, s14, v10
	v_mad_u64_u32 v[7:8], s[2:3], s14, v9, 0
	s_load_dword s9, s[4:5], 0x44
	v_add_u32_e32 v3, s7, v0
	v_add3_u32 v8, v8, v11, v12
	v_lshlrev_b64 v[12:13], 2, v[7:8]
	v_mov_b32_e32 v4, 0
	s_add_u32 s26, s4, 64
	v_cmp_gt_i64_e64 s[2:3], s[14:15], v[3:4]
	v_lshlrev_b64 v[5:6], 2, v[3:4]
	v_mov_b32_e32 v3, s17
	v_add_co_u32_e32 v209, vcc, s16, v12
	s_addc_u32 s27, s5, 0
	s_waitcnt lgkmcnt(0)
	s_lshl_b32 s9, s9, 5
	v_addc_co_u32_e32 v11, vcc, v3, v13, vcc
	s_mul_i32 s10, s15, s9
	s_mul_hi_u32 s11, s14, s9
	v_add_co_u32_e32 v14, vcc, 31, v9
	s_add_i32 s11, s11, s10
	s_mul_i32 s10, s14, s9
	v_addc_co_u32_e32 v15, vcc, 0, v10, vcc
	s_lshl_b64 s[28:29], s[10:11], 2
	v_mul_lo_u32 v16, s15, v14
	v_mul_lo_u32 v17, s14, v15
	v_mad_u64_u32 v[14:15], s[10:11], s14, v14, 0
	v_mov_b32_e32 v3, s19
	v_add_co_u32_e32 v12, vcc, s18, v12
	v_add3_u32 v15, v15, v17, v16
	v_lshlrev_b64 v[16:17], 2, v[14:15]
	v_addc_co_u32_e32 v13, vcc, v3, v13, vcc
	v_mov_b32_e32 v3, s17
	v_add_co_u32_e32 v14, vcc, s16, v16
	v_addc_co_u32_e32 v15, vcc, v3, v17, vcc
	v_add_co_u32_e32 v18, vcc, 30, v9
	v_addc_co_u32_e32 v19, vcc, 0, v10, vcc
	v_mul_lo_u32 v20, s15, v18
	v_mul_lo_u32 v21, s14, v19
	v_mad_u64_u32 v[18:19], s[10:11], s14, v18, 0
	v_mov_b32_e32 v3, s19
	v_add_co_u32_e32 v16, vcc, s18, v16
	v_add3_u32 v19, v19, v21, v20
	v_lshlrev_b64 v[20:21], 2, v[18:19]
	v_addc_co_u32_e32 v17, vcc, v3, v17, vcc
	v_mov_b32_e32 v3, s17
	v_add_co_u32_e32 v18, vcc, s16, v20
	v_addc_co_u32_e32 v19, vcc, v3, v21, vcc
	v_add_co_u32_e32 v22, vcc, 29, v9
	v_addc_co_u32_e32 v23, vcc, 0, v10, vcc
	;; [unrolled: 13-line block ×29, first 2 shown]
	v_mul_lo_u32 v130, s15, v9
	v_mul_lo_u32 v131, s14, v10
	v_mad_u64_u32 v[9:10], s[10:11], s14, v9, 0
	v_mov_b32_e32 v3, s19
	v_add_co_u32_e32 v128, vcc, s18, v128
	v_add3_u32 v10, v10, v131, v130
	v_lshlrev_b64 v[9:10], 2, v[9:10]
	v_addc_co_u32_e32 v129, vcc, v3, v129, vcc
	v_mov_b32_e32 v3, s17
	v_add_co_u32_e32 v130, vcc, s16, v9
	v_addc_co_u32_e32 v131, vcc, v3, v10, vcc
	v_mov_b32_e32 v3, s19
	v_add_co_u32_e32 v132, vcc, s18, v9
	;; [unrolled: 3-line block ×3, first 2 shown]
	v_addc_co_u32_e32 v8, vcc, v8, v3, vcc
	v_lshlrev_b64 v[7:8], 2, v[7:8]
	v_mov_b32_e32 v3, s17
	v_add_co_u32_e32 v134, vcc, s16, v7
	v_addc_co_u32_e32 v135, vcc, v3, v8, vcc
	v_mov_b32_e32 v3, s19
	v_add_co_u32_e32 v136, vcc, s18, v7
	v_addc_co_u32_e32 v137, vcc, v3, v8, vcc
	v_mbcnt_lo_u32_b32 v3, -1, 0
	v_mbcnt_hi_u32_b32 v3, -1, v3
	v_lshlrev_b32_e32 v3, 2, v3
	v_mov_b32_e32 v2, v4
	s_mov_b64 s[30:31], 31
	v_and_b32_e32 v138, 0x100, v3
	v_mov_b32_e32 v139, 0
	v_mov_b32_e32 v3, 0
	s_mov_b64 s[34:35], s[24:25]
.LBB61_3:                               ; =>This Inner Loop Header: Depth=1
	s_add_u32 s10, s24, s30
	v_mov_b32_e32 v7, s12
	s_addc_u32 s11, 0, s31
	v_mov_b32_e32 v8, s13
	v_cmp_ge_i64_e32 vcc, s[10:11], v[7:8]
	v_add_co_u32_e64 v7, s[10:11], s24, v210
	v_addc_co_u32_e64 v8, s[10:11], 0, v2, s[10:11]
	s_mov_b64 s[10:11], -1
	s_and_b64 vcc, exec, vcc
                                        ; implicit-def: $vgpr9
                                        ; implicit-def: $vgpr159
                                        ; implicit-def: $vgpr165
                                        ; implicit-def: $vgpr10
                                        ; implicit-def: $vgpr140
                                        ; implicit-def: $vgpr142
	s_cbranch_vccz .LBB61_73
; %bb.4:                                ;   in Loop: Header=BB61_3 Depth=1
	s_load_dword s10, s[26:27], 0xc
	v_mov_b32_e32 v142, 0
	v_mov_b32_e32 v140, 0
	;; [unrolled: 1-line block ×3, first 2 shown]
	s_waitcnt lgkmcnt(0)
	s_and_b32 s10, s10, 0xffff
	v_mad_u32_u24 v9, v1, s10, v0
	v_and_b32_e32 v9, 63, v9
	v_cmp_gt_u32_e32 vcc, 32, v9
	s_and_saveexec_b64 s[10:11], vcc
	s_cbranch_execz .LBB61_8
; %bb.5:                                ;   in Loop: Header=BB61_3 Depth=1
	v_add_co_u32_e32 v9, vcc, v7, v9
	v_addc_co_u32_e32 v10, vcc, 0, v8, vcc
	v_cmp_gt_i64_e32 vcc, s[12:13], v[9:10]
	v_mov_b32_e32 v141, 0
	v_mov_b32_e32 v140, 0
	s_and_saveexec_b64 s[36:37], vcc
	s_cbranch_execz .LBB61_7
; %bb.6:                                ;   in Loop: Header=BB61_3 Depth=1
	v_lshlrev_b64 v[9:10], 2, v[9:10]
	v_mov_b32_e32 v140, s23
	v_add_co_u32_e32 v143, vcc, s22, v9
	v_addc_co_u32_e32 v144, vcc, v140, v10, vcc
	v_mov_b32_e32 v140, s21
	v_add_co_u32_e32 v9, vcc, s20, v9
	v_addc_co_u32_e32 v10, vcc, v140, v10, vcc
	global_load_dword v141, v[9:10], off
	global_load_dword v140, v[143:144], off
.LBB61_7:                               ;   in Loop: Header=BB61_3 Depth=1
	s_or_b64 exec, exec, s[36:37]
.LBB61_8:                               ;   in Loop: Header=BB61_3 Depth=1
	s_or_b64 exec, exec, s[10:11]
	v_cmp_gt_i64_e32 vcc, s[12:13], v[7:8]
	v_mov_b32_e32 v9, 0
	s_and_b64 s[36:37], s[2:3], vcc
	s_and_saveexec_b64 s[10:11], s[36:37]
	s_cbranch_execz .LBB61_10
; %bb.9:                                ;   in Loop: Header=BB61_3 Depth=1
	v_add_co_u32_e32 v9, vcc, v209, v5
	v_addc_co_u32_e32 v10, vcc, v11, v6, vcc
	global_load_dword v142, v[9:10], off
	v_add_co_u32_e32 v9, vcc, v12, v5
	v_addc_co_u32_e32 v10, vcc, v13, v6, vcc
	global_load_dword v9, v[9:10], off
.LBB61_10:                              ;   in Loop: Header=BB61_3 Depth=1
	s_or_b64 exec, exec, s[10:11]
	v_add_co_u32_e32 v143, vcc, 1, v7
	v_addc_co_u32_e32 v144, vcc, 0, v8, vcc
	v_cmp_gt_i64_e32 vcc, s[12:13], v[143:144]
	v_mov_b32_e32 v10, 0
	s_and_b64 s[36:37], s[2:3], vcc
	v_mov_b32_e32 v143, 0
	v_mov_b32_e32 v144, 0
	s_and_saveexec_b64 s[10:11], s[36:37]
	s_cbranch_execz .LBB61_12
; %bb.11:                               ;   in Loop: Header=BB61_3 Depth=1
	v_add_co_u32_e32 v143, vcc, v134, v5
	v_addc_co_u32_e32 v144, vcc, v135, v6, vcc
	global_load_dword v143, v[143:144], off
	v_add_co_u32_e32 v144, vcc, v136, v5
	v_addc_co_u32_e32 v145, vcc, v137, v6, vcc
	global_load_dword v144, v[144:145], off
.LBB61_12:                              ;   in Loop: Header=BB61_3 Depth=1
	s_or_b64 exec, exec, s[10:11]
	v_add_co_u32_e32 v145, vcc, 2, v7
	v_addc_co_u32_e32 v146, vcc, 0, v8, vcc
	v_cmp_gt_i64_e32 vcc, s[12:13], v[145:146]
	v_mov_b32_e32 v146, 0
	s_and_b64 s[36:37], s[2:3], vcc
	s_and_saveexec_b64 s[10:11], s[36:37]
	s_cbranch_execz .LBB61_14
; %bb.13:                               ;   in Loop: Header=BB61_3 Depth=1
	v_add_co_u32_e32 v145, vcc, v130, v5
	v_addc_co_u32_e32 v146, vcc, v131, v6, vcc
	global_load_dword v10, v[145:146], off
	v_add_co_u32_e32 v145, vcc, v132, v5
	v_addc_co_u32_e32 v146, vcc, v133, v6, vcc
	global_load_dword v146, v[145:146], off
.LBB61_14:                              ;   in Loop: Header=BB61_3 Depth=1
	s_or_b64 exec, exec, s[10:11]
	v_add_co_u32_e32 v147, vcc, 3, v7
	v_addc_co_u32_e32 v148, vcc, 0, v8, vcc
	v_cmp_gt_i64_e32 vcc, s[12:13], v[147:148]
	v_mov_b32_e32 v145, 0
	s_and_b64 s[36:37], s[2:3], vcc
	v_mov_b32_e32 v147, 0
	v_mov_b32_e32 v148, 0
	s_and_saveexec_b64 s[10:11], s[36:37]
	s_cbranch_execz .LBB61_16
; %bb.15:                               ;   in Loop: Header=BB61_3 Depth=1
	v_add_co_u32_e32 v147, vcc, v126, v5
	v_addc_co_u32_e32 v148, vcc, v127, v6, vcc
	global_load_dword v147, v[147:148], off
	v_add_co_u32_e32 v148, vcc, v128, v5
	v_addc_co_u32_e32 v149, vcc, v129, v6, vcc
	global_load_dword v148, v[148:149], off
.LBB61_16:                              ;   in Loop: Header=BB61_3 Depth=1
	s_or_b64 exec, exec, s[10:11]
	v_add_co_u32_e32 v149, vcc, 4, v7
	v_addc_co_u32_e32 v150, vcc, 0, v8, vcc
	v_cmp_gt_i64_e32 vcc, s[12:13], v[149:150]
	v_mov_b32_e32 v150, 0
	s_and_b64 s[36:37], s[2:3], vcc
	s_and_saveexec_b64 s[10:11], s[36:37]
	s_cbranch_execz .LBB61_18
; %bb.17:                               ;   in Loop: Header=BB61_3 Depth=1
	v_add_co_u32_e32 v149, vcc, v122, v5
	v_addc_co_u32_e32 v150, vcc, v123, v6, vcc
	global_load_dword v145, v[149:150], off
	v_add_co_u32_e32 v149, vcc, v124, v5
	v_addc_co_u32_e32 v150, vcc, v125, v6, vcc
	global_load_dword v150, v[149:150], off
.LBB61_18:                              ;   in Loop: Header=BB61_3 Depth=1
	;; [unrolled: 34-line block ×4, first 2 shown]
	s_or_b64 exec, exec, s[10:11]
	v_add_co_u32_e32 v159, vcc, 9, v7
	v_addc_co_u32_e32 v160, vcc, 0, v8, vcc
	v_cmp_gt_i64_e32 vcc, s[12:13], v[159:160]
	v_mov_b32_e32 v157, 0
	s_and_b64 s[36:37], s[2:3], vcc
	v_mov_b32_e32 v160, 0
	v_mov_b32_e32 v161, 0
	s_and_saveexec_b64 s[10:11], s[36:37]
	s_cbranch_execz .LBB61_28
; %bb.27:                               ;   in Loop: Header=BB61_3 Depth=1
	v_add_co_u32_e32 v159, vcc, v102, v5
	v_addc_co_u32_e32 v160, vcc, v103, v6, vcc
	v_add_co_u32_e32 v161, vcc, v104, v5
	v_addc_co_u32_e32 v162, vcc, v105, v6, vcc
	global_load_dword v160, v[159:160], off
	s_nop 0
	global_load_dword v161, v[161:162], off
.LBB61_28:                              ;   in Loop: Header=BB61_3 Depth=1
	s_or_b64 exec, exec, s[10:11]
	v_add_co_u32_e32 v162, vcc, 10, v7
	v_addc_co_u32_e32 v163, vcc, 0, v8, vcc
	v_cmp_gt_i64_e32 vcc, s[12:13], v[162:163]
	v_mov_b32_e32 v163, 0
	s_and_b64 s[36:37], s[2:3], vcc
	s_and_saveexec_b64 s[10:11], s[36:37]
	s_cbranch_execz .LBB61_30
; %bb.29:                               ;   in Loop: Header=BB61_3 Depth=1
	v_add_co_u32_e32 v162, vcc, v98, v5
	v_addc_co_u32_e32 v163, vcc, v99, v6, vcc
	global_load_dword v157, v[162:163], off
	v_add_co_u32_e32 v162, vcc, v100, v5
	v_addc_co_u32_e32 v163, vcc, v101, v6, vcc
	global_load_dword v163, v[162:163], off
.LBB61_30:                              ;   in Loop: Header=BB61_3 Depth=1
	s_or_b64 exec, exec, s[10:11]
	v_add_co_u32_e32 v164, vcc, 11, v7
	v_addc_co_u32_e32 v165, vcc, 0, v8, vcc
	v_cmp_gt_i64_e32 vcc, s[12:13], v[164:165]
	v_mov_b32_e32 v162, 0
	s_and_b64 s[36:37], s[2:3], vcc
	v_mov_b32_e32 v164, 0
	v_mov_b32_e32 v166, 0
	s_and_saveexec_b64 s[10:11], s[36:37]
	s_cbranch_execz .LBB61_32
; %bb.31:                               ;   in Loop: Header=BB61_3 Depth=1
	v_add_co_u32_e32 v164, vcc, v94, v5
	v_addc_co_u32_e32 v165, vcc, v95, v6, vcc
	global_load_dword v164, v[164:165], off
	v_add_co_u32_e32 v165, vcc, v96, v5
	v_addc_co_u32_e32 v166, vcc, v97, v6, vcc
	global_load_dword v166, v[165:166], off
.LBB61_32:                              ;   in Loop: Header=BB61_3 Depth=1
	s_or_b64 exec, exec, s[10:11]
	v_add_co_u32_e32 v167, vcc, 12, v7
	v_addc_co_u32_e32 v168, vcc, 0, v8, vcc
	v_cmp_gt_i64_e32 vcc, s[12:13], v[167:168]
	v_mov_b32_e32 v168, 0
	s_and_b64 s[36:37], s[2:3], vcc
	s_and_saveexec_b64 s[10:11], s[36:37]
	s_cbranch_execz .LBB61_34
; %bb.33:                               ;   in Loop: Header=BB61_3 Depth=1
	v_add_co_u32_e32 v167, vcc, v90, v5
	v_addc_co_u32_e32 v168, vcc, v91, v6, vcc
	global_load_dword v162, v[167:168], off
	v_add_co_u32_e32 v167, vcc, v92, v5
	v_addc_co_u32_e32 v168, vcc, v93, v6, vcc
	global_load_dword v168, v[167:168], off
.LBB61_34:                              ;   in Loop: Header=BB61_3 Depth=1
	s_or_b64 exec, exec, s[10:11]
	v_add_co_u32_e32 v169, vcc, 13, v7
	v_addc_co_u32_e32 v170, vcc, 0, v8, vcc
	v_cmp_gt_i64_e32 vcc, s[12:13], v[169:170]
	v_mov_b32_e32 v167, 0
	s_and_b64 s[36:37], s[2:3], vcc
	v_mov_b32_e32 v169, 0
	v_mov_b32_e32 v170, 0
	s_and_saveexec_b64 s[10:11], s[36:37]
	s_cbranch_execz .LBB61_36
; %bb.35:                               ;   in Loop: Header=BB61_3 Depth=1
	v_add_co_u32_e32 v169, vcc, v86, v5
	v_addc_co_u32_e32 v170, vcc, v87, v6, vcc
	global_load_dword v169, v[169:170], off
	v_add_co_u32_e32 v170, vcc, v88, v5
	v_addc_co_u32_e32 v171, vcc, v89, v6, vcc
	global_load_dword v170, v[170:171], off
.LBB61_36:                              ;   in Loop: Header=BB61_3 Depth=1
	;; [unrolled: 34-line block ×10, first 2 shown]
	s_or_b64 exec, exec, s[10:11]
	v_add_co_u32_e32 v203, vcc, 30, v7
	v_addc_co_u32_e32 v204, vcc, 0, v8, vcc
	v_cmp_gt_i64_e32 vcc, s[12:13], v[203:204]
	v_mov_b32_e32 v203, 0
	s_and_b64 s[36:37], s[2:3], vcc
	s_and_saveexec_b64 s[10:11], s[36:37]
	s_cbranch_execz .LBB61_70
; %bb.69:                               ;   in Loop: Header=BB61_3 Depth=1
	v_add_co_u32_e32 v203, vcc, v18, v5
	v_addc_co_u32_e32 v204, vcc, v19, v6, vcc
	global_load_dword v199, v[203:204], off
	v_add_co_u32_e32 v203, vcc, v20, v5
	v_addc_co_u32_e32 v204, vcc, v21, v6, vcc
	global_load_dword v203, v[203:204], off
.LBB61_70:                              ;   in Loop: Header=BB61_3 Depth=1
	s_or_b64 exec, exec, s[10:11]
	v_add_co_u32_e32 v204, vcc, 31, v7
	v_addc_co_u32_e32 v205, vcc, 0, v8, vcc
	v_cmp_gt_i64_e32 vcc, s[12:13], v[204:205]
	v_mov_b32_e32 v159, 0
	s_and_b64 s[36:37], s[2:3], vcc
	v_mov_b32_e32 v165, 0
	s_and_saveexec_b64 s[10:11], s[36:37]
	s_cbranch_execz .LBB61_72
; %bb.71:                               ;   in Loop: Header=BB61_3 Depth=1
	v_add_co_u32_e32 v204, vcc, v14, v5
	v_addc_co_u32_e32 v205, vcc, v15, v6, vcc
	global_load_dword v159, v[204:205], off
	v_add_co_u32_e32 v204, vcc, v16, v5
	v_addc_co_u32_e32 v205, vcc, v17, v6, vcc
	global_load_dword v165, v[204:205], off
.LBB61_72:                              ;   in Loop: Header=BB61_3 Depth=1
	s_or_b64 exec, exec, s[10:11]
	s_waitcnt vmcnt(1)
	ds_bpermute_b32 v204, v138, v141
	s_waitcnt vmcnt(0)
	ds_bpermute_b32 v205, v138, v140
	ds_bpermute_b32 v207, v138, v141 offset:4
	ds_bpermute_b32 v208, v138, v140 offset:4
	v_add_f32_e32 v206, v3, v142
	s_waitcnt lgkmcnt(3)
	v_sub_f32_e32 v9, v9, v204
	v_mul_f32_e32 v9, v142, v9
	s_waitcnt lgkmcnt(2)
	v_fma_f32 v142, v9, v205, v139
	s_waitcnt lgkmcnt(1)
	v_sub_f32_e32 v9, v144, v207
	ds_bpermute_b32 v144, v138, v141 offset:8
	v_mul_f32_e32 v9, v143, v9
	s_waitcnt lgkmcnt(1)
	v_fmac_f32_e32 v142, v9, v208
	ds_bpermute_b32 v9, v138, v140 offset:8
	v_add_f32_e32 v143, v206, v143
	s_waitcnt lgkmcnt(1)
	v_sub_f32_e32 v144, v146, v144
	ds_bpermute_b32 v146, v138, v141 offset:12
	v_mul_f32_e32 v144, v10, v144
	s_waitcnt lgkmcnt(1)
	v_fmac_f32_e32 v142, v144, v9
	ds_bpermute_b32 v9, v138, v140 offset:12
	ds_bpermute_b32 v144, v138, v141 offset:16
	v_add_f32_e32 v10, v143, v10
	s_waitcnt lgkmcnt(2)
	v_sub_f32_e32 v143, v148, v146
	v_mul_f32_e32 v143, v147, v143
	s_waitcnt lgkmcnt(1)
	v_fmac_f32_e32 v142, v143, v9
	ds_bpermute_b32 v9, v138, v140 offset:16
	s_waitcnt lgkmcnt(1)
	v_sub_f32_e32 v143, v150, v144
	ds_bpermute_b32 v144, v138, v141 offset:20
	v_mul_f32_e32 v143, v145, v143
	v_add_f32_e32 v10, v10, v147
	s_waitcnt lgkmcnt(1)
	v_fmac_f32_e32 v142, v143, v9
	ds_bpermute_b32 v9, v138, v140 offset:20
	s_waitcnt lgkmcnt(1)
	v_sub_f32_e32 v143, v152, v144
	ds_bpermute_b32 v144, v138, v141 offset:24
	v_mul_f32_e32 v143, v151, v143
	v_add_f32_e32 v10, v10, v145
	;; [unrolled: 8-line block ×25, first 2 shown]
	s_waitcnt lgkmcnt(1)
	v_fmac_f32_e32 v142, v143, v9
	ds_bpermute_b32 v9, v138, v140 offset:116
	s_waitcnt lgkmcnt(1)
	v_sub_f32_e32 v143, v202, v144
	ds_bpermute_b32 v144, v138, v141 offset:120
	v_add_f32_e32 v10, v10, v195
	v_mul_f32_e32 v143, v201, v143
	ds_bpermute_b32 v145, v138, v140 offset:120
	s_waitcnt lgkmcnt(2)
	v_fmac_f32_e32 v142, v143, v9
	v_add_f32_e32 v143, v10, v201
	ds_bpermute_b32 v9, v138, v140 offset:124
	ds_bpermute_b32 v10, v138, v141 offset:124
	s_waitcnt lgkmcnt(3)
	v_sub_f32_e32 v144, v203, v144
	v_mul_f32_e32 v140, v199, v144
	s_waitcnt lgkmcnt(2)
	v_fmac_f32_e32 v142, v140, v145
	v_add_f32_e32 v140, v143, v199
	s_mov_b64 s[10:11], 0
.LBB61_73:                              ;   in Loop: Header=BB61_3 Depth=1
	s_and_b64 vcc, exec, s[10:11]
	s_cbranch_vccz .LBB61_143
; %bb.74:                               ;   in Loop: Header=BB61_3 Depth=1
	s_load_dword s10, s[26:27], 0x0
	v_mov_b32_e32 v140, 0
	s_waitcnt lgkmcnt(0)
	v_mov_b32_e32 v9, 0
	s_cmp_lt_u32 s6, s10
	s_cselect_b32 s10, 12, 18
	s_add_u32 s10, s26, s10
	s_addc_u32 s11, s27, 0
	global_load_ushort v10, v4, s[10:11]
	s_waitcnt vmcnt(0)
	v_mad_u32_u24 v10, v1, v10, v0
	v_and_b32_e32 v141, 63, v10
	v_cmp_gt_u32_e32 vcc, 32, v141
	v_mov_b32_e32 v10, 0
	s_and_saveexec_b64 s[10:11], vcc
	s_cbranch_execz .LBB61_78
; %bb.75:                               ;   in Loop: Header=BB61_3 Depth=1
	v_add_co_u32_e32 v7, vcc, v7, v141
	v_addc_co_u32_e32 v8, vcc, 0, v8, vcc
	v_cmp_gt_i64_e32 vcc, s[12:13], v[7:8]
	v_mov_b32_e32 v10, 0
	v_mov_b32_e32 v9, 0
	s_and_saveexec_b64 s[36:37], vcc
	s_cbranch_execz .LBB61_77
; %bb.76:                               ;   in Loop: Header=BB61_3 Depth=1
	v_lshlrev_b64 v[7:8], 2, v[7:8]
	v_mov_b32_e32 v9, s23
	v_add_co_u32_e32 v141, vcc, s22, v7
	v_addc_co_u32_e32 v142, vcc, v9, v8, vcc
	v_mov_b32_e32 v9, s21
	v_add_co_u32_e32 v7, vcc, s20, v7
	v_addc_co_u32_e32 v8, vcc, v9, v8, vcc
	global_load_dword v10, v[7:8], off
	global_load_dword v9, v[141:142], off
.LBB61_77:                              ;   in Loop: Header=BB61_3 Depth=1
	s_or_b64 exec, exec, s[36:37]
.LBB61_78:                              ;   in Loop: Header=BB61_3 Depth=1
	s_or_b64 exec, exec, s[10:11]
	v_mov_b32_e32 v7, 0
	v_mov_b32_e32 v8, 0
	s_and_saveexec_b64 s[10:11], s[2:3]
	s_cbranch_execz .LBB61_80
; %bb.79:                               ;   in Loop: Header=BB61_3 Depth=1
	v_add_co_u32_e32 v7, vcc, v209, v5
	v_addc_co_u32_e32 v8, vcc, v11, v6, vcc
	v_add_co_u32_e32 v141, vcc, v12, v5
	v_addc_co_u32_e32 v142, vcc, v13, v6, vcc
	global_load_dword v7, v[7:8], off
	s_nop 0
	global_load_dword v8, v[141:142], off
.LBB61_80:                              ;   in Loop: Header=BB61_3 Depth=1
	s_or_b64 exec, exec, s[10:11]
	v_mov_b32_e32 v143, 0
	s_and_saveexec_b64 s[10:11], s[2:3]
	s_cbranch_execz .LBB61_82
; %bb.81:                               ;   in Loop: Header=BB61_3 Depth=1
	v_add_co_u32_e32 v140, vcc, v134, v5
	v_addc_co_u32_e32 v141, vcc, v135, v6, vcc
	global_load_dword v140, v[140:141], off
	v_add_co_u32_e32 v141, vcc, v136, v5
	v_addc_co_u32_e32 v142, vcc, v137, v6, vcc
	global_load_dword v143, v[141:142], off
.LBB61_82:                              ;   in Loop: Header=BB61_3 Depth=1
	s_or_b64 exec, exec, s[10:11]
	v_mov_b32_e32 v141, 0
	v_mov_b32_e32 v142, 0
	v_mov_b32_e32 v145, 0
	s_and_saveexec_b64 s[10:11], s[2:3]
	s_cbranch_execz .LBB61_84
; %bb.83:                               ;   in Loop: Header=BB61_3 Depth=1
	v_add_co_u32_e32 v144, vcc, v130, v5
	v_addc_co_u32_e32 v145, vcc, v131, v6, vcc
	global_load_dword v142, v[144:145], off
	v_add_co_u32_e32 v144, vcc, v132, v5
	v_addc_co_u32_e32 v145, vcc, v133, v6, vcc
	global_load_dword v145, v[144:145], off
.LBB61_84:                              ;   in Loop: Header=BB61_3 Depth=1
	s_or_b64 exec, exec, s[10:11]
	v_mov_b32_e32 v147, 0
	s_and_saveexec_b64 s[10:11], s[2:3]
	s_cbranch_execz .LBB61_86
; %bb.85:                               ;   in Loop: Header=BB61_3 Depth=1
	v_add_co_u32_e32 v146, vcc, v126, v5
	v_addc_co_u32_e32 v147, vcc, v127, v6, vcc
	global_load_dword v141, v[146:147], off
	v_add_co_u32_e32 v146, vcc, v128, v5
	v_addc_co_u32_e32 v147, vcc, v129, v6, vcc
	global_load_dword v147, v[146:147], off
.LBB61_86:                              ;   in Loop: Header=BB61_3 Depth=1
	s_or_b64 exec, exec, s[10:11]
	v_mov_b32_e32 v144, 0
	v_mov_b32_e32 v146, 0
	v_mov_b32_e32 v149, 0
	s_and_saveexec_b64 s[10:11], s[2:3]
	s_cbranch_execz .LBB61_88
; %bb.87:                               ;   in Loop: Header=BB61_3 Depth=1
	v_add_co_u32_e32 v148, vcc, v122, v5
	v_addc_co_u32_e32 v149, vcc, v123, v6, vcc
	global_load_dword v146, v[148:149], off
	v_add_co_u32_e32 v148, vcc, v124, v5
	v_addc_co_u32_e32 v149, vcc, v125, v6, vcc
	global_load_dword v149, v[148:149], off
.LBB61_88:                              ;   in Loop: Header=BB61_3 Depth=1
	;; [unrolled: 26-line block ×4, first 2 shown]
	s_or_b64 exec, exec, s[10:11]
	v_mov_b32_e32 v160, 0
	s_and_saveexec_b64 s[10:11], s[2:3]
	s_cbranch_execz .LBB61_98
; %bb.97:                               ;   in Loop: Header=BB61_3 Depth=1
	v_add_co_u32_e32 v158, vcc, v102, v5
	v_addc_co_u32_e32 v159, vcc, v103, v6, vcc
	global_load_dword v152, v[158:159], off
	v_add_co_u32_e32 v158, vcc, v104, v5
	v_addc_co_u32_e32 v159, vcc, v105, v6, vcc
	global_load_dword v160, v[158:159], off
.LBB61_98:                              ;   in Loop: Header=BB61_3 Depth=1
	s_or_b64 exec, exec, s[10:11]
	v_mov_b32_e32 v156, 0
	v_mov_b32_e32 v158, 0
	;; [unrolled: 1-line block ×3, first 2 shown]
	s_and_saveexec_b64 s[10:11], s[2:3]
	s_cbranch_execz .LBB61_100
; %bb.99:                               ;   in Loop: Header=BB61_3 Depth=1
	v_add_co_u32_e32 v158, vcc, v98, v5
	v_addc_co_u32_e32 v159, vcc, v99, v6, vcc
	v_add_co_u32_e32 v161, vcc, v100, v5
	v_addc_co_u32_e32 v162, vcc, v101, v6, vcc
	global_load_dword v158, v[158:159], off
	s_nop 0
	global_load_dword v162, v[161:162], off
.LBB61_100:                             ;   in Loop: Header=BB61_3 Depth=1
	s_or_b64 exec, exec, s[10:11]
	v_mov_b32_e32 v164, 0
	s_and_saveexec_b64 s[10:11], s[2:3]
	s_cbranch_execz .LBB61_102
; %bb.101:                              ;   in Loop: Header=BB61_3 Depth=1
	v_add_co_u32_e32 v163, vcc, v94, v5
	v_addc_co_u32_e32 v164, vcc, v95, v6, vcc
	global_load_dword v156, v[163:164], off
	v_add_co_u32_e32 v163, vcc, v96, v5
	v_addc_co_u32_e32 v164, vcc, v97, v6, vcc
	global_load_dword v164, v[163:164], off
.LBB61_102:                             ;   in Loop: Header=BB61_3 Depth=1
	s_or_b64 exec, exec, s[10:11]
	v_mov_b32_e32 v161, 0
	v_mov_b32_e32 v163, 0
	v_mov_b32_e32 v167, 0
	s_and_saveexec_b64 s[10:11], s[2:3]
	s_cbranch_execz .LBB61_104
; %bb.103:                              ;   in Loop: Header=BB61_3 Depth=1
	v_add_co_u32_e32 v165, vcc, v90, v5
	v_addc_co_u32_e32 v166, vcc, v91, v6, vcc
	global_load_dword v163, v[165:166], off
	v_add_co_u32_e32 v165, vcc, v92, v5
	v_addc_co_u32_e32 v166, vcc, v93, v6, vcc
	global_load_dword v167, v[165:166], off
.LBB61_104:                             ;   in Loop: Header=BB61_3 Depth=1
	s_or_b64 exec, exec, s[10:11]
	v_mov_b32_e32 v169, 0
	s_and_saveexec_b64 s[10:11], s[2:3]
	s_cbranch_execz .LBB61_106
; %bb.105:                              ;   in Loop: Header=BB61_3 Depth=1
	v_add_co_u32_e32 v165, vcc, v86, v5
	v_addc_co_u32_e32 v166, vcc, v87, v6, vcc
	global_load_dword v161, v[165:166], off
	v_add_co_u32_e32 v165, vcc, v88, v5
	v_addc_co_u32_e32 v166, vcc, v89, v6, vcc
	global_load_dword v169, v[165:166], off
.LBB61_106:                             ;   in Loop: Header=BB61_3 Depth=1
	s_or_b64 exec, exec, s[10:11]
	v_mov_b32_e32 v166, 0
	v_mov_b32_e32 v168, 0
	;; [unrolled: 1-line block ×3, first 2 shown]
	s_and_saveexec_b64 s[10:11], s[2:3]
	s_cbranch_execz .LBB61_108
; %bb.107:                              ;   in Loop: Header=BB61_3 Depth=1
	v_add_co_u32_e32 v170, vcc, v82, v5
	v_addc_co_u32_e32 v171, vcc, v83, v6, vcc
	global_load_dword v168, v[170:171], off
	v_add_co_u32_e32 v170, vcc, v84, v5
	v_addc_co_u32_e32 v171, vcc, v85, v6, vcc
	global_load_dword v171, v[170:171], off
.LBB61_108:                             ;   in Loop: Header=BB61_3 Depth=1
	s_or_b64 exec, exec, s[10:11]
	v_mov_b32_e32 v173, 0
	s_and_saveexec_b64 s[10:11], s[2:3]
	s_cbranch_execz .LBB61_110
; %bb.109:                              ;   in Loop: Header=BB61_3 Depth=1
	v_add_co_u32_e32 v165, vcc, v78, v5
	v_addc_co_u32_e32 v166, vcc, v79, v6, vcc
	v_add_co_u32_e32 v172, vcc, v80, v5
	v_addc_co_u32_e32 v173, vcc, v81, v6, vcc
	global_load_dword v166, v[165:166], off
	s_nop 0
	global_load_dword v173, v[172:173], off
.LBB61_110:                             ;   in Loop: Header=BB61_3 Depth=1
	s_or_b64 exec, exec, s[10:11]
	v_mov_b32_e32 v170, 0
	v_mov_b32_e32 v172, 0
	v_mov_b32_e32 v175, 0
	s_and_saveexec_b64 s[10:11], s[2:3]
	s_cbranch_execz .LBB61_112
; %bb.111:                              ;   in Loop: Header=BB61_3 Depth=1
	v_add_co_u32_e32 v174, vcc, v74, v5
	v_addc_co_u32_e32 v175, vcc, v75, v6, vcc
	global_load_dword v172, v[174:175], off
	v_add_co_u32_e32 v174, vcc, v76, v5
	v_addc_co_u32_e32 v175, vcc, v77, v6, vcc
	global_load_dword v175, v[174:175], off
.LBB61_112:                             ;   in Loop: Header=BB61_3 Depth=1
	s_or_b64 exec, exec, s[10:11]
	v_mov_b32_e32 v177, 0
	s_and_saveexec_b64 s[10:11], s[2:3]
	s_cbranch_execz .LBB61_114
; %bb.113:                              ;   in Loop: Header=BB61_3 Depth=1
	v_add_co_u32_e32 v176, vcc, v70, v5
	v_addc_co_u32_e32 v177, vcc, v71, v6, vcc
	global_load_dword v170, v[176:177], off
	v_add_co_u32_e32 v176, vcc, v72, v5
	v_addc_co_u32_e32 v177, vcc, v73, v6, vcc
	global_load_dword v177, v[176:177], off
.LBB61_114:                             ;   in Loop: Header=BB61_3 Depth=1
	s_or_b64 exec, exec, s[10:11]
	v_mov_b32_e32 v174, 0
	v_mov_b32_e32 v176, 0
	v_mov_b32_e32 v179, 0
	s_and_saveexec_b64 s[10:11], s[2:3]
	s_cbranch_execz .LBB61_116
; %bb.115:                              ;   in Loop: Header=BB61_3 Depth=1
	v_add_co_u32_e32 v178, vcc, v66, v5
	v_addc_co_u32_e32 v179, vcc, v67, v6, vcc
	global_load_dword v176, v[178:179], off
	v_add_co_u32_e32 v178, vcc, v68, v5
	v_addc_co_u32_e32 v179, vcc, v69, v6, vcc
	global_load_dword v179, v[178:179], off
.LBB61_116:                             ;   in Loop: Header=BB61_3 Depth=1
	s_or_b64 exec, exec, s[10:11]
	v_mov_b32_e32 v181, 0
	s_and_saveexec_b64 s[10:11], s[2:3]
	s_cbranch_execz .LBB61_118
; %bb.117:                              ;   in Loop: Header=BB61_3 Depth=1
	v_add_co_u32_e32 v180, vcc, v62, v5
	v_addc_co_u32_e32 v181, vcc, v63, v6, vcc
	global_load_dword v174, v[180:181], off
	v_add_co_u32_e32 v180, vcc, v64, v5
	v_addc_co_u32_e32 v181, vcc, v65, v6, vcc
	global_load_dword v181, v[180:181], off
.LBB61_118:                             ;   in Loop: Header=BB61_3 Depth=1
	;; [unrolled: 26-line block ×8, first 2 shown]
	s_or_b64 exec, exec, s[10:11]
	s_waitcnt vmcnt(1)
	ds_bpermute_b32 v202, v138, v10
	s_waitcnt vmcnt(0)
	ds_bpermute_b32 v203, v138, v9
	ds_bpermute_b32 v204, v138, v10 offset:4
	ds_bpermute_b32 v205, v138, v9 offset:4
	v_add_f32_e32 v3, v3, v7
	s_waitcnt lgkmcnt(3)
	v_sub_f32_e32 v8, v8, v202
	v_mul_f32_e32 v7, v7, v8
	s_waitcnt lgkmcnt(2)
	v_fmac_f32_e32 v139, v7, v203
	s_waitcnt lgkmcnt(1)
	v_sub_f32_e32 v7, v143, v204
	ds_bpermute_b32 v8, v138, v10 offset:8
	v_mul_f32_e32 v7, v140, v7
	s_waitcnt lgkmcnt(1)
	v_fmac_f32_e32 v139, v7, v205
	ds_bpermute_b32 v7, v138, v9 offset:8
	v_add_f32_e32 v3, v3, v140
	s_waitcnt lgkmcnt(1)
	v_sub_f32_e32 v8, v145, v8
	ds_bpermute_b32 v140, v138, v10 offset:12
	v_mul_f32_e32 v8, v142, v8
	s_waitcnt lgkmcnt(1)
	v_fmac_f32_e32 v139, v8, v7
	ds_bpermute_b32 v7, v138, v9 offset:12
	v_add_f32_e32 v3, v3, v142
	;; [unrolled: 8-line block ×28, first 2 shown]
	s_waitcnt lgkmcnt(1)
	v_sub_f32_e32 v8, v200, v140
	ds_bpermute_b32 v140, v138, v10 offset:120
	v_mul_f32_e32 v8, v195, v8
	s_waitcnt lgkmcnt(1)
	v_fmac_f32_e32 v139, v8, v7
	ds_bpermute_b32 v7, v138, v9 offset:120
	ds_bpermute_b32 v9, v138, v9 offset:124
	;; [unrolled: 1-line block ×3, first 2 shown]
	s_waitcnt lgkmcnt(3)
	v_sub_f32_e32 v8, v201, v140
	v_mul_f32_e32 v8, v199, v8
	v_add_f32_e32 v3, v3, v195
	s_waitcnt lgkmcnt(2)
	v_fmac_f32_e32 v139, v8, v7
	v_add_f32_e32 v140, v3, v199
	v_mov_b32_e32 v142, v139
.LBB61_143:                             ;   in Loop: Header=BB61_3 Depth=1
	v_mov_b32_e32 v7, s29
	v_add_co_u32_e32 v209, vcc, s28, v209
	v_addc_co_u32_e32 v11, vcc, v11, v7, vcc
	v_add_co_u32_e32 v12, vcc, s28, v12
	v_addc_co_u32_e32 v13, vcc, v13, v7, vcc
	;; [unrolled: 2-line block ×64, first 2 shown]
	s_add_u32 s34, s34, s9
	v_add_co_u32_e32 v210, vcc, s9, v210
	v_mov_b32_e32 v7, s12
	s_addc_u32 s35, s35, 0
	v_addc_co_u32_e32 v2, vcc, 0, v2, vcc
	v_mov_b32_e32 v8, s13
	s_waitcnt lgkmcnt(0)
	v_sub_f32_e32 v3, v165, v10
	v_cmp_lt_i64_e32 vcc, s[34:35], v[7:8]
	v_mul_f32_e32 v3, v159, v3
	s_add_u32 s30, s30, s9
	v_fmac_f32_e32 v142, v3, v9
	v_add_f32_e32 v3, v140, v159
	s_addc_u32 s31, 0, s31
	s_cbranch_vccz .LBB61_146
; %bb.144:                              ;   in Loop: Header=BB61_3 Depth=1
	v_mov_b32_e32 v139, v142
	s_branch .LBB61_3
.LBB61_145:
                                        ; implicit-def: $vgpr3
                                        ; implicit-def: $vgpr142
	s_branch .LBB61_147
.LBB61_146:
	s_cbranch_execnz .LBB61_228
.LBB61_147:
	v_mov_b32_e32 v3, 0
	s_and_b64 vcc, exec, s[0:1]
	v_mov_b32_e32 v142, 0
	s_cbranch_vccnz .LBB61_228
; %bb.148:
	v_lshlrev_b32_e32 v144, 5, v1
	v_add_co_u32_e32 v137, vcc, s24, v144
	v_addc_co_u32_e64 v136, s[0:1], 0, 0, vcc
	v_mul_lo_u32 v4, s15, v137
	v_mul_lo_u32 v5, s14, v136
	v_mad_u64_u32 v[14:15], s[0:1], s14, v137, 0
	v_mov_b32_e32 v6, s17
	s_add_u32 s2, s4, 64
	v_add3_u32 v15, v15, v5, v4
	v_lshlrev_b64 v[4:5], 2, v[14:15]
	s_addc_u32 s3, s5, 0
	v_add_co_u32_e32 v187, vcc, s16, v4
	v_addc_co_u32_e32 v188, vcc, v6, v5, vcc
	v_mov_b32_e32 v6, s19
	v_add_co_u32_e32 v189, vcc, s18, v4
	v_addc_co_u32_e32 v190, vcc, v6, v5, vcc
	v_lshlrev_b32_e32 v4, 7, v1
	s_lshl_b64 s[0:1], s[24:25], 2
	v_mov_b32_e32 v5, s1
	v_add_co_u32_e32 v124, vcc, s0, v4
	v_addc_co_u32_e32 v125, vcc, 0, v5, vcc
	v_add_co_u32_e32 v6, vcc, 4, v124
	v_addc_co_u32_e32 v7, vcc, 0, v125, vcc
	v_mov_b32_e32 v127, s17
	v_mov_b32_e32 v129, s19
	;; [unrolled: 1-line block ×4, first 2 shown]
	v_add_co_u32_e32 v13, vcc, 8, v124
	v_mad_u64_u32 v[4:5], s[0:1], s14, v6, v[126:127]
	v_mul_lo_u32 v11, s14, v7
	v_mul_lo_u32 v12, s15, v6
	v_mad_u64_u32 v[6:7], s[0:1], s14, v6, v[128:129]
	v_addc_co_u32_e32 v8, vcc, 0, v125, vcc
	v_mov_b32_e32 v2, v1
	v_mov_b32_e32 v10, s15
	v_add_co_u32_e32 v130, vcc, s14, v14
	buffer_store_dword v2, off, s[40:43], 0 offset:292 ; 4-byte Folded Spill
	s_nop 0
	buffer_store_dword v3, off, s[40:43], 0 offset:296 ; 4-byte Folded Spill
	v_addc_co_u32_e32 v131, vcc, v15, v10, vcc
	v_add_co_u32_e32 v2, vcc, 12, v124
	v_mul_lo_u32 v18, s14, v8
	v_mul_lo_u32 v19, s15, v13
	v_mad_u64_u32 v[8:9], s[0:1], s14, v13, v[126:127]
	v_add3_u32 v5, v12, v5, v11
	v_add3_u32 v7, v12, v7, v11
	v_mad_u64_u32 v[10:11], s[0:1], s14, v13, v[128:129]
	v_addc_co_u32_e32 v3, vcc, 0, v125, vcc
	v_mul_lo_u32 v3, s14, v3
	v_mul_lo_u32 v20, s15, v2
	v_mad_u64_u32 v[12:13], s[0:1], s14, v2, v[126:127]
	v_mad_u64_u32 v[14:15], s[0:1], s14, v2, v[128:129]
	v_add_co_u32_e32 v2, vcc, 16, v124
	v_addc_co_u32_e32 v16, vcc, 0, v125, vcc
	v_add3_u32 v9, v19, v9, v18
	v_mul_lo_u32 v26, s14, v16
	v_mul_lo_u32 v27, s15, v2
	v_mad_u64_u32 v[16:17], s[0:1], s14, v2, v[126:127]
	v_add3_u32 v11, v19, v11, v18
	v_mad_u64_u32 v[18:19], s[0:1], s14, v2, v[128:129]
	v_add_co_u32_e32 v2, vcc, 20, v124
	v_add3_u32 v13, v20, v13, v3
	v_add3_u32 v15, v20, v15, v3
	v_addc_co_u32_e32 v3, vcc, 0, v125, vcc
	v_mul_lo_u32 v3, s14, v3
	v_mul_lo_u32 v28, s15, v2
	v_mad_u64_u32 v[20:21], s[0:1], s14, v2, v[126:127]
	v_mad_u64_u32 v[22:23], s[0:1], s14, v2, v[128:129]
	v_add_co_u32_e32 v2, vcc, 24, v124
	v_addc_co_u32_e32 v24, vcc, 0, v125, vcc
	v_add3_u32 v17, v27, v17, v26
	v_mul_lo_u32 v34, s14, v24
	v_mul_lo_u32 v35, s15, v2
	v_mad_u64_u32 v[24:25], s[0:1], s14, v2, v[126:127]
	v_add3_u32 v19, v27, v19, v26
	v_mad_u64_u32 v[26:27], s[0:1], s14, v2, v[128:129]
	v_add_co_u32_e32 v2, vcc, 28, v124
	v_add3_u32 v21, v28, v21, v3
	v_add3_u32 v23, v28, v23, v3
	;; [unrolled: 16-line block ×6, first 2 shown]
	v_addc_co_u32_e32 v3, vcc, 0, v125, vcc
	v_mul_lo_u32 v68, s15, v2
	v_mad_u64_u32 v[60:61], s[0:1], s14, v2, v[126:127]
	v_mad_u64_u32 v[62:63], s[0:1], s14, v2, v[128:129]
	v_add_co_u32_e32 v2, vcc, 64, v124
	v_mul_lo_u32 v3, s14, v3
	v_addc_co_u32_e32 v64, vcc, 0, v125, vcc
	v_add3_u32 v57, v67, v57, v66
	v_mul_lo_u32 v74, s14, v64
	v_mad_u64_u32 v[64:65], s[0:1], s14, v2, v[126:127]
	v_add3_u32 v59, v67, v59, v66
	v_mad_u64_u32 v[66:67], s[0:1], s14, v2, v[128:129]
	s_movk_i32 s0, 0x44
	v_mul_lo_u32 v75, s15, v2
	v_add_co_u32_e32 v2, vcc, s0, v124
	v_add3_u32 v61, v68, v61, v3
	v_add3_u32 v63, v68, v63, v3
	v_mad_u64_u32 v[68:69], s[0:1], s14, v2, v[126:127]
	v_mad_u64_u32 v[70:71], s[0:1], s14, v2, v[128:129]
	v_addc_co_u32_e32 v3, vcc, 0, v125, vcc
	s_movk_i32 s0, 0x48
	v_mul_lo_u32 v76, s15, v2
	v_add_co_u32_e32 v2, vcc, s0, v124
	v_mul_lo_u32 v3, s14, v3
	v_addc_co_u32_e32 v72, vcc, 0, v125, vcc
	v_add3_u32 v65, v75, v65, v74
	v_mul_lo_u32 v82, s14, v72
	v_mad_u64_u32 v[72:73], s[0:1], s14, v2, v[126:127]
	v_add3_u32 v67, v75, v67, v74
	v_mad_u64_u32 v[74:75], s[0:1], s14, v2, v[128:129]
	s_movk_i32 s0, 0x4c
	v_mul_lo_u32 v83, s15, v2
	v_add_co_u32_e32 v2, vcc, s0, v124
	v_add3_u32 v69, v76, v69, v3
	v_add3_u32 v71, v76, v71, v3
	v_mad_u64_u32 v[76:77], s[0:1], s14, v2, v[126:127]
	v_mad_u64_u32 v[78:79], s[0:1], s14, v2, v[128:129]
	v_addc_co_u32_e32 v3, vcc, 0, v125, vcc
	s_movk_i32 s0, 0x50
	v_mul_lo_u32 v84, s15, v2
	;; [unrolled: 18-line block ×7, first 2 shown]
	v_add_co_u32_e32 v2, vcc, s0, v124
	v_mul_lo_u32 v3, s14, v3
	v_addc_co_u32_e32 v120, vcc, 0, v125, vcc
	v_add3_u32 v113, v123, v113, v122
	v_mul_lo_u32 v133, s14, v120
	v_mad_u64_u32 v[120:121], s[0:1], s14, v2, v[126:127]
	v_add3_u32 v115, v123, v115, v122
	v_mad_u64_u32 v[122:123], s[0:1], s14, v2, v[128:129]
	s_movk_i32 s0, 0x7c
	v_mul_lo_u32 v134, s15, v2
	v_add_co_u32_e32 v2, vcc, s0, v124
	v_add3_u32 v117, v132, v117, v3
	v_add3_u32 v119, v132, v119, v3
	v_addc_co_u32_e32 v3, vcc, 0, v125, vcc
	v_mad_u64_u32 v[124:125], s[0:1], s14, v2, v[126:127]
	v_mad_u64_u32 v[126:127], s[0:1], s14, v2, v[128:129]
	v_mul_lo_u32 v128, s15, v2
	v_add_co_u32_e32 v2, vcc, 31, v137
	v_mul_lo_u32 v132, s14, v3
	v_addc_co_u32_e32 v3, vcc, 0, v136, vcc
	v_mul_lo_u32 v129, s14, v3
	v_mul_lo_u32 v135, s15, v2
	v_mad_u64_u32 v[2:3], s[0:1], s14, v2, 0
	v_add3_u32 v125, v128, v125, v132
	v_add3_u32 v127, v128, v127, v132
	;; [unrolled: 1-line block ×3, first 2 shown]
	v_lshlrev_b64 v[2:3], 2, v[2:3]
	v_mov_b32_e32 v128, s17
	v_add_co_u32_e32 v1, vcc, s16, v2
	buffer_store_dword v1, off, s[40:43], 0 ; 4-byte Folded Spill
	v_addc_co_u32_e32 v1, vcc, v128, v3, vcc
	v_add_co_u32_e32 v128, vcc, 30, v137
	v_addc_co_u32_e32 v129, vcc, 0, v136, vcc
	v_add3_u32 v121, v134, v121, v133
	v_add3_u32 v123, v134, v123, v133
	v_mul_lo_u32 v133, s14, v129
	v_mul_lo_u32 v134, s15, v128
	v_mad_u64_u32 v[128:129], s[0:1], s14, v128, 0
	buffer_store_dword v1, off, s[40:43], 0 offset:4 ; 4-byte Folded Spill
	v_mov_b32_e32 v132, s19
	v_add_co_u32_e32 v1, vcc, s18, v2
	v_add3_u32 v129, v129, v133, v134
	buffer_store_dword v1, off, s[40:43], 0 offset:8 ; 4-byte Folded Spill
	v_addc_co_u32_e32 v1, vcc, v132, v3, vcc
	v_lshlrev_b64 v[2:3], 2, v[128:129]
	buffer_store_dword v1, off, s[40:43], 0 offset:12 ; 4-byte Folded Spill
	v_mov_b32_e32 v128, s17
	v_add_co_u32_e32 v1, vcc, s16, v2
	buffer_store_dword v1, off, s[40:43], 0 offset:16 ; 4-byte Folded Spill
	v_addc_co_u32_e32 v1, vcc, v128, v3, vcc
	v_add_co_u32_e32 v128, vcc, 29, v137
	v_addc_co_u32_e32 v129, vcc, 0, v136, vcc
	v_mul_lo_u32 v133, s14, v129
	v_mul_lo_u32 v134, s15, v128
	v_mad_u64_u32 v[128:129], s[0:1], s14, v128, 0
	buffer_store_dword v1, off, s[40:43], 0 offset:20 ; 4-byte Folded Spill
	v_add_co_u32_e32 v1, vcc, s18, v2
	v_add3_u32 v129, v129, v133, v134
	buffer_store_dword v1, off, s[40:43], 0 offset:24 ; 4-byte Folded Spill
	v_addc_co_u32_e32 v1, vcc, v132, v3, vcc
	v_lshlrev_b64 v[2:3], 2, v[128:129]
	buffer_store_dword v1, off, s[40:43], 0 offset:28 ; 4-byte Folded Spill
	v_mov_b32_e32 v128, s17
	v_add_co_u32_e32 v1, vcc, s16, v2
	buffer_store_dword v1, off, s[40:43], 0 offset:32 ; 4-byte Folded Spill
	v_addc_co_u32_e32 v1, vcc, v128, v3, vcc
	v_add_co_u32_e32 v128, vcc, 28, v137
	v_addc_co_u32_e32 v129, vcc, 0, v136, vcc
	v_mul_lo_u32 v133, s14, v129
	v_mul_lo_u32 v134, s15, v128
	v_mad_u64_u32 v[128:129], s[0:1], s14, v128, 0
	buffer_store_dword v1, off, s[40:43], 0 offset:36 ; 4-byte Folded Spill
	;; [unrolled: 16-line block ×16, first 2 shown]
	v_add_co_u32_e32 v1, vcc, s18, v2
	v_add3_u32 v129, v129, v133, v134
	buffer_store_dword v1, off, s[40:43], 0 offset:264 ; 4-byte Folded Spill
	v_addc_co_u32_e32 v1, vcc, v132, v3, vcc
	v_lshlrev_b64 v[2:3], 2, v[128:129]
	buffer_store_dword v1, off, s[40:43], 0 offset:268 ; 4-byte Folded Spill
	v_mov_b32_e32 v128, s17
	v_add_co_u32_e32 v1, vcc, s16, v2
	v_mov_b32_e32 v135, v0
	v_addc_co_u32_e32 v0, vcc, v128, v3, vcc
	v_add_co_u32_e32 v128, vcc, 13, v137
	v_addc_co_u32_e32 v129, vcc, 0, v136, vcc
	v_mul_lo_u32 v133, s14, v129
	v_mul_lo_u32 v134, s15, v128
	v_mad_u64_u32 v[128:129], s[0:1], s14, v128, 0
	v_add_co_u32_e32 v211, vcc, s18, v2
	v_add3_u32 v129, v129, v133, v134
	v_addc_co_u32_e32 v212, vcc, v132, v3, vcc
	v_lshlrev_b64 v[2:3], 2, v[128:129]
	v_mov_b32_e32 v128, s17
	v_add_co_u32_e32 v213, vcc, s16, v2
	v_addc_co_u32_e32 v214, vcc, v128, v3, vcc
	v_add_co_u32_e32 v128, vcc, 12, v137
	v_addc_co_u32_e32 v129, vcc, 0, v136, vcc
	v_mul_lo_u32 v133, s14, v129
	v_mul_lo_u32 v134, s15, v128
	v_mad_u64_u32 v[128:129], s[0:1], s14, v128, 0
	v_add_co_u32_e32 v215, vcc, s18, v2
	v_add3_u32 v129, v129, v133, v134
	v_addc_co_u32_e32 v216, vcc, v132, v3, vcc
	v_lshlrev_b64 v[2:3], 2, v[128:129]
	v_mov_b32_e32 v128, s17
	v_add_co_u32_e32 v217, vcc, s16, v2
	;; [unrolled: 12-line block ×10, first 2 shown]
	v_addc_co_u32_e32 v250, vcc, v128, v3, vcc
	v_mov_b32_e32 v128, s19
	v_add_co_u32_e32 v251, vcc, s18, v2
	v_addc_co_u32_e32 v252, vcc, v128, v3, vcc
	v_add_co_u32_e32 v2, vcc, 3, v137
	v_addc_co_u32_e32 v3, vcc, 0, v136, vcc
	v_mul_lo_u32 v128, s14, v3
	v_mul_lo_u32 v129, s15, v2
	v_mad_u64_u32 v[2:3], s[0:1], s14, v2, 0
	buffer_store_dword v0, off, s[40:43], 0 offset:276 ; 4-byte Folded Spill
	buffer_store_dword v1, off, s[40:43], 0 offset:272 ; 4-byte Folded Spill
	v_add3_u32 v3, v3, v128, v129
	v_lshlrev_b64 v[2:3], 2, v[2:3]
	v_mov_b32_e32 v128, s17
	v_add_co_u32_e32 v253, vcc, s16, v2
	v_addc_co_u32_e32 v254, vcc, v128, v3, vcc
	v_mov_b32_e32 v128, s19
	v_add_co_u32_e32 v255, vcc, s18, v2
	v_addc_co_u32_e32 v128, vcc, v128, v3, vcc
	v_add_co_u32_e32 v0, vcc, 2, v137
	v_addc_co_u32_e32 v1, vcc, 0, v136, vcc
	v_mul_lo_u32 v2, s14, v1
	v_mul_lo_u32 v3, s15, v0
	v_mad_u64_u32 v[0:1], s[0:1], s14, v0, 0
	v_lshlrev_b64 v[130:131], 2, v[130:131]
	s_load_dword s0, s[4:5], 0x44
	v_add3_u32 v1, v1, v2, v3
	v_lshlrev_b64 v[0:1], 2, v[0:1]
	v_mov_b32_e32 v2, s17
	v_add_co_u32_e32 v129, vcc, s16, v0
	v_addc_co_u32_e32 v2, vcc, v2, v1, vcc
	v_mov_b32_e32 v3, s19
	v_add_co_u32_e32 v137, vcc, s18, v0
	v_addc_co_u32_e32 v0, vcc, v3, v1, vcc
	;; [unrolled: 3-line block ×4, first 2 shown]
	v_mbcnt_lo_u32_b32 v3, -1, 0
	v_mbcnt_hi_u32_b32 v3, -1, v3
	v_add_u32_e32 v130, s7, v135
	v_mov_b32_e32 v131, 0
	s_waitcnt lgkmcnt(0)
	s_lshl_b32 s7, s0, 5
	v_lshlrev_b32_e32 v3, 2, v3
	s_mul_i32 s0, s15, s7
	s_mul_hi_u32 s1, s14, s7
	v_and_b32_e32 v136, 0x100, v3
	v_mov_b32_e32 v3, v131
	buffer_store_dword v135, off, s[40:43], 0 offset:300 ; 4-byte Folded Spill
	s_add_i32 s1, s1, s0
	s_mul_i32 s0, s14, s7
	v_mov_b32_e32 v141, v131
	buffer_store_dword v2, off, s[40:43], 0 offset:304 ; 4-byte Folded Spill
	s_nop 0
	buffer_store_dword v3, off, s[40:43], 0 offset:308 ; 4-byte Folded Spill
	v_lshlrev_b64 v[130:131], 2, v[130:131]
	s_lshl_b64 s[10:11], s[0:1], 2
	s_mov_b64 s[16:17], 31
	s_mov_b64 s[18:19], s[24:25]
	v_mov_b32_e32 v143, 0
	v_mov_b32_e32 v3, 0
.LBB61_149:                             ; =>This Inner Loop Header: Depth=1
	s_add_u32 s0, s24, s16
	v_mov_b32_e32 v133, s13
	s_addc_u32 s1, 0, s17
	v_mov_b32_e32 v132, s12
	v_cmp_ge_i64_e32 vcc, s[0:1], v[132:133]
	v_add_co_u32_e64 v132, s[0:1], s24, v144
	v_addc_co_u32_e64 v133, s[0:1], 0, v141, s[0:1]
	s_mov_b64 s[0:1], -1
	s_and_b64 vcc, exec, vcc
	buffer_store_dword v144, off, s[40:43], 0 offset:280 ; 4-byte Folded Spill
                                        ; implicit-def: $vgpr135
                                        ; implicit-def: $vgpr191
                                        ; implicit-def: $vgpr192
                                        ; implicit-def: $vgpr144
                                        ; implicit-def: $vgpr134
                                        ; implicit-def: $vgpr142
	s_cbranch_vccz .LBB61_219
; %bb.150:                              ;   in Loop: Header=BB61_149 Depth=1
	s_load_dword s0, s[2:3], 0xc
	buffer_load_dword v134, off, s[40:43], 0 offset:292 ; 4-byte Folded Reload
	buffer_load_dword v135, off, s[40:43], 0 offset:296 ; 4-byte Folded Reload
	;; [unrolled: 1-line block ×3, first 2 shown]
	v_mov_b32_e32 v147, 0
	v_mov_b32_e32 v144, 0
	s_waitcnt lgkmcnt(0)
	s_and_b32 s0, s0, 0xffff
	v_mov_b32_e32 v145, 0
	s_waitcnt vmcnt(0)
	v_mad_u32_u24 v134, v134, s0, v135
	v_and_b32_e32 v134, 63, v134
	v_cmp_gt_u32_e32 vcc, 32, v134
	s_and_saveexec_b64 s[0:1], vcc
	s_cbranch_execz .LBB61_154
; %bb.151:                              ;   in Loop: Header=BB61_149 Depth=1
	v_add_co_u32_e32 v134, vcc, v132, v134
	v_addc_co_u32_e32 v135, vcc, 0, v133, vcc
	v_cmp_gt_i64_e32 vcc, s[12:13], v[134:135]
	v_mov_b32_e32 v145, 0
	v_mov_b32_e32 v144, 0
	s_and_saveexec_b64 s[26:27], vcc
	s_cbranch_execz .LBB61_153
; %bb.152:                              ;   in Loop: Header=BB61_149 Depth=1
	v_lshlrev_b64 v[134:135], 2, v[134:135]
	v_mov_b32_e32 v142, s23
	v_add_co_u32_e32 v148, vcc, s22, v134
	v_addc_co_u32_e32 v149, vcc, v142, v135, vcc
	v_mov_b32_e32 v142, s21
	v_add_co_u32_e32 v134, vcc, s20, v134
	v_addc_co_u32_e32 v135, vcc, v142, v135, vcc
	global_load_dword v145, v[134:135], off
	global_load_dword v144, v[148:149], off
.LBB61_153:                             ;   in Loop: Header=BB61_149 Depth=1
	s_or_b64 exec, exec, s[26:27]
.LBB61_154:                             ;   in Loop: Header=BB61_149 Depth=1
	s_or_b64 exec, exec, s[0:1]
	v_cmp_gt_i64_e32 vcc, s[12:13], v[132:133]
	v_mov_b32_e32 v142, 0
	s_and_saveexec_b64 s[0:1], vcc
	s_cbranch_execz .LBB61_156
; %bb.155:                              ;   in Loop: Header=BB61_149 Depth=1
	v_add_co_u32_e32 v134, vcc, v187, v130
	v_addc_co_u32_e32 v135, vcc, v188, v131, vcc
	global_load_dword v147, v[134:135], off
	v_add_co_u32_e32 v134, vcc, v189, v130
	v_addc_co_u32_e32 v135, vcc, v190, v131, vcc
	global_load_dword v142, v[134:135], off
.LBB61_156:                             ;   in Loop: Header=BB61_149 Depth=1
	s_or_b64 exec, exec, s[0:1]
	v_add_co_u32_e32 v134, vcc, 1, v132
	v_addc_co_u32_e32 v135, vcc, 0, v133, vcc
	v_cmp_gt_i64_e32 vcc, s[12:13], v[134:135]
	v_mov_b32_e32 v163, 0
	v_mov_b32_e32 v180, 0
	v_mov_b32_e32 v185, 0
	s_and_saveexec_b64 s[0:1], vcc
	s_cbranch_execz .LBB61_158
; %bb.157:                              ;   in Loop: Header=BB61_149 Depth=1
	v_add_co_u32_e32 v134, vcc, v1, v130
	v_addc_co_u32_e32 v135, vcc, v138, v131, vcc
	global_load_dword v180, v[134:135], off
	v_add_co_u32_e32 v134, vcc, v139, v130
	v_addc_co_u32_e32 v135, vcc, v140, v131, vcc
	global_load_dword v185, v[134:135], off
.LBB61_158:                             ;   in Loop: Header=BB61_149 Depth=1
	s_or_b64 exec, exec, s[0:1]
	v_add_co_u32_e32 v134, vcc, 2, v132
	v_addc_co_u32_e32 v135, vcc, 0, v133, vcc
	v_cmp_gt_i64_e32 vcc, s[12:13], v[134:135]
	v_mov_b32_e32 v184, 0
	s_and_saveexec_b64 s[0:1], vcc
	s_cbranch_execz .LBB61_160
; %bb.159:                              ;   in Loop: Header=BB61_149 Depth=1
	v_add_co_u32_e32 v134, vcc, v129, v130
	v_addc_co_u32_e32 v135, vcc, v2, v131, vcc
	global_load_dword v163, v[134:135], off
	v_add_co_u32_e32 v134, vcc, v137, v130
	v_addc_co_u32_e32 v135, vcc, v0, v131, vcc
	global_load_dword v184, v[134:135], off
.LBB61_160:                             ;   in Loop: Header=BB61_149 Depth=1
	s_or_b64 exec, exec, s[0:1]
	v_add_co_u32_e32 v134, vcc, 3, v132
	v_addc_co_u32_e32 v135, vcc, 0, v133, vcc
	v_cmp_gt_i64_e32 vcc, s[12:13], v[134:135]
	v_mov_b32_e32 v161, 0
	v_mov_b32_e32 v173, 0
	v_mov_b32_e32 v183, 0
	s_and_saveexec_b64 s[0:1], vcc
	s_cbranch_execz .LBB61_162
; %bb.161:                              ;   in Loop: Header=BB61_149 Depth=1
	v_add_co_u32_e32 v134, vcc, v253, v130
	v_addc_co_u32_e32 v135, vcc, v254, v131, vcc
	global_load_dword v173, v[134:135], off
	v_add_co_u32_e32 v134, vcc, v255, v130
	v_addc_co_u32_e32 v135, vcc, v128, v131, vcc
	global_load_dword v183, v[134:135], off
.LBB61_162:                             ;   in Loop: Header=BB61_149 Depth=1
	s_or_b64 exec, exec, s[0:1]
	v_add_co_u32_e32 v134, vcc, 4, v132
	v_addc_co_u32_e32 v135, vcc, 0, v133, vcc
	;; [unrolled: 32-line block ×5, first 2 shown]
	v_cmp_gt_i64_e32 vcc, s[12:13], v[134:135]
	v_mov_b32_e32 v134, 0
	buffer_store_dword v134, off, s[40:43], 0 offset:288 ; 4-byte Folded Spill
	s_and_saveexec_b64 s[0:1], vcc
	s_cbranch_execz .LBB61_176
; %bb.175:                              ;   in Loop: Header=BB61_149 Depth=1
	v_add_co_u32_e32 v134, vcc, v225, v130
	v_addc_co_u32_e32 v135, vcc, v226, v131, vcc
	global_load_dword v155, v[134:135], off
	v_add_co_u32_e32 v134, vcc, v227, v130
	v_addc_co_u32_e32 v135, vcc, v228, v131, vcc
	global_load_dword v134, v[134:135], off
	s_waitcnt vmcnt(0)
	buffer_store_dword v134, off, s[40:43], 0 offset:288 ; 4-byte Folded Spill
.LBB61_176:                             ;   in Loop: Header=BB61_149 Depth=1
	s_or_b64 exec, exec, s[0:1]
	v_add_co_u32_e32 v134, vcc, 11, v132
	v_addc_co_u32_e32 v135, vcc, 0, v133, vcc
	v_cmp_gt_i64_e32 vcc, s[12:13], v[134:135]
	v_mov_b32_e32 v154, 0
	v_mov_b32_e32 v169, 0
	;; [unrolled: 1-line block ×3, first 2 shown]
	s_and_saveexec_b64 s[0:1], vcc
	s_cbranch_execz .LBB61_178
; %bb.177:                              ;   in Loop: Header=BB61_149 Depth=1
	v_add_co_u32_e32 v134, vcc, v221, v130
	v_addc_co_u32_e32 v135, vcc, v222, v131, vcc
	global_load_dword v169, v[134:135], off
	v_add_co_u32_e32 v134, vcc, v223, v130
	v_addc_co_u32_e32 v135, vcc, v224, v131, vcc
	global_load_dword v186, v[134:135], off
.LBB61_178:                             ;   in Loop: Header=BB61_149 Depth=1
	s_or_b64 exec, exec, s[0:1]
	v_add_co_u32_e32 v134, vcc, 12, v132
	v_addc_co_u32_e32 v135, vcc, 0, v133, vcc
	v_cmp_gt_i64_e32 vcc, s[12:13], v[134:135]
	v_mov_b32_e32 v134, 0
	buffer_store_dword v134, off, s[40:43], 0 offset:284 ; 4-byte Folded Spill
	s_and_saveexec_b64 s[0:1], vcc
	s_cbranch_execz .LBB61_180
; %bb.179:                              ;   in Loop: Header=BB61_149 Depth=1
	v_add_co_u32_e32 v134, vcc, v217, v130
	v_addc_co_u32_e32 v135, vcc, v218, v131, vcc
	global_load_dword v154, v[134:135], off
	v_add_co_u32_e32 v134, vcc, v219, v130
	v_addc_co_u32_e32 v135, vcc, v220, v131, vcc
	global_load_dword v134, v[134:135], off
	s_waitcnt vmcnt(0)
	buffer_store_dword v134, off, s[40:43], 0 offset:284 ; 4-byte Folded Spill
.LBB61_180:                             ;   in Loop: Header=BB61_149 Depth=1
	s_or_b64 exec, exec, s[0:1]
	v_add_co_u32_e32 v134, vcc, 13, v132
	v_addc_co_u32_e32 v135, vcc, 0, v133, vcc
	v_cmp_gt_i64_e32 vcc, s[12:13], v[134:135]
	v_mov_b32_e32 v153, 0
	v_mov_b32_e32 v168, 0
	;; [unrolled: 1-line block ×3, first 2 shown]
	s_and_saveexec_b64 s[0:1], vcc
	s_cbranch_execz .LBB61_182
; %bb.181:                              ;   in Loop: Header=BB61_149 Depth=1
	v_add_co_u32_e32 v134, vcc, v213, v130
	v_addc_co_u32_e32 v135, vcc, v214, v131, vcc
	global_load_dword v168, v[134:135], off
	v_add_co_u32_e32 v134, vcc, v215, v130
	v_addc_co_u32_e32 v135, vcc, v216, v131, vcc
	global_load_dword v210, v[134:135], off
.LBB61_182:                             ;   in Loop: Header=BB61_149 Depth=1
	s_or_b64 exec, exec, s[0:1]
	v_add_co_u32_e32 v134, vcc, 14, v132
	v_addc_co_u32_e32 v135, vcc, 0, v133, vcc
	v_cmp_gt_i64_e32 vcc, s[12:13], v[134:135]
	v_mov_b32_e32 v209, 0
	s_and_saveexec_b64 s[0:1], vcc
	s_cbranch_execz .LBB61_184
; %bb.183:                              ;   in Loop: Header=BB61_149 Depth=1
	buffer_load_dword v134, off, s[40:43], 0 offset:272 ; 4-byte Folded Reload
	buffer_load_dword v135, off, s[40:43], 0 offset:276 ; 4-byte Folded Reload
	s_waitcnt vmcnt(1)
	v_add_co_u32_e32 v134, vcc, v134, v130
	s_waitcnt vmcnt(0)
	v_addc_co_u32_e32 v135, vcc, v135, v131, vcc
	global_load_dword v153, v[134:135], off
	v_add_co_u32_e32 v134, vcc, v211, v130
	v_addc_co_u32_e32 v135, vcc, v212, v131, vcc
	global_load_dword v209, v[134:135], off
.LBB61_184:                             ;   in Loop: Header=BB61_149 Depth=1
	s_or_b64 exec, exec, s[0:1]
	v_add_co_u32_e32 v134, vcc, 15, v132
	v_addc_co_u32_e32 v135, vcc, 0, v133, vcc
	v_cmp_gt_i64_e32 vcc, s[12:13], v[134:135]
	v_mov_b32_e32 v152, 0
	v_mov_b32_e32 v167, 0
	v_mov_b32_e32 v208, 0
	s_and_saveexec_b64 s[0:1], vcc
	s_cbranch_execz .LBB61_186
; %bb.185:                              ;   in Loop: Header=BB61_149 Depth=1
	buffer_load_dword v134, off, s[40:43], 0 offset:256 ; 4-byte Folded Reload
	buffer_load_dword v135, off, s[40:43], 0 offset:260 ; 4-byte Folded Reload
	s_waitcnt vmcnt(1)
	v_add_co_u32_e32 v134, vcc, v134, v130
	s_waitcnt vmcnt(0)
	v_addc_co_u32_e32 v135, vcc, v135, v131, vcc
	global_load_dword v167, v[134:135], off
	s_nop 0
	buffer_load_dword v134, off, s[40:43], 0 offset:264 ; 4-byte Folded Reload
	buffer_load_dword v135, off, s[40:43], 0 offset:268 ; 4-byte Folded Reload
	s_waitcnt vmcnt(1)
	v_add_co_u32_e32 v134, vcc, v134, v130
	s_waitcnt vmcnt(0)
	v_addc_co_u32_e32 v135, vcc, v135, v131, vcc
	global_load_dword v208, v[134:135], off
.LBB61_186:                             ;   in Loop: Header=BB61_149 Depth=1
	s_or_b64 exec, exec, s[0:1]
	v_add_co_u32_e32 v134, vcc, 16, v132
	v_addc_co_u32_e32 v135, vcc, 0, v133, vcc
	v_cmp_gt_i64_e32 vcc, s[12:13], v[134:135]
	v_mov_b32_e32 v207, 0
	s_and_saveexec_b64 s[0:1], vcc
	s_cbranch_execz .LBB61_188
; %bb.187:                              ;   in Loop: Header=BB61_149 Depth=1
	buffer_load_dword v134, off, s[40:43], 0 offset:240 ; 4-byte Folded Reload
	buffer_load_dword v135, off, s[40:43], 0 offset:244 ; 4-byte Folded Reload
	s_waitcnt vmcnt(1)
	v_add_co_u32_e32 v134, vcc, v134, v130
	s_waitcnt vmcnt(0)
	v_addc_co_u32_e32 v135, vcc, v135, v131, vcc
	global_load_dword v152, v[134:135], off
	s_nop 0
	buffer_load_dword v134, off, s[40:43], 0 offset:248 ; 4-byte Folded Reload
	buffer_load_dword v135, off, s[40:43], 0 offset:252 ; 4-byte Folded Reload
	s_waitcnt vmcnt(1)
	v_add_co_u32_e32 v134, vcc, v134, v130
	s_waitcnt vmcnt(0)
	v_addc_co_u32_e32 v135, vcc, v135, v131, vcc
	global_load_dword v207, v[134:135], off
.LBB61_188:                             ;   in Loop: Header=BB61_149 Depth=1
	s_or_b64 exec, exec, s[0:1]
	v_add_co_u32_e32 v134, vcc, 17, v132
	v_addc_co_u32_e32 v135, vcc, 0, v133, vcc
	v_cmp_gt_i64_e32 vcc, s[12:13], v[134:135]
	v_mov_b32_e32 v151, 0
	v_mov_b32_e32 v166, 0
	v_mov_b32_e32 v206, 0
	s_and_saveexec_b64 s[0:1], vcc
	s_cbranch_execz .LBB61_190
; %bb.189:                              ;   in Loop: Header=BB61_149 Depth=1
	buffer_load_dword v134, off, s[40:43], 0 offset:224 ; 4-byte Folded Reload
	buffer_load_dword v135, off, s[40:43], 0 offset:228 ; 4-byte Folded Reload
	s_waitcnt vmcnt(1)
	v_add_co_u32_e32 v134, vcc, v134, v130
	s_waitcnt vmcnt(0)
	v_addc_co_u32_e32 v135, vcc, v135, v131, vcc
	global_load_dword v166, v[134:135], off
	s_nop 0
	buffer_load_dword v134, off, s[40:43], 0 offset:232 ; 4-byte Folded Reload
	buffer_load_dword v135, off, s[40:43], 0 offset:236 ; 4-byte Folded Reload
	s_waitcnt vmcnt(1)
	v_add_co_u32_e32 v134, vcc, v134, v130
	s_waitcnt vmcnt(0)
	v_addc_co_u32_e32 v135, vcc, v135, v131, vcc
	global_load_dword v206, v[134:135], off
.LBB61_190:                             ;   in Loop: Header=BB61_149 Depth=1
	s_or_b64 exec, exec, s[0:1]
	v_add_co_u32_e32 v134, vcc, 18, v132
	v_addc_co_u32_e32 v135, vcc, 0, v133, vcc
	v_cmp_gt_i64_e32 vcc, s[12:13], v[134:135]
	v_mov_b32_e32 v205, 0
	s_and_saveexec_b64 s[0:1], vcc
	s_cbranch_execz .LBB61_192
; %bb.191:                              ;   in Loop: Header=BB61_149 Depth=1
	buffer_load_dword v134, off, s[40:43], 0 offset:208 ; 4-byte Folded Reload
	buffer_load_dword v135, off, s[40:43], 0 offset:212 ; 4-byte Folded Reload
	s_waitcnt vmcnt(1)
	v_add_co_u32_e32 v134, vcc, v134, v130
	s_waitcnt vmcnt(0)
	v_addc_co_u32_e32 v135, vcc, v135, v131, vcc
	global_load_dword v151, v[134:135], off
	s_nop 0
	buffer_load_dword v134, off, s[40:43], 0 offset:216 ; 4-byte Folded Reload
	buffer_load_dword v135, off, s[40:43], 0 offset:220 ; 4-byte Folded Reload
	s_waitcnt vmcnt(1)
	v_add_co_u32_e32 v134, vcc, v134, v130
	s_waitcnt vmcnt(0)
	v_addc_co_u32_e32 v135, vcc, v135, v131, vcc
	global_load_dword v205, v[134:135], off
.LBB61_192:                             ;   in Loop: Header=BB61_149 Depth=1
	s_or_b64 exec, exec, s[0:1]
	v_add_co_u32_e32 v134, vcc, 19, v132
	v_addc_co_u32_e32 v135, vcc, 0, v133, vcc
	v_cmp_gt_i64_e32 vcc, s[12:13], v[134:135]
	v_mov_b32_e32 v150, 0
	v_mov_b32_e32 v165, 0
	v_mov_b32_e32 v204, 0
	s_and_saveexec_b64 s[0:1], vcc
	s_cbranch_execz .LBB61_194
; %bb.193:                              ;   in Loop: Header=BB61_149 Depth=1
	buffer_load_dword v134, off, s[40:43], 0 offset:192 ; 4-byte Folded Reload
	buffer_load_dword v135, off, s[40:43], 0 offset:196 ; 4-byte Folded Reload
	s_waitcnt vmcnt(1)
	v_add_co_u32_e32 v134, vcc, v134, v130
	s_waitcnt vmcnt(0)
	v_addc_co_u32_e32 v135, vcc, v135, v131, vcc
	global_load_dword v165, v[134:135], off
	s_nop 0
	buffer_load_dword v134, off, s[40:43], 0 offset:200 ; 4-byte Folded Reload
	buffer_load_dword v135, off, s[40:43], 0 offset:204 ; 4-byte Folded Reload
	s_waitcnt vmcnt(1)
	v_add_co_u32_e32 v134, vcc, v134, v130
	s_waitcnt vmcnt(0)
	v_addc_co_u32_e32 v135, vcc, v135, v131, vcc
	global_load_dword v204, v[134:135], off
.LBB61_194:                             ;   in Loop: Header=BB61_149 Depth=1
	s_or_b64 exec, exec, s[0:1]
	v_add_co_u32_e32 v134, vcc, 20, v132
	v_addc_co_u32_e32 v135, vcc, 0, v133, vcc
	v_cmp_gt_i64_e32 vcc, s[12:13], v[134:135]
	v_mov_b32_e32 v203, 0
	s_and_saveexec_b64 s[0:1], vcc
	s_cbranch_execz .LBB61_196
; %bb.195:                              ;   in Loop: Header=BB61_149 Depth=1
	buffer_load_dword v134, off, s[40:43], 0 offset:176 ; 4-byte Folded Reload
	buffer_load_dword v135, off, s[40:43], 0 offset:180 ; 4-byte Folded Reload
	s_waitcnt vmcnt(1)
	v_add_co_u32_e32 v134, vcc, v134, v130
	s_waitcnt vmcnt(0)
	v_addc_co_u32_e32 v135, vcc, v135, v131, vcc
	global_load_dword v150, v[134:135], off
	s_nop 0
	buffer_load_dword v134, off, s[40:43], 0 offset:184 ; 4-byte Folded Reload
	buffer_load_dword v135, off, s[40:43], 0 offset:188 ; 4-byte Folded Reload
	s_waitcnt vmcnt(1)
	v_add_co_u32_e32 v134, vcc, v134, v130
	s_waitcnt vmcnt(0)
	v_addc_co_u32_e32 v135, vcc, v135, v131, vcc
	global_load_dword v203, v[134:135], off
.LBB61_196:                             ;   in Loop: Header=BB61_149 Depth=1
	s_or_b64 exec, exec, s[0:1]
	v_add_co_u32_e32 v134, vcc, 21, v132
	v_addc_co_u32_e32 v135, vcc, 0, v133, vcc
	v_cmp_gt_i64_e32 vcc, s[12:13], v[134:135]
	v_mov_b32_e32 v149, 0
	v_mov_b32_e32 v164, 0
	v_mov_b32_e32 v202, 0
	s_and_saveexec_b64 s[0:1], vcc
	s_cbranch_execz .LBB61_198
; %bb.197:                              ;   in Loop: Header=BB61_149 Depth=1
	buffer_load_dword v134, off, s[40:43], 0 offset:160 ; 4-byte Folded Reload
	buffer_load_dword v135, off, s[40:43], 0 offset:164 ; 4-byte Folded Reload
	s_waitcnt vmcnt(1)
	v_add_co_u32_e32 v134, vcc, v134, v130
	s_waitcnt vmcnt(0)
	v_addc_co_u32_e32 v135, vcc, v135, v131, vcc
	global_load_dword v164, v[134:135], off
	s_nop 0
	buffer_load_dword v134, off, s[40:43], 0 offset:168 ; 4-byte Folded Reload
	buffer_load_dword v135, off, s[40:43], 0 offset:172 ; 4-byte Folded Reload
	s_waitcnt vmcnt(1)
	v_add_co_u32_e32 v134, vcc, v134, v130
	s_waitcnt vmcnt(0)
	v_addc_co_u32_e32 v135, vcc, v135, v131, vcc
	global_load_dword v202, v[134:135], off
.LBB61_198:                             ;   in Loop: Header=BB61_149 Depth=1
	s_or_b64 exec, exec, s[0:1]
	v_add_co_u32_e32 v134, vcc, 22, v132
	v_addc_co_u32_e32 v135, vcc, 0, v133, vcc
	v_cmp_gt_i64_e32 vcc, s[12:13], v[134:135]
	v_mov_b32_e32 v201, 0
	s_and_saveexec_b64 s[0:1], vcc
	s_cbranch_execz .LBB61_200
; %bb.199:                              ;   in Loop: Header=BB61_149 Depth=1
	buffer_load_dword v134, off, s[40:43], 0 offset:144 ; 4-byte Folded Reload
	buffer_load_dword v135, off, s[40:43], 0 offset:148 ; 4-byte Folded Reload
	s_waitcnt vmcnt(1)
	v_add_co_u32_e32 v134, vcc, v134, v130
	s_waitcnt vmcnt(0)
	v_addc_co_u32_e32 v135, vcc, v135, v131, vcc
	global_load_dword v149, v[134:135], off
	s_nop 0
	buffer_load_dword v134, off, s[40:43], 0 offset:152 ; 4-byte Folded Reload
	buffer_load_dword v135, off, s[40:43], 0 offset:156 ; 4-byte Folded Reload
	s_waitcnt vmcnt(1)
	v_add_co_u32_e32 v134, vcc, v134, v130
	s_waitcnt vmcnt(0)
	v_addc_co_u32_e32 v135, vcc, v135, v131, vcc
	global_load_dword v201, v[134:135], off
.LBB61_200:                             ;   in Loop: Header=BB61_149 Depth=1
	s_or_b64 exec, exec, s[0:1]
	v_add_co_u32_e32 v134, vcc, 23, v132
	v_addc_co_u32_e32 v135, vcc, 0, v133, vcc
	v_cmp_gt_i64_e32 vcc, s[12:13], v[134:135]
	v_mov_b32_e32 v148, 0
	v_mov_b32_e32 v162, 0
	v_mov_b32_e32 v200, 0
	s_and_saveexec_b64 s[0:1], vcc
	s_cbranch_execz .LBB61_202
; %bb.201:                              ;   in Loop: Header=BB61_149 Depth=1
	buffer_load_dword v134, off, s[40:43], 0 offset:128 ; 4-byte Folded Reload
	buffer_load_dword v135, off, s[40:43], 0 offset:132 ; 4-byte Folded Reload
	s_waitcnt vmcnt(1)
	v_add_co_u32_e32 v134, vcc, v134, v130
	s_waitcnt vmcnt(0)
	v_addc_co_u32_e32 v135, vcc, v135, v131, vcc
	global_load_dword v162, v[134:135], off
	s_nop 0
	buffer_load_dword v134, off, s[40:43], 0 offset:136 ; 4-byte Folded Reload
	buffer_load_dword v135, off, s[40:43], 0 offset:140 ; 4-byte Folded Reload
	s_waitcnt vmcnt(1)
	v_add_co_u32_e32 v134, vcc, v134, v130
	s_waitcnt vmcnt(0)
	v_addc_co_u32_e32 v135, vcc, v135, v131, vcc
	global_load_dword v200, v[134:135], off
.LBB61_202:                             ;   in Loop: Header=BB61_149 Depth=1
	s_or_b64 exec, exec, s[0:1]
	v_add_co_u32_e32 v134, vcc, 24, v132
	v_addc_co_u32_e32 v135, vcc, 0, v133, vcc
	v_cmp_gt_i64_e32 vcc, s[12:13], v[134:135]
	v_mov_b32_e32 v199, 0
	s_and_saveexec_b64 s[0:1], vcc
	s_cbranch_execz .LBB61_204
; %bb.203:                              ;   in Loop: Header=BB61_149 Depth=1
	buffer_load_dword v134, off, s[40:43], 0 offset:112 ; 4-byte Folded Reload
	buffer_load_dword v135, off, s[40:43], 0 offset:116 ; 4-byte Folded Reload
	s_waitcnt vmcnt(1)
	v_add_co_u32_e32 v134, vcc, v134, v130
	s_waitcnt vmcnt(0)
	v_addc_co_u32_e32 v135, vcc, v135, v131, vcc
	global_load_dword v148, v[134:135], off
	s_nop 0
	buffer_load_dword v134, off, s[40:43], 0 offset:120 ; 4-byte Folded Reload
	buffer_load_dword v135, off, s[40:43], 0 offset:124 ; 4-byte Folded Reload
	s_waitcnt vmcnt(1)
	v_add_co_u32_e32 v134, vcc, v134, v130
	s_waitcnt vmcnt(0)
	v_addc_co_u32_e32 v135, vcc, v135, v131, vcc
	global_load_dword v199, v[134:135], off
.LBB61_204:                             ;   in Loop: Header=BB61_149 Depth=1
	s_or_b64 exec, exec, s[0:1]
	v_add_co_u32_e32 v134, vcc, 25, v132
	v_addc_co_u32_e32 v135, vcc, 0, v133, vcc
	v_cmp_gt_i64_e32 vcc, s[12:13], v[134:135]
	v_mov_b32_e32 v146, 0
	v_mov_b32_e32 v160, 0
	v_mov_b32_e32 v198, 0
	s_and_saveexec_b64 s[0:1], vcc
	s_cbranch_execz .LBB61_206
; %bb.205:                              ;   in Loop: Header=BB61_149 Depth=1
	buffer_load_dword v134, off, s[40:43], 0 offset:96 ; 4-byte Folded Reload
	buffer_load_dword v135, off, s[40:43], 0 offset:100 ; 4-byte Folded Reload
	s_waitcnt vmcnt(1)
	v_add_co_u32_e32 v134, vcc, v134, v130
	s_waitcnt vmcnt(0)
	v_addc_co_u32_e32 v135, vcc, v135, v131, vcc
	global_load_dword v160, v[134:135], off
	s_nop 0
	buffer_load_dword v134, off, s[40:43], 0 offset:104 ; 4-byte Folded Reload
	buffer_load_dword v135, off, s[40:43], 0 offset:108 ; 4-byte Folded Reload
	s_waitcnt vmcnt(1)
	v_add_co_u32_e32 v134, vcc, v134, v130
	s_waitcnt vmcnt(0)
	v_addc_co_u32_e32 v135, vcc, v135, v131, vcc
	global_load_dword v198, v[134:135], off
.LBB61_206:                             ;   in Loop: Header=BB61_149 Depth=1
	s_or_b64 exec, exec, s[0:1]
	v_add_co_u32_e32 v134, vcc, 26, v132
	v_addc_co_u32_e32 v135, vcc, 0, v133, vcc
	v_cmp_gt_i64_e32 vcc, s[12:13], v[134:135]
	v_mov_b32_e32 v197, 0
	s_and_saveexec_b64 s[0:1], vcc
	s_cbranch_execz .LBB61_208
; %bb.207:                              ;   in Loop: Header=BB61_149 Depth=1
	buffer_load_dword v134, off, s[40:43], 0 offset:80 ; 4-byte Folded Reload
	buffer_load_dword v135, off, s[40:43], 0 offset:84 ; 4-byte Folded Reload
	s_waitcnt vmcnt(1)
	v_add_co_u32_e32 v134, vcc, v134, v130
	s_waitcnt vmcnt(0)
	v_addc_co_u32_e32 v135, vcc, v135, v131, vcc
	global_load_dword v146, v[134:135], off
	s_nop 0
	buffer_load_dword v134, off, s[40:43], 0 offset:88 ; 4-byte Folded Reload
	buffer_load_dword v135, off, s[40:43], 0 offset:92 ; 4-byte Folded Reload
	s_waitcnt vmcnt(1)
	v_add_co_u32_e32 v134, vcc, v134, v130
	s_waitcnt vmcnt(0)
	v_addc_co_u32_e32 v135, vcc, v135, v131, vcc
	global_load_dword v197, v[134:135], off
.LBB61_208:                             ;   in Loop: Header=BB61_149 Depth=1
	s_or_b64 exec, exec, s[0:1]
	v_add_co_u32_e32 v134, vcc, 27, v132
	v_addc_co_u32_e32 v135, vcc, 0, v133, vcc
	v_cmp_gt_i64_e32 vcc, s[12:13], v[134:135]
	v_mov_b32_e32 v134, 0
	v_mov_b32_e32 v158, 0
	;; [unrolled: 1-line block ×3, first 2 shown]
	s_and_saveexec_b64 s[0:1], vcc
	s_cbranch_execz .LBB61_210
; %bb.209:                              ;   in Loop: Header=BB61_149 Depth=1
	buffer_load_dword v135, off, s[40:43], 0 offset:64 ; 4-byte Folded Reload
	s_waitcnt vmcnt(0)
	v_add_co_u32_e32 v177, vcc, v135, v130
	buffer_load_dword v135, off, s[40:43], 0 offset:68 ; 4-byte Folded Reload
	s_waitcnt vmcnt(0)
	v_addc_co_u32_e32 v178, vcc, v135, v131, vcc
	buffer_load_dword v135, off, s[40:43], 0 offset:72 ; 4-byte Folded Reload
	global_load_dword v158, v[177:178], off
	s_waitcnt vmcnt(1)
	v_add_co_u32_e32 v177, vcc, v135, v130
	buffer_load_dword v135, off, s[40:43], 0 offset:76 ; 4-byte Folded Reload
	s_waitcnt vmcnt(0)
	v_addc_co_u32_e32 v178, vcc, v135, v131, vcc
	global_load_dword v196, v[177:178], off
.LBB61_210:                             ;   in Loop: Header=BB61_149 Depth=1
	s_or_b64 exec, exec, s[0:1]
	v_add_co_u32_e32 v177, vcc, 28, v132
	v_addc_co_u32_e32 v178, vcc, 0, v133, vcc
	v_cmp_gt_i64_e32 vcc, s[12:13], v[177:178]
	v_mov_b32_e32 v195, 0
	s_and_saveexec_b64 s[0:1], vcc
	s_cbranch_execz .LBB61_212
; %bb.211:                              ;   in Loop: Header=BB61_149 Depth=1
	buffer_load_dword v134, off, s[40:43], 0 offset:48 ; 4-byte Folded Reload
	buffer_load_dword v135, off, s[40:43], 0 offset:52 ; 4-byte Folded Reload
	s_waitcnt vmcnt(1)
	v_add_co_u32_e32 v134, vcc, v134, v130
	s_waitcnt vmcnt(0)
	v_addc_co_u32_e32 v135, vcc, v135, v131, vcc
	global_load_dword v134, v[134:135], off
	s_nop 0
	buffer_load_dword v135, off, s[40:43], 0 offset:56 ; 4-byte Folded Reload
	s_waitcnt vmcnt(0)
	v_add_co_u32_e32 v177, vcc, v135, v130
	buffer_load_dword v135, off, s[40:43], 0 offset:60 ; 4-byte Folded Reload
	s_waitcnt vmcnt(0)
	v_addc_co_u32_e32 v178, vcc, v135, v131, vcc
	global_load_dword v195, v[177:178], off
.LBB61_212:                             ;   in Loop: Header=BB61_149 Depth=1
	s_or_b64 exec, exec, s[0:1]
	v_add_co_u32_e32 v177, vcc, 29, v132
	v_addc_co_u32_e32 v178, vcc, 0, v133, vcc
	v_cmp_gt_i64_e32 vcc, s[12:13], v[177:178]
	v_mov_b32_e32 v135, 0
	v_mov_b32_e32 v156, 0
	;; [unrolled: 1-line block ×3, first 2 shown]
	s_and_saveexec_b64 s[0:1], vcc
	s_cbranch_execz .LBB61_214
; %bb.213:                              ;   in Loop: Header=BB61_149 Depth=1
	buffer_load_dword v156, off, s[40:43], 0 offset:32 ; 4-byte Folded Reload
	s_waitcnt vmcnt(0)
	v_add_co_u32_e32 v177, vcc, v156, v130
	buffer_load_dword v156, off, s[40:43], 0 offset:36 ; 4-byte Folded Reload
	s_waitcnt vmcnt(0)
	v_addc_co_u32_e32 v178, vcc, v156, v131, vcc
	global_load_dword v156, v[177:178], off
	s_nop 0
	buffer_load_dword v177, off, s[40:43], 0 offset:40 ; 4-byte Folded Reload
	buffer_load_dword v178, off, s[40:43], 0 offset:44 ; 4-byte Folded Reload
	s_waitcnt vmcnt(1)
	v_add_co_u32_e32 v177, vcc, v177, v130
	s_waitcnt vmcnt(0)
	v_addc_co_u32_e32 v178, vcc, v178, v131, vcc
	global_load_dword v194, v[177:178], off
.LBB61_214:                             ;   in Loop: Header=BB61_149 Depth=1
	s_or_b64 exec, exec, s[0:1]
	v_add_co_u32_e32 v177, vcc, 30, v132
	v_addc_co_u32_e32 v178, vcc, 0, v133, vcc
	v_cmp_gt_i64_e32 vcc, s[12:13], v[177:178]
	v_mov_b32_e32 v193, 0
	s_and_saveexec_b64 s[0:1], vcc
	s_cbranch_execz .LBB61_216
; %bb.215:                              ;   in Loop: Header=BB61_149 Depth=1
	buffer_load_dword v135, off, s[40:43], 0 offset:16 ; 4-byte Folded Reload
	s_waitcnt vmcnt(0)
	v_add_co_u32_e32 v177, vcc, v135, v130
	buffer_load_dword v135, off, s[40:43], 0 offset:20 ; 4-byte Folded Reload
	s_waitcnt vmcnt(0)
	v_addc_co_u32_e32 v178, vcc, v135, v131, vcc
	global_load_dword v135, v[177:178], off
	s_nop 0
	buffer_load_dword v177, off, s[40:43], 0 offset:24 ; 4-byte Folded Reload
	buffer_load_dword v178, off, s[40:43], 0 offset:28 ; 4-byte Folded Reload
	s_waitcnt vmcnt(1)
	v_add_co_u32_e32 v177, vcc, v177, v130
	s_waitcnt vmcnt(0)
	v_addc_co_u32_e32 v178, vcc, v178, v131, vcc
	global_load_dword v193, v[177:178], off
.LBB61_216:                             ;   in Loop: Header=BB61_149 Depth=1
	s_or_b64 exec, exec, s[0:1]
	v_add_co_u32_e32 v177, vcc, 31, v132
	v_addc_co_u32_e32 v178, vcc, 0, v133, vcc
	v_cmp_gt_i64_e32 vcc, s[12:13], v[177:178]
	v_mov_b32_e32 v191, 0
	v_mov_b32_e32 v192, 0
	s_and_saveexec_b64 s[0:1], vcc
	s_cbranch_execz .LBB61_218
; %bb.217:                              ;   in Loop: Header=BB61_149 Depth=1
	buffer_load_dword v177, off, s[40:43], 0 ; 4-byte Folded Reload
	buffer_load_dword v178, off, s[40:43], 0 offset:4 ; 4-byte Folded Reload
	s_waitcnt vmcnt(1)
	v_add_co_u32_e32 v177, vcc, v177, v130
	s_waitcnt vmcnt(0)
	v_addc_co_u32_e32 v178, vcc, v178, v131, vcc
	global_load_dword v191, v[177:178], off
	s_nop 0
	buffer_load_dword v177, off, s[40:43], 0 offset:8 ; 4-byte Folded Reload
	buffer_load_dword v178, off, s[40:43], 0 offset:12 ; 4-byte Folded Reload
	s_waitcnt vmcnt(1)
	v_add_co_u32_e32 v177, vcc, v177, v130
	s_waitcnt vmcnt(0)
	v_addc_co_u32_e32 v178, vcc, v178, v131, vcc
	global_load_dword v192, v[177:178], off
.LBB61_218:                             ;   in Loop: Header=BB61_149 Depth=1
	s_or_b64 exec, exec, s[0:1]
	s_waitcnt vmcnt(3)
	ds_bpermute_b32 v178, v136, v145
	s_waitcnt vmcnt(2)
	ds_bpermute_b32 v177, v136, v144
	s_mov_b64 s[0:1], 0
	s_waitcnt lgkmcnt(1)
	v_sub_f32_e32 v142, v142, v178
	ds_bpermute_b32 v178, v136, v145 offset:4
	v_mul_f32_e32 v142, v147, v142
	s_waitcnt lgkmcnt(1)
	v_fma_f32 v142, v142, v177, v143
	ds_bpermute_b32 v177, v136, v144 offset:4
	v_add_f32_e32 v147, v3, v147
	s_waitcnt lgkmcnt(1)
	v_sub_f32_e32 v178, v185, v178
	v_mul_f32_e32 v178, v180, v178
	v_add_f32_e32 v147, v147, v180
	s_waitcnt lgkmcnt(0)
	v_fmac_f32_e32 v142, v178, v177
	ds_bpermute_b32 v178, v136, v145 offset:8
	ds_bpermute_b32 v177, v136, v144 offset:8
	v_add_f32_e32 v147, v147, v163
	v_add_f32_e32 v147, v147, v173
	;; [unrolled: 1-line block ×3, first 2 shown]
	s_waitcnt lgkmcnt(1)
	v_sub_f32_e32 v178, v184, v178
	v_mul_f32_e32 v178, v163, v178
	s_waitcnt lgkmcnt(0)
	v_fmac_f32_e32 v142, v178, v177
	ds_bpermute_b32 v177, v136, v145 offset:12
	ds_bpermute_b32 v163, v136, v144 offset:12
	v_add_f32_e32 v147, v147, v176
	v_add_f32_e32 v147, v147, v159
	;; [unrolled: 1-line block ×3, first 2 shown]
	s_waitcnt lgkmcnt(1)
	v_sub_f32_e32 v177, v183, v177
	v_mul_f32_e32 v177, v173, v177
	ds_bpermute_b32 v173, v136, v145 offset:16
	s_waitcnt lgkmcnt(1)
	v_fmac_f32_e32 v142, v177, v163
	ds_bpermute_b32 v163, v136, v144 offset:16
	v_add_f32_e32 v147, v147, v157
	v_add_f32_e32 v147, v147, v172
	s_waitcnt lgkmcnt(1)
	v_sub_f32_e32 v173, v175, v173
	v_mul_f32_e32 v173, v161, v173
	s_waitcnt lgkmcnt(0)
	v_fmac_f32_e32 v142, v173, v163
	ds_bpermute_b32 v163, v136, v145 offset:20
	ds_bpermute_b32 v161, v136, v144 offset:20
	v_add_f32_e32 v147, v147, v155
	v_add_f32_e32 v147, v147, v169
	v_add_f32_e32 v147, v147, v154
	s_waitcnt lgkmcnt(1)
	v_sub_f32_e32 v163, v171, v163
	v_mul_f32_e32 v163, v176, v163
	s_waitcnt lgkmcnt(0)
	v_fmac_f32_e32 v142, v163, v161
	ds_bpermute_b32 v163, v136, v145 offset:24
	ds_bpermute_b32 v161, v136, v144 offset:24
	s_waitcnt vmcnt(1)
	v_add_f32_e32 v147, v147, v168
	v_add_f32_e32 v147, v147, v153
	;; [unrolled: 1-line block ×3, first 2 shown]
	s_waitcnt lgkmcnt(1)
	v_sub_f32_e32 v163, v182, v163
	v_mul_f32_e32 v163, v159, v163
	s_waitcnt lgkmcnt(0)
	v_fmac_f32_e32 v142, v163, v161
	ds_bpermute_b32 v161, v136, v145 offset:28
	ds_bpermute_b32 v159, v136, v144 offset:28
	v_add_f32_e32 v147, v147, v152
	v_add_f32_e32 v147, v147, v166
	;; [unrolled: 1-line block ×3, first 2 shown]
	s_waitcnt lgkmcnt(1)
	v_sub_f32_e32 v161, v181, v161
	v_mul_f32_e32 v161, v170, v161
	s_waitcnt lgkmcnt(0)
	v_fmac_f32_e32 v142, v161, v159
	ds_bpermute_b32 v161, v136, v145 offset:32
	ds_bpermute_b32 v159, v136, v144 offset:32
	v_add_f32_e32 v147, v147, v165
	v_add_f32_e32 v147, v147, v150
	;; [unrolled: 1-line block ×3, first 2 shown]
	s_waitcnt lgkmcnt(1)
	v_sub_f32_e32 v161, v179, v161
	v_mul_f32_e32 v161, v157, v161
	s_waitcnt lgkmcnt(0)
	v_fmac_f32_e32 v142, v161, v159
	buffer_load_dword v161, off, s[40:43], 0 offset:288 ; 4-byte Folded Reload
	ds_bpermute_b32 v159, v136, v145 offset:36
	ds_bpermute_b32 v157, v136, v144 offset:36
	v_add_f32_e32 v147, v147, v149
	v_add_f32_e32 v147, v147, v162
	;; [unrolled: 1-line block ×3, first 2 shown]
	s_waitcnt lgkmcnt(1)
	v_sub_f32_e32 v159, v174, v159
	v_mul_f32_e32 v159, v172, v159
	s_waitcnt lgkmcnt(0)
	v_fmac_f32_e32 v142, v159, v157
	ds_bpermute_b32 v159, v136, v145 offset:40
	ds_bpermute_b32 v157, v136, v144 offset:40
	v_add_f32_e32 v147, v147, v160
	s_waitcnt vmcnt(0) lgkmcnt(1)
	v_sub_f32_e32 v159, v161, v159
	v_mul_f32_e32 v159, v155, v159
	s_waitcnt lgkmcnt(0)
	v_fmac_f32_e32 v142, v159, v157
	buffer_load_dword v159, off, s[40:43], 0 offset:284 ; 4-byte Folded Reload
	ds_bpermute_b32 v157, v136, v145 offset:44
	ds_bpermute_b32 v155, v136, v144 offset:44
	s_waitcnt lgkmcnt(1)
	v_sub_f32_e32 v157, v186, v157
	v_mul_f32_e32 v157, v169, v157
	s_waitcnt lgkmcnt(0)
	v_fmac_f32_e32 v142, v157, v155
	ds_bpermute_b32 v157, v136, v145 offset:48
	ds_bpermute_b32 v155, v136, v144 offset:48
	s_waitcnt vmcnt(0) lgkmcnt(1)
	v_sub_f32_e32 v157, v159, v157
	v_mul_f32_e32 v157, v154, v157
	s_waitcnt lgkmcnt(0)
	v_fmac_f32_e32 v142, v157, v155
	ds_bpermute_b32 v155, v136, v145 offset:52
	ds_bpermute_b32 v154, v136, v144 offset:52
	s_waitcnt lgkmcnt(1)
	v_sub_f32_e32 v155, v210, v155
	v_mul_f32_e32 v155, v168, v155
	s_waitcnt lgkmcnt(0)
	v_fmac_f32_e32 v142, v155, v154
	ds_bpermute_b32 v155, v136, v145 offset:56
	ds_bpermute_b32 v154, v136, v144 offset:56
	s_waitcnt lgkmcnt(1)
	;; [unrolled: 7-line block ×14, first 2 shown]
	v_sub_f32_e32 v149, v197, v149
	v_mul_f32_e32 v149, v146, v149
	s_waitcnt lgkmcnt(0)
	v_fmac_f32_e32 v142, v149, v148
	ds_bpermute_b32 v148, v136, v145 offset:108
	v_add_f32_e32 v146, v147, v146
	ds_bpermute_b32 v147, v136, v144 offset:108
	v_add_f32_e32 v146, v146, v158
	s_waitcnt lgkmcnt(1)
	v_sub_f32_e32 v148, v196, v148
	v_mul_f32_e32 v148, v158, v148
	s_waitcnt lgkmcnt(0)
	v_fmac_f32_e32 v142, v148, v147
	ds_bpermute_b32 v148, v136, v145 offset:112
	ds_bpermute_b32 v147, v136, v144 offset:112
	s_waitcnt lgkmcnt(1)
	v_sub_f32_e32 v148, v195, v148
	v_mul_f32_e32 v148, v134, v148
	s_waitcnt lgkmcnt(0)
	v_fmac_f32_e32 v142, v148, v147
	ds_bpermute_b32 v147, v136, v145 offset:116
	v_add_f32_e32 v134, v146, v134
	ds_bpermute_b32 v146, v136, v144 offset:116
	v_add_f32_e32 v134, v134, v156
	v_add_f32_e32 v134, v134, v135
	s_waitcnt lgkmcnt(1)
	v_sub_f32_e32 v147, v194, v147
	v_mul_f32_e32 v147, v156, v147
	s_waitcnt lgkmcnt(0)
	v_fmac_f32_e32 v142, v147, v146
	ds_bpermute_b32 v147, v136, v145 offset:120
	ds_bpermute_b32 v146, v136, v144 offset:120
	s_waitcnt lgkmcnt(1)
	v_sub_f32_e32 v147, v193, v147
	v_mul_f32_e32 v147, v135, v147
	ds_bpermute_b32 v135, v136, v144 offset:124
	ds_bpermute_b32 v144, v136, v145 offset:124
	s_waitcnt lgkmcnt(2)
	v_fmac_f32_e32 v142, v147, v146
.LBB61_219:                             ;   in Loop: Header=BB61_149 Depth=1
	s_and_b64 vcc, exec, s[0:1]
	s_cbranch_vccz .LBB61_225
; %bb.220:                              ;   in Loop: Header=BB61_149 Depth=1
	s_load_dword s0, s[2:3], 0x0
	buffer_load_dword v134, off, s[40:43], 0 offset:304 ; 4-byte Folded Reload
	s_waitcnt lgkmcnt(0)
	buffer_load_dword v135, off, s[40:43], 0 offset:308 ; 4-byte Folded Reload
	v_mov_b32_e32 v142, 0
	s_cmp_lt_u32 s6, s0
	s_cselect_b32 s0, 12, 18
	s_add_u32 s0, s2, s0
	s_addc_u32 s1, s3, 0
	s_waitcnt vmcnt(0)
	global_load_ushort v134, v135, s[0:1]
	buffer_load_dword v144, off, s[40:43], 0 offset:292 ; 4-byte Folded Reload
	buffer_load_dword v145, off, s[40:43], 0 offset:296 ; 4-byte Folded Reload
	s_nop 0
	buffer_load_dword v135, off, s[40:43], 0 offset:300 ; 4-byte Folded Reload
	s_waitcnt vmcnt(0)
	v_mad_u32_u24 v134, v144, v134, v135
	v_and_b32_e32 v134, 63, v134
	v_cmp_gt_u32_e32 vcc, 32, v134
	v_mov_b32_e32 v144, 0
	s_and_saveexec_b64 s[0:1], vcc
	s_cbranch_execz .LBB61_224
; %bb.221:                              ;   in Loop: Header=BB61_149 Depth=1
	v_add_co_u32_e32 v132, vcc, v132, v134
	v_addc_co_u32_e32 v133, vcc, 0, v133, vcc
	v_cmp_gt_i64_e32 vcc, s[12:13], v[132:133]
	v_mov_b32_e32 v144, 0
	v_mov_b32_e32 v142, 0
	s_and_saveexec_b64 s[26:27], vcc
	s_cbranch_execz .LBB61_223
; %bb.222:                              ;   in Loop: Header=BB61_149 Depth=1
	v_lshlrev_b64 v[132:133], 2, v[132:133]
	v_mov_b32_e32 v135, s23
	v_add_co_u32_e32 v134, vcc, s22, v132
	v_addc_co_u32_e32 v135, vcc, v135, v133, vcc
	v_mov_b32_e32 v142, s21
	v_add_co_u32_e32 v132, vcc, s20, v132
	v_addc_co_u32_e32 v133, vcc, v142, v133, vcc
	global_load_dword v144, v[132:133], off
	global_load_dword v142, v[134:135], off
.LBB61_223:                             ;   in Loop: Header=BB61_149 Depth=1
	s_or_b64 exec, exec, s[26:27]
.LBB61_224:                             ;   in Loop: Header=BB61_149 Depth=1
	s_or_b64 exec, exec, s[0:1]
	v_add_co_u32_e32 v132, vcc, v187, v130
	v_addc_co_u32_e32 v133, vcc, v188, v131, vcc
	v_mov_b32_e32 v205, v187
	global_load_dword v187, v[132:133], off
	v_add_co_u32_e32 v132, vcc, v189, v130
	v_addc_co_u32_e32 v133, vcc, v190, v131, vcc
	global_load_dword v206, v[132:133], off
	v_add_co_u32_e32 v132, vcc, v4, v130
	v_addc_co_u32_e32 v133, vcc, v5, v131, vcc
	v_mov_b32_e32 v207, v189
	global_load_dword v189, v[132:133], off
	v_add_co_u32_e32 v132, vcc, v6, v130
	v_addc_co_u32_e32 v133, vcc, v7, v131, vcc
	global_load_dword v208, v[132:133], off
	v_add_co_u32_e32 v132, vcc, v8, v130
	v_addc_co_u32_e32 v133, vcc, v9, v131, vcc
	;; [unrolled: 3-line block ×58, first 2 shown]
	v_add_co_u32_e32 v185, vcc, v122, v130
	v_addc_co_u32_e32 v186, vcc, v123, v131, vcc
	global_load_dword v132, v[132:133], off
	s_waitcnt vmcnt(60)
	v_add_f32_e32 v3, v3, v187
	global_load_dword v133, v[185:186], off
	v_add_co_u32_e32 v185, vcc, v124, v130
	v_addc_co_u32_e32 v186, vcc, v125, v131, vcc
	global_load_dword v191, v[185:186], off
	v_add_co_u32_e32 v185, vcc, v126, v130
	v_addc_co_u32_e32 v186, vcc, v127, v131, vcc
	global_load_dword v192, v[185:186], off
	ds_bpermute_b32 v186, v136, v144
	ds_bpermute_b32 v185, v136, v142
	s_waitcnt vmcnt(61)
	v_add_f32_e32 v3, v3, v189
	s_waitcnt vmcnt(59)
	v_add_f32_e32 v3, v3, v209
	s_waitcnt vmcnt(57)
	v_add_f32_e32 v3, v3, v193
	s_waitcnt lgkmcnt(1)
	v_sub_f32_e32 v186, v206, v186
	v_mul_f32_e32 v186, v187, v186
	s_waitcnt lgkmcnt(0)
	v_fmac_f32_e32 v143, v186, v185
	ds_bpermute_b32 v186, v136, v144 offset:4
	ds_bpermute_b32 v185, v136, v142 offset:4
	s_waitcnt vmcnt(55)
	v_add_f32_e32 v3, v3, v195
	s_waitcnt vmcnt(53)
	v_add_f32_e32 v3, v3, v197
	s_waitcnt vmcnt(51)
	v_add_f32_e32 v3, v3, v199
	s_waitcnt lgkmcnt(1)
	v_sub_f32_e32 v186, v208, v186
	v_mul_f32_e32 v186, v189, v186
	s_waitcnt lgkmcnt(0)
	v_fmac_f32_e32 v143, v186, v185
	ds_bpermute_b32 v186, v136, v144 offset:8
	ds_bpermute_b32 v185, v136, v142 offset:8
	;; [unrolled: 13-line block ×9, first 2 shown]
	s_waitcnt vmcnt(7)
	v_add_f32_e32 v3, v3, v145
	s_waitcnt vmcnt(5)
	v_add_f32_e32 v3, v3, v134
	v_mov_b32_e32 v187, v205
	s_waitcnt lgkmcnt(1)
	v_sub_f32_e32 v184, v184, v186
	v_mul_f32_e32 v184, v183, v184
	s_waitcnt lgkmcnt(0)
	v_fmac_f32_e32 v143, v184, v185
	ds_bpermute_b32 v184, v136, v144 offset:40
	ds_bpermute_b32 v183, v136, v142 offset:40
	v_mov_b32_e32 v189, v207
	s_waitcnt lgkmcnt(1)
	v_sub_f32_e32 v182, v182, v184
	v_mul_f32_e32 v182, v181, v182
	s_waitcnt lgkmcnt(0)
	v_fmac_f32_e32 v143, v182, v183
	ds_bpermute_b32 v182, v136, v144 offset:44
	ds_bpermute_b32 v181, v136, v142 offset:44
	s_waitcnt lgkmcnt(1)
	v_sub_f32_e32 v180, v180, v182
	v_mul_f32_e32 v180, v179, v180
	s_waitcnt lgkmcnt(0)
	v_fmac_f32_e32 v143, v180, v181
	ds_bpermute_b32 v180, v136, v144 offset:48
	ds_bpermute_b32 v179, v136, v142 offset:48
	;; [unrolled: 7-line block ×19, first 2 shown]
	s_waitcnt vmcnt(4) lgkmcnt(1)
	v_sub_f32_e32 v135, v135, v146
	v_mul_f32_e32 v135, v134, v135
	s_waitcnt lgkmcnt(0)
	v_fmac_f32_e32 v143, v135, v145
	ds_bpermute_b32 v135, v136, v144 offset:120
	ds_bpermute_b32 v134, v136, v142 offset:120
	;; [unrolled: 1-line block ×3, first 2 shown]
	s_waitcnt vmcnt(2) lgkmcnt(2)
	v_sub_f32_e32 v133, v133, v135
	ds_bpermute_b32 v135, v136, v142 offset:124
	v_mul_f32_e32 v133, v132, v133
	s_waitcnt lgkmcnt(2)
	v_fmac_f32_e32 v143, v133, v134
	v_add_f32_e32 v134, v3, v132
	v_mov_b32_e32 v142, v143
.LBB61_225:                             ;   in Loop: Header=BB61_149 Depth=1
	s_waitcnt vmcnt(0) lgkmcnt(0)
	v_sub_f32_e32 v3, v192, v144
	v_mul_f32_e32 v3, v191, v3
	v_fmac_f32_e32 v142, v3, v135
	v_mov_b32_e32 v3, s11
	v_add_co_u32_e64 v187, s[0:1], s10, v187
	v_addc_co_u32_e64 v188, s[0:1], v188, v3, s[0:1]
	v_add_co_u32_e64 v189, s[0:1], s10, v189
	v_addc_co_u32_e64 v190, s[0:1], v190, v3, s[0:1]
	;; [unrolled: 2-line block ×23, first 2 shown]
	s_add_u32 s18, s18, s7
	v_mov_b32_e32 v133, s13
	v_add_co_u32_e64 v88, s[0:1], s10, v88
	s_addc_u32 s19, s19, 0
	v_mov_b32_e32 v132, s12
	v_addc_co_u32_e64 v89, s[0:1], v89, v3, s[0:1]
	v_cmp_ge_i64_e32 vcc, s[18:19], v[132:133]
	v_add_co_u32_e64 v92, s[0:1], s10, v92
	buffer_load_dword v132, off, s[40:43], 0 ; 4-byte Folded Reload
	buffer_load_dword v144, off, s[40:43], 0 offset:280 ; 4-byte Folded Reload
	v_addc_co_u32_e64 v93, s[0:1], v93, v3, s[0:1]
	v_add_co_u32_e64 v96, s[0:1], s10, v96
	v_addc_co_u32_e64 v97, s[0:1], v97, v3, s[0:1]
	v_add_co_u32_e64 v100, s[0:1], s10, v100
	;; [unrolled: 2-line block ×39, first 2 shown]
	v_addc_co_u32_e64 v127, s[0:1], v127, v3, s[0:1]
	s_waitcnt vmcnt(1)
	v_add_co_u32_e64 v132, s[0:1], s10, v132
	buffer_store_dword v132, off, s[40:43], 0 ; 4-byte Folded Spill
	buffer_load_dword v132, off, s[40:43], 0 offset:4 ; 4-byte Folded Reload
	s_add_u32 s16, s16, s7
	s_addc_u32 s17, 0, s17
	s_and_b64 vcc, exec, vcc
	s_waitcnt vmcnt(0)
	v_addc_co_u32_e64 v132, s[0:1], v132, v3, s[0:1]
	buffer_store_dword v132, off, s[40:43], 0 offset:4 ; 4-byte Folded Spill
	buffer_load_dword v132, off, s[40:43], 0 offset:8 ; 4-byte Folded Reload
	s_waitcnt vmcnt(0)
	v_add_co_u32_e64 v132, s[0:1], s10, v132
	buffer_store_dword v132, off, s[40:43], 0 offset:8 ; 4-byte Folded Spill
	buffer_load_dword v132, off, s[40:43], 0 offset:12 ; 4-byte Folded Reload
	s_waitcnt vmcnt(0)
	v_addc_co_u32_e64 v132, s[0:1], v132, v3, s[0:1]
	buffer_store_dword v132, off, s[40:43], 0 offset:12 ; 4-byte Folded Spill
	buffer_load_dword v132, off, s[40:43], 0 offset:16 ; 4-byte Folded Reload
	s_waitcnt vmcnt(0)
	v_add_co_u32_e64 v132, s[0:1], s10, v132
	buffer_store_dword v132, off, s[40:43], 0 offset:16 ; 4-byte Folded Spill
	buffer_load_dword v132, off, s[40:43], 0 offset:20 ; 4-byte Folded Reload
	;; [unrolled: 8-line block ×34, first 2 shown]
	s_waitcnt vmcnt(0)
	v_addc_co_u32_e64 v132, s[0:1], v132, v3, s[0:1]
	v_add_co_u32_e64 v211, s[0:1], s10, v211
	v_addc_co_u32_e64 v212, s[0:1], v212, v3, s[0:1]
	v_add_co_u32_e64 v213, s[0:1], s10, v213
	;; [unrolled: 2-line block ×28, first 2 shown]
	v_add_f32_e32 v3, v134, v191
	v_addc_co_u32_e64 v141, s[0:1], 0, v141, s[0:1]
	buffer_store_dword v132, off, s[40:43], 0 offset:276 ; 4-byte Folded Spill
	s_cbranch_vccnz .LBB61_227
; %bb.226:                              ;   in Loop: Header=BB61_149 Depth=1
	v_mov_b32_e32 v143, v142
	s_branch .LBB61_149
.LBB61_227:
	buffer_load_dword v1, off, s[40:43], 0 offset:292 ; 4-byte Folded Reload
	buffer_load_dword v2, off, s[40:43], 0 offset:296 ; 4-byte Folded Reload
	;; [unrolled: 1-line block ×3, first 2 shown]
.LBB61_228:
	s_mov_b32 s7, 0
	s_lshl_b64 s[0:1], s[6:7], 5
	s_waitcnt vmcnt(0)
	v_or_b32_e32 v6, s0, v0
	v_mov_b32_e32 v7, s1
	v_cmp_gt_i64_e32 vcc, s[14:15], v[6:7]
	s_and_saveexec_b64 s[0:1], vcc
	s_cbranch_execz .LBB61_233
; %bb.229:
	s_load_dword s0, s[4:5], 0x4c
	v_mov_b32_e32 v2, 0
	v_mov_b32_e32 v0, s8
	s_waitcnt lgkmcnt(0)
	s_lshr_b32 s0, s0, 16
	v_mad_u64_u32 v[4:5], s[0:1], s0, v0, v[1:2]
	s_load_dwordx4 s[0:3], s[4:5], 0x30
	v_lshlrev_b64 v[0:1], 2, v[6:7]
	v_mul_lo_u32 v2, v5, s14
	v_mul_lo_u32 v5, v4, s15
	s_waitcnt lgkmcnt(0)
	s_cmp_eq_u64 s[0:1], 0
	s_cbranch_scc1 .LBB61_231
; %bb.230:
	v_mad_u64_u32 v[6:7], s[4:5], v4, s14, 0
	v_mov_b32_e32 v8, s1
	v_add3_u32 v7, v7, v5, v2
	v_lshlrev_b64 v[6:7], 2, v[6:7]
	v_add_co_u32_e32 v6, vcc, s0, v6
	v_addc_co_u32_e32 v7, vcc, v8, v7, vcc
	v_add_co_u32_e32 v6, vcc, v6, v0
	v_addc_co_u32_e32 v7, vcc, v7, v1, vcc
	global_store_dword v[6:7], v142, off
.LBB61_231:
	s_cmp_eq_u64 s[2:3], 0
	s_cbranch_scc1 .LBB61_233
; %bb.232:
	v_mad_u64_u32 v[6:7], s[0:1], v4, s14, 0
	v_mov_b32_e32 v8, s3
	v_add3_u32 v7, v7, v5, v2
	v_lshlrev_b64 v[4:5], 2, v[6:7]
	v_add_co_u32_e32 v2, vcc, s2, v4
	v_addc_co_u32_e32 v4, vcc, v8, v5, vcc
	v_add_co_u32_e32 v0, vcc, v2, v0
	v_addc_co_u32_e32 v1, vcc, v4, v1, vcc
	global_store_dword v[0:1], v3, off
.LBB61_233:
	s_endpgm
	.section	.rodata,"a",@progbits
	.p2align	6, 0x0
	.amdhsa_kernel _ZN2at6native12_GLOBAL__N_135GammaBetaBackwardCUDAKernelTemplateIffLj32ELj1ELj32ELb1ELb0ELb0EEEvllPKT_S5_PKT0_S8_PS3_S9_
		.amdhsa_group_segment_fixed_size 0
		.amdhsa_private_segment_fixed_size 316
		.amdhsa_kernarg_size 320
		.amdhsa_user_sgpr_count 6
		.amdhsa_user_sgpr_private_segment_buffer 1
		.amdhsa_user_sgpr_dispatch_ptr 0
		.amdhsa_user_sgpr_queue_ptr 0
		.amdhsa_user_sgpr_kernarg_segment_ptr 1
		.amdhsa_user_sgpr_dispatch_id 0
		.amdhsa_user_sgpr_flat_scratch_init 0
		.amdhsa_user_sgpr_private_segment_size 0
		.amdhsa_uses_dynamic_stack 0
		.amdhsa_system_sgpr_private_segment_wavefront_offset 1
		.amdhsa_system_sgpr_workgroup_id_x 1
		.amdhsa_system_sgpr_workgroup_id_y 1
		.amdhsa_system_sgpr_workgroup_id_z 0
		.amdhsa_system_sgpr_workgroup_info 0
		.amdhsa_system_vgpr_workitem_id 1
		.amdhsa_next_free_vgpr 256
		.amdhsa_next_free_sgpr 44
		.amdhsa_reserve_vcc 1
		.amdhsa_reserve_flat_scratch 0
		.amdhsa_float_round_mode_32 0
		.amdhsa_float_round_mode_16_64 0
		.amdhsa_float_denorm_mode_32 3
		.amdhsa_float_denorm_mode_16_64 3
		.amdhsa_dx10_clamp 1
		.amdhsa_ieee_mode 1
		.amdhsa_fp16_overflow 0
		.amdhsa_exception_fp_ieee_invalid_op 0
		.amdhsa_exception_fp_denorm_src 0
		.amdhsa_exception_fp_ieee_div_zero 0
		.amdhsa_exception_fp_ieee_overflow 0
		.amdhsa_exception_fp_ieee_underflow 0
		.amdhsa_exception_fp_ieee_inexact 0
		.amdhsa_exception_int_div_zero 0
	.end_amdhsa_kernel
	.section	.text._ZN2at6native12_GLOBAL__N_135GammaBetaBackwardCUDAKernelTemplateIffLj32ELj1ELj32ELb1ELb0ELb0EEEvllPKT_S5_PKT0_S8_PS3_S9_,"axG",@progbits,_ZN2at6native12_GLOBAL__N_135GammaBetaBackwardCUDAKernelTemplateIffLj32ELj1ELj32ELb1ELb0ELb0EEEvllPKT_S5_PKT0_S8_PS3_S9_,comdat
.Lfunc_end61:
	.size	_ZN2at6native12_GLOBAL__N_135GammaBetaBackwardCUDAKernelTemplateIffLj32ELj1ELj32ELb1ELb0ELb0EEEvllPKT_S5_PKT0_S8_PS3_S9_, .Lfunc_end61-_ZN2at6native12_GLOBAL__N_135GammaBetaBackwardCUDAKernelTemplateIffLj32ELj1ELj32ELb1ELb0ELb0EEEvllPKT_S5_PKT0_S8_PS3_S9_
                                        ; -- End function
	.set _ZN2at6native12_GLOBAL__N_135GammaBetaBackwardCUDAKernelTemplateIffLj32ELj1ELj32ELb1ELb0ELb0EEEvllPKT_S5_PKT0_S8_PS3_S9_.num_vgpr, 256
	.set _ZN2at6native12_GLOBAL__N_135GammaBetaBackwardCUDAKernelTemplateIffLj32ELj1ELj32ELb1ELb0ELb0EEEvllPKT_S5_PKT0_S8_PS3_S9_.num_agpr, 0
	.set _ZN2at6native12_GLOBAL__N_135GammaBetaBackwardCUDAKernelTemplateIffLj32ELj1ELj32ELb1ELb0ELb0EEEvllPKT_S5_PKT0_S8_PS3_S9_.numbered_sgpr, 44
	.set _ZN2at6native12_GLOBAL__N_135GammaBetaBackwardCUDAKernelTemplateIffLj32ELj1ELj32ELb1ELb0ELb0EEEvllPKT_S5_PKT0_S8_PS3_S9_.num_named_barrier, 0
	.set _ZN2at6native12_GLOBAL__N_135GammaBetaBackwardCUDAKernelTemplateIffLj32ELj1ELj32ELb1ELb0ELb0EEEvllPKT_S5_PKT0_S8_PS3_S9_.private_seg_size, 316
	.set _ZN2at6native12_GLOBAL__N_135GammaBetaBackwardCUDAKernelTemplateIffLj32ELj1ELj32ELb1ELb0ELb0EEEvllPKT_S5_PKT0_S8_PS3_S9_.uses_vcc, 1
	.set _ZN2at6native12_GLOBAL__N_135GammaBetaBackwardCUDAKernelTemplateIffLj32ELj1ELj32ELb1ELb0ELb0EEEvllPKT_S5_PKT0_S8_PS3_S9_.uses_flat_scratch, 0
	.set _ZN2at6native12_GLOBAL__N_135GammaBetaBackwardCUDAKernelTemplateIffLj32ELj1ELj32ELb1ELb0ELb0EEEvllPKT_S5_PKT0_S8_PS3_S9_.has_dyn_sized_stack, 0
	.set _ZN2at6native12_GLOBAL__N_135GammaBetaBackwardCUDAKernelTemplateIffLj32ELj1ELj32ELb1ELb0ELb0EEEvllPKT_S5_PKT0_S8_PS3_S9_.has_recursion, 0
	.set _ZN2at6native12_GLOBAL__N_135GammaBetaBackwardCUDAKernelTemplateIffLj32ELj1ELj32ELb1ELb0ELb0EEEvllPKT_S5_PKT0_S8_PS3_S9_.has_indirect_call, 0
	.section	.AMDGPU.csdata,"",@progbits
; Kernel info:
; codeLenInByte = 25484
; TotalNumSgprs: 48
; NumVgprs: 256
; ScratchSize: 316
; MemoryBound: 0
; FloatMode: 240
; IeeeMode: 1
; LDSByteSize: 0 bytes/workgroup (compile time only)
; SGPRBlocks: 5
; VGPRBlocks: 63
; NumSGPRsForWavesPerEU: 48
; NumVGPRsForWavesPerEU: 256
; Occupancy: 1
; WaveLimiterHint : 0
; COMPUTE_PGM_RSRC2:SCRATCH_EN: 1
; COMPUTE_PGM_RSRC2:USER_SGPR: 6
; COMPUTE_PGM_RSRC2:TRAP_HANDLER: 0
; COMPUTE_PGM_RSRC2:TGID_X_EN: 1
; COMPUTE_PGM_RSRC2:TGID_Y_EN: 1
; COMPUTE_PGM_RSRC2:TGID_Z_EN: 0
; COMPUTE_PGM_RSRC2:TIDIG_COMP_CNT: 1
	.section	.text._ZN2at6native12_GLOBAL__N_135GammaBetaBackwardCUDAKernelTemplateIffLj32ELj1ELj8ELb1ELb1ELb0EEEvllPKT_S5_PKT0_S8_PS3_S9_,"axG",@progbits,_ZN2at6native12_GLOBAL__N_135GammaBetaBackwardCUDAKernelTemplateIffLj32ELj1ELj8ELb1ELb1ELb0EEEvllPKT_S5_PKT0_S8_PS3_S9_,comdat
	.globl	_ZN2at6native12_GLOBAL__N_135GammaBetaBackwardCUDAKernelTemplateIffLj32ELj1ELj8ELb1ELb1ELb0EEEvllPKT_S5_PKT0_S8_PS3_S9_ ; -- Begin function _ZN2at6native12_GLOBAL__N_135GammaBetaBackwardCUDAKernelTemplateIffLj32ELj1ELj8ELb1ELb1ELb0EEEvllPKT_S5_PKT0_S8_PS3_S9_
	.p2align	8
	.type	_ZN2at6native12_GLOBAL__N_135GammaBetaBackwardCUDAKernelTemplateIffLj32ELj1ELj8ELb1ELb1ELb0EEEvllPKT_S5_PKT0_S8_PS3_S9_,@function
_ZN2at6native12_GLOBAL__N_135GammaBetaBackwardCUDAKernelTemplateIffLj32ELj1ELj8ELb1ELb1ELb0EEEvllPKT_S5_PKT0_S8_PS3_S9_: ; @_ZN2at6native12_GLOBAL__N_135GammaBetaBackwardCUDAKernelTemplateIffLj32ELj1ELj8ELb1ELb1ELb0EEEvllPKT_S5_PKT0_S8_PS3_S9_
; %bb.0:
	s_load_dwordx4 s[16:19], s[4:5], 0x0
	s_lshl_b32 s24, s7, 3
	s_mov_b32 s25, 0
	v_mov_b32_e32 v2, s24
	v_mov_b32_e32 v3, s25
	s_waitcnt lgkmcnt(0)
	v_cmp_gt_i64_e32 vcc, s[16:17], v[2:3]
	s_mov_b32 s2, s7
	s_cbranch_vccnz .LBB62_2
; %bb.1:
	s_add_u32 s26, s4, 64
	s_addc_u32 s27, s5, 0
	s_mov_b64 s[0:1], 0
	s_branch .LBB62_3
.LBB62_2:
	s_mov_b64 s[0:1], -1
                                        ; implicit-def: $sgpr26_sgpr27
.LBB62_3:
	s_load_dwordx4 s[20:23], s[4:5], 0x30
	v_mov_b32_e32 v8, 0
	s_andn2_b64 vcc, exec, s[0:1]
	v_mov_b32_e32 v3, 0
	s_cbranch_vccnz .LBB62_10
; %bb.4:
	v_lshlrev_b32_e32 v5, 3, v1
	v_mbcnt_lo_u32_b32 v6, -1, 0
	s_add_u32 s26, s4, 64
	v_mbcnt_hi_u32_b32 v6, -1, v6
	v_add_co_u32_e32 v5, vcc, s24, v5
	s_load_dword s0, s[4:5], 0x4c
	s_load_dword s3, s[4:5], 0x44
	s_load_dwordx8 s[8:15], s[4:5], 0x10
	s_addc_u32 s27, s5, 0
	v_lshlrev_b32_e32 v6, 2, v6
	v_addc_co_u32_e64 v8, s[4:5], 0, 0, vcc
	v_and_b32_e32 v9, 0x100, v6
	v_mul_lo_u32 v17, s19, v5
	v_mul_lo_u32 v18, s18, v8
	v_mad_u64_u32 v[6:7], s[4:5], s18, v5, 0
	s_waitcnt lgkmcnt(0)
	s_and_b32 s0, s0, 0xffff
	v_mad_u32_u24 v2, v1, s0, v0
	v_and_b32_e32 v4, 63, v2
	v_mov_b32_e32 v3, 0
	v_lshl_or_b32 v2, s6, 5, v0
	v_add3_u32 v7, v7, v18, v17
	v_cmp_gt_u32_e64 s[0:1], 8, v4
	v_add_co_u32_e32 v4, vcc, v5, v4
	v_lshlrev_b64 v[6:7], 2, v[6:7]
	v_lshlrev_b64 v[17:18], 2, v[2:3]
	s_lshl_b32 s28, s3, 3
	v_addc_co_u32_e32 v5, vcc, 0, v8, vcc
	v_add_co_u32_e32 v2, vcc, v6, v17
	s_mul_i32 s3, s19, s28
	s_mul_hi_u32 s4, s18, s28
	s_mov_b32 s29, 0
	v_addc_co_u32_e32 v17, vcc, v7, v18, vcc
	v_lshlrev_b64 v[6:7], 2, v[4:5]
	s_add_i32 s5, s4, s3
	s_mul_i32 s4, s18, s28
	v_or_b32_e32 v10, 4, v9
	v_or_b32_e32 v11, 8, v9
	;; [unrolled: 1-line block ×7, first 2 shown]
	s_lshl_b64 s[30:31], s[28:29], 2
	s_lshl_b64 s[34:35], s[4:5], 2
	;; [unrolled: 1-line block ×3, first 2 shown]
	v_mov_b32_e32 v8, v3
	s_branch .LBB62_7
.LBB62_5:                               ;   in Loop: Header=BB62_7 Depth=1
	s_or_b64 exec, exec, s[38:39]
.LBB62_6:                               ;   in Loop: Header=BB62_7 Depth=1
	s_or_b64 exec, exec, s[4:5]
	v_mov_b32_e32 v21, s11
	v_add_co_u32_e32 v20, vcc, s10, v2
	v_addc_co_u32_e32 v21, vcc, v21, v17, vcc
	global_load_dword v26, v[20:21], off
	v_mov_b32_e32 v23, s9
	v_add_co_u32_e32 v22, vcc, s8, v2
	v_addc_co_u32_e32 v23, vcc, v23, v17, vcc
	global_load_dword v27, v[22:23], off
	v_mov_b32_e32 v28, s37
	v_add_co_u32_e32 v20, vcc, s36, v20
	v_addc_co_u32_e32 v21, vcc, v21, v28, vcc
	v_add_co_u32_e32 v22, vcc, s36, v22
	v_addc_co_u32_e32 v23, vcc, v23, v28, vcc
	global_load_dword v29, v[20:21], off
	global_load_dword v30, v[22:23], off
	v_add_co_u32_e32 v20, vcc, s36, v20
	v_addc_co_u32_e32 v21, vcc, v21, v28, vcc
	v_add_co_u32_e32 v22, vcc, s36, v22
	v_addc_co_u32_e32 v23, vcc, v23, v28, vcc
	global_load_dword v31, v[20:21], off
	v_add_co_u32_e32 v24, vcc, s36, v20
	global_load_dword v32, v[22:23], off
	v_addc_co_u32_e32 v25, vcc, v21, v28, vcc
	v_add_co_u32_e32 v20, vcc, s36, v22
	v_addc_co_u32_e32 v21, vcc, v23, v28, vcc
	v_add_co_u32_e32 v22, vcc, s36, v24
	global_load_dword v33, v[24:25], off
	s_waitcnt vmcnt(8)
	ds_bpermute_b32 v24, v9, v19
	v_addc_co_u32_e32 v23, vcc, v25, v28, vcc
	s_waitcnt vmcnt(7)
	ds_bpermute_b32 v25, v9, v18
	s_add_u32 s24, s24, s28
	s_addc_u32 s25, s25, 0
	v_add_co_u32_e64 v2, s[4:5], s34, v2
	s_waitcnt vmcnt(6) lgkmcnt(1)
	v_sub_f32_e32 v24, v26, v24
	global_load_dword v26, v[20:21], off
	s_waitcnt vmcnt(6)
	v_mul_f32_e32 v24, v27, v24
	s_waitcnt lgkmcnt(0)
	v_fmac_f32_e32 v3, v24, v25
	v_add_co_u32_e32 v24, vcc, s36, v20
	ds_bpermute_b32 v20, v10, v19
	v_addc_co_u32_e32 v25, vcc, v21, v28, vcc
	ds_bpermute_b32 v21, v10, v18
	v_add_f32_e32 v8, v8, v27
	s_waitcnt vmcnt(5) lgkmcnt(1)
	v_sub_f32_e32 v20, v29, v20
	s_waitcnt vmcnt(4)
	v_mul_f32_e32 v20, v30, v20
	s_waitcnt lgkmcnt(0)
	v_fmac_f32_e32 v3, v20, v21
	v_add_co_u32_e32 v20, vcc, s36, v22
	global_load_dword v29, v[22:23], off
	ds_bpermute_b32 v22, v11, v19
	v_addc_co_u32_e32 v21, vcc, v23, v28, vcc
	ds_bpermute_b32 v23, v11, v18
	v_add_f32_e32 v8, v8, v30
	s_waitcnt vmcnt(4) lgkmcnt(1)
	v_sub_f32_e32 v22, v31, v22
	global_load_dword v31, v[24:25], off
	s_waitcnt vmcnt(4)
	v_mul_f32_e32 v22, v32, v22
	s_waitcnt lgkmcnt(0)
	v_fmac_f32_e32 v3, v22, v23
	v_add_co_u32_e32 v22, vcc, s36, v24
	v_addc_co_u32_e32 v23, vcc, v25, v28, vcc
	global_load_dword v34, v[22:23], off
	ds_bpermute_b32 v24, v12, v19
	ds_bpermute_b32 v25, v12, v18
	v_add_f32_e32 v8, v8, v32
	s_waitcnt vmcnt(4) lgkmcnt(1)
	v_sub_f32_e32 v24, v33, v24
	global_load_dword v33, v[20:21], off
	s_waitcnt vmcnt(4)
	v_mul_f32_e32 v24, v26, v24
	s_waitcnt lgkmcnt(0)
	v_fmac_f32_e32 v3, v24, v25
	v_add_co_u32_e32 v24, vcc, s36, v20
	v_addc_co_u32_e32 v25, vcc, v21, v28, vcc
	v_add_co_u32_e32 v20, vcc, s36, v22
	v_addc_co_u32_e32 v21, vcc, v23, v28, vcc
	;; [unrolled: 2-line block ×3, first 2 shown]
	global_load_dword v35, v[24:25], off
	v_add_co_u32_e32 v24, vcc, s36, v20
	v_addc_co_u32_e32 v25, vcc, v21, v28, vcc
	global_load_dword v20, v[20:21], off
	s_nop 0
	global_load_dword v21, v[22:23], off
	global_load_dword v28, v[24:25], off
	ds_bpermute_b32 v22, v13, v19
	ds_bpermute_b32 v23, v13, v18
	;; [unrolled: 1-line block ×3, first 2 shown]
	v_add_co_u32_e32 v6, vcc, s30, v6
	s_waitcnt vmcnt(7) lgkmcnt(2)
	v_sub_f32_e32 v22, v29, v22
	v_add_f32_e32 v8, v8, v26
	s_waitcnt vmcnt(6)
	v_mul_f32_e32 v22, v31, v22
	s_waitcnt lgkmcnt(1)
	v_fmac_f32_e32 v3, v22, v23
	ds_bpermute_b32 v22, v14, v19
	ds_bpermute_b32 v23, v14, v18
	;; [unrolled: 1-line block ×3, first 2 shown]
	v_add_f32_e32 v8, v8, v31
	s_waitcnt vmcnt(5)
	v_add_f32_e32 v8, v8, v34
	s_waitcnt vmcnt(4) lgkmcnt(2)
	v_sub_f32_e32 v22, v33, v22
	v_mul_f32_e32 v22, v34, v22
	s_waitcnt lgkmcnt(1)
	v_fmac_f32_e32 v3, v22, v23
	ds_bpermute_b32 v22, v15, v18
	ds_bpermute_b32 v18, v16, v18
	s_waitcnt vmcnt(3)
	v_sub_f32_e32 v23, v35, v24
	s_waitcnt vmcnt(2)
	v_mul_f32_e32 v23, v20, v23
	s_waitcnt vmcnt(1) lgkmcnt(2)
	v_sub_f32_e32 v19, v21, v19
	s_waitcnt lgkmcnt(1)
	v_fmac_f32_e32 v3, v23, v22
	s_waitcnt vmcnt(0)
	v_mul_f32_e32 v19, v28, v19
	s_waitcnt lgkmcnt(0)
	v_fmac_f32_e32 v3, v19, v18
	v_mov_b32_e32 v18, s31
	v_addc_co_u32_e32 v7, vcc, v7, v18, vcc
	v_add_co_u32_e32 v4, vcc, s28, v4
	v_mov_b32_e32 v19, s17
	v_addc_co_u32_e32 v5, vcc, 0, v5, vcc
	v_mov_b32_e32 v18, s16
	v_cmp_lt_i64_e32 vcc, s[24:25], v[18:19]
	v_add_f32_e32 v8, v8, v20
	v_mov_b32_e32 v20, s35
	v_add_f32_e32 v8, v8, v28
	v_addc_co_u32_e64 v17, s[4:5], v17, v20, s[4:5]
	s_cbranch_vccz .LBB62_10
.LBB62_7:                               ; =>This Inner Loop Header: Depth=1
	v_mov_b32_e32 v18, 0
	v_mov_b32_e32 v19, 0
	s_and_saveexec_b64 s[4:5], s[0:1]
	s_cbranch_execz .LBB62_6
; %bb.8:                                ;   in Loop: Header=BB62_7 Depth=1
	v_cmp_gt_i64_e32 vcc, s[16:17], v[4:5]
	v_mov_b32_e32 v19, 0
	v_mov_b32_e32 v18, 0
	s_and_saveexec_b64 s[38:39], vcc
	s_cbranch_execz .LBB62_5
; %bb.9:                                ;   in Loop: Header=BB62_7 Depth=1
	v_mov_b32_e32 v18, s15
	v_add_co_u32_e32 v20, vcc, s14, v6
	v_addc_co_u32_e32 v21, vcc, v18, v7, vcc
	v_mov_b32_e32 v18, s13
	v_add_co_u32_e32 v22, vcc, s12, v6
	v_addc_co_u32_e32 v23, vcc, v18, v7, vcc
	global_load_dword v19, v[22:23], off
	global_load_dword v18, v[20:21], off
	s_branch .LBB62_5
.LBB62_10:
	s_load_dword s0, s[26:27], 0xc
	v_mov_b32_e32 v2, 0
	v_mov_b32_e32 v4, s2
	s_mov_b32 s7, 0
	s_waitcnt lgkmcnt(0)
	s_lshr_b32 s0, s0, 16
	v_mad_u64_u32 v[4:5], s[0:1], s0, v4, v[1:2]
	s_lshl_b64 s[0:1], s[6:7], 5
	v_or_b32_e32 v0, s0, v0
	v_mul_lo_u32 v2, v5, s18
	v_mul_lo_u32 v5, v4, s19
	v_mov_b32_e32 v1, s1
	v_lshlrev_b64 v[0:1], 2, v[0:1]
	s_cmp_eq_u64 s[20:21], 0
	s_cbranch_scc1 .LBB62_12
; %bb.11:
	v_mad_u64_u32 v[6:7], s[0:1], v4, s18, 0
	v_mov_b32_e32 v9, s21
	v_add3_u32 v7, v7, v5, v2
	v_lshlrev_b64 v[6:7], 2, v[6:7]
	v_add_co_u32_e32 v6, vcc, s20, v6
	v_addc_co_u32_e32 v7, vcc, v9, v7, vcc
	v_add_co_u32_e32 v6, vcc, v6, v0
	v_addc_co_u32_e32 v7, vcc, v7, v1, vcc
	global_store_dword v[6:7], v3, off
.LBB62_12:
	s_cmp_eq_u64 s[22:23], 0
	s_cbranch_scc1 .LBB62_14
; %bb.13:
	v_mad_u64_u32 v[3:4], s[0:1], v4, s18, 0
	v_mov_b32_e32 v6, s23
	v_add3_u32 v4, v4, v5, v2
	v_lshlrev_b64 v[2:3], 2, v[3:4]
	v_add_co_u32_e32 v2, vcc, s22, v2
	v_addc_co_u32_e32 v3, vcc, v6, v3, vcc
	v_add_co_u32_e32 v0, vcc, v2, v0
	v_addc_co_u32_e32 v1, vcc, v3, v1, vcc
	global_store_dword v[0:1], v8, off
.LBB62_14:
	s_endpgm
	.section	.rodata,"a",@progbits
	.p2align	6, 0x0
	.amdhsa_kernel _ZN2at6native12_GLOBAL__N_135GammaBetaBackwardCUDAKernelTemplateIffLj32ELj1ELj8ELb1ELb1ELb0EEEvllPKT_S5_PKT0_S8_PS3_S9_
		.amdhsa_group_segment_fixed_size 0
		.amdhsa_private_segment_fixed_size 0
		.amdhsa_kernarg_size 320
		.amdhsa_user_sgpr_count 6
		.amdhsa_user_sgpr_private_segment_buffer 1
		.amdhsa_user_sgpr_dispatch_ptr 0
		.amdhsa_user_sgpr_queue_ptr 0
		.amdhsa_user_sgpr_kernarg_segment_ptr 1
		.amdhsa_user_sgpr_dispatch_id 0
		.amdhsa_user_sgpr_flat_scratch_init 0
		.amdhsa_user_sgpr_private_segment_size 0
		.amdhsa_uses_dynamic_stack 0
		.amdhsa_system_sgpr_private_segment_wavefront_offset 0
		.amdhsa_system_sgpr_workgroup_id_x 1
		.amdhsa_system_sgpr_workgroup_id_y 1
		.amdhsa_system_sgpr_workgroup_id_z 0
		.amdhsa_system_sgpr_workgroup_info 0
		.amdhsa_system_vgpr_workitem_id 1
		.amdhsa_next_free_vgpr 36
		.amdhsa_next_free_sgpr 40
		.amdhsa_reserve_vcc 1
		.amdhsa_reserve_flat_scratch 0
		.amdhsa_float_round_mode_32 0
		.amdhsa_float_round_mode_16_64 0
		.amdhsa_float_denorm_mode_32 3
		.amdhsa_float_denorm_mode_16_64 3
		.amdhsa_dx10_clamp 1
		.amdhsa_ieee_mode 1
		.amdhsa_fp16_overflow 0
		.amdhsa_exception_fp_ieee_invalid_op 0
		.amdhsa_exception_fp_denorm_src 0
		.amdhsa_exception_fp_ieee_div_zero 0
		.amdhsa_exception_fp_ieee_overflow 0
		.amdhsa_exception_fp_ieee_underflow 0
		.amdhsa_exception_fp_ieee_inexact 0
		.amdhsa_exception_int_div_zero 0
	.end_amdhsa_kernel
	.section	.text._ZN2at6native12_GLOBAL__N_135GammaBetaBackwardCUDAKernelTemplateIffLj32ELj1ELj8ELb1ELb1ELb0EEEvllPKT_S5_PKT0_S8_PS3_S9_,"axG",@progbits,_ZN2at6native12_GLOBAL__N_135GammaBetaBackwardCUDAKernelTemplateIffLj32ELj1ELj8ELb1ELb1ELb0EEEvllPKT_S5_PKT0_S8_PS3_S9_,comdat
.Lfunc_end62:
	.size	_ZN2at6native12_GLOBAL__N_135GammaBetaBackwardCUDAKernelTemplateIffLj32ELj1ELj8ELb1ELb1ELb0EEEvllPKT_S5_PKT0_S8_PS3_S9_, .Lfunc_end62-_ZN2at6native12_GLOBAL__N_135GammaBetaBackwardCUDAKernelTemplateIffLj32ELj1ELj8ELb1ELb1ELb0EEEvllPKT_S5_PKT0_S8_PS3_S9_
                                        ; -- End function
	.set _ZN2at6native12_GLOBAL__N_135GammaBetaBackwardCUDAKernelTemplateIffLj32ELj1ELj8ELb1ELb1ELb0EEEvllPKT_S5_PKT0_S8_PS3_S9_.num_vgpr, 36
	.set _ZN2at6native12_GLOBAL__N_135GammaBetaBackwardCUDAKernelTemplateIffLj32ELj1ELj8ELb1ELb1ELb0EEEvllPKT_S5_PKT0_S8_PS3_S9_.num_agpr, 0
	.set _ZN2at6native12_GLOBAL__N_135GammaBetaBackwardCUDAKernelTemplateIffLj32ELj1ELj8ELb1ELb1ELb0EEEvllPKT_S5_PKT0_S8_PS3_S9_.numbered_sgpr, 40
	.set _ZN2at6native12_GLOBAL__N_135GammaBetaBackwardCUDAKernelTemplateIffLj32ELj1ELj8ELb1ELb1ELb0EEEvllPKT_S5_PKT0_S8_PS3_S9_.num_named_barrier, 0
	.set _ZN2at6native12_GLOBAL__N_135GammaBetaBackwardCUDAKernelTemplateIffLj32ELj1ELj8ELb1ELb1ELb0EEEvllPKT_S5_PKT0_S8_PS3_S9_.private_seg_size, 0
	.set _ZN2at6native12_GLOBAL__N_135GammaBetaBackwardCUDAKernelTemplateIffLj32ELj1ELj8ELb1ELb1ELb0EEEvllPKT_S5_PKT0_S8_PS3_S9_.uses_vcc, 1
	.set _ZN2at6native12_GLOBAL__N_135GammaBetaBackwardCUDAKernelTemplateIffLj32ELj1ELj8ELb1ELb1ELb0EEEvllPKT_S5_PKT0_S8_PS3_S9_.uses_flat_scratch, 0
	.set _ZN2at6native12_GLOBAL__N_135GammaBetaBackwardCUDAKernelTemplateIffLj32ELj1ELj8ELb1ELb1ELb0EEEvllPKT_S5_PKT0_S8_PS3_S9_.has_dyn_sized_stack, 0
	.set _ZN2at6native12_GLOBAL__N_135GammaBetaBackwardCUDAKernelTemplateIffLj32ELj1ELj8ELb1ELb1ELb0EEEvllPKT_S5_PKT0_S8_PS3_S9_.has_recursion, 0
	.set _ZN2at6native12_GLOBAL__N_135GammaBetaBackwardCUDAKernelTemplateIffLj32ELj1ELj8ELb1ELb1ELb0EEEvllPKT_S5_PKT0_S8_PS3_S9_.has_indirect_call, 0
	.section	.AMDGPU.csdata,"",@progbits
; Kernel info:
; codeLenInByte = 1328
; TotalNumSgprs: 44
; NumVgprs: 36
; ScratchSize: 0
; MemoryBound: 0
; FloatMode: 240
; IeeeMode: 1
; LDSByteSize: 0 bytes/workgroup (compile time only)
; SGPRBlocks: 5
; VGPRBlocks: 8
; NumSGPRsForWavesPerEU: 44
; NumVGPRsForWavesPerEU: 36
; Occupancy: 7
; WaveLimiterHint : 0
; COMPUTE_PGM_RSRC2:SCRATCH_EN: 0
; COMPUTE_PGM_RSRC2:USER_SGPR: 6
; COMPUTE_PGM_RSRC2:TRAP_HANDLER: 0
; COMPUTE_PGM_RSRC2:TGID_X_EN: 1
; COMPUTE_PGM_RSRC2:TGID_Y_EN: 1
; COMPUTE_PGM_RSRC2:TGID_Z_EN: 0
; COMPUTE_PGM_RSRC2:TIDIG_COMP_CNT: 1
	.section	.text._ZN2at6native12_GLOBAL__N_135GammaBetaBackwardCUDAKernelTemplateIffLj32ELj1ELj8ELb1ELb0ELb0EEEvllPKT_S5_PKT0_S8_PS3_S9_,"axG",@progbits,_ZN2at6native12_GLOBAL__N_135GammaBetaBackwardCUDAKernelTemplateIffLj32ELj1ELj8ELb1ELb0ELb0EEEvllPKT_S5_PKT0_S8_PS3_S9_,comdat
	.globl	_ZN2at6native12_GLOBAL__N_135GammaBetaBackwardCUDAKernelTemplateIffLj32ELj1ELj8ELb1ELb0ELb0EEEvllPKT_S5_PKT0_S8_PS3_S9_ ; -- Begin function _ZN2at6native12_GLOBAL__N_135GammaBetaBackwardCUDAKernelTemplateIffLj32ELj1ELj8ELb1ELb0ELb0EEEvllPKT_S5_PKT0_S8_PS3_S9_
	.p2align	8
	.type	_ZN2at6native12_GLOBAL__N_135GammaBetaBackwardCUDAKernelTemplateIffLj32ELj1ELj8ELb1ELb0ELb0EEEvllPKT_S5_PKT0_S8_PS3_S9_,@function
_ZN2at6native12_GLOBAL__N_135GammaBetaBackwardCUDAKernelTemplateIffLj32ELj1ELj8ELb1ELb0ELb0EEEvllPKT_S5_PKT0_S8_PS3_S9_: ; @_ZN2at6native12_GLOBAL__N_135GammaBetaBackwardCUDAKernelTemplateIffLj32ELj1ELj8ELb1ELb0ELb0EEEvllPKT_S5_PKT0_S8_PS3_S9_
; %bb.0:
	s_mov_b32 s8, s7
	s_load_dwordx8 s[12:19], s[4:5], 0x0
	s_load_dwordx4 s[20:23], s[4:5], 0x20
	s_lshl_b32 s24, s8, 3
	s_lshl_b32 s7, s6, 5
	s_mov_b32 s25, 0
	v_mov_b32_e32 v2, s24
	s_or_b32 s0, s7, 31
	v_mov_b32_e32 v3, s25
	v_mov_b32_e32 v18, s0
	;; [unrolled: 1-line block ×3, first 2 shown]
	s_waitcnt lgkmcnt(0)
	v_cmp_gt_i64_e64 s[0:1], s[12:13], v[2:3]
	v_cmp_le_i64_e32 vcc, s[14:15], v[18:19]
	v_cndmask_b32_e64 v2, 0, 1, s[0:1]
	v_cmp_ne_u32_e64 s[0:1], 1, v2
	s_cbranch_vccz .LBB63_49
; %bb.1:
	s_and_b64 vcc, exec, s[0:1]
	v_mov_b32_e32 v57, 0
	s_cbranch_vccnz .LBB63_50
; %bb.2:
	v_lshlrev_b32_e32 v24, 3, v1
	v_add_co_u32_e32 v9, vcc, s24, v24
	v_addc_co_u32_e64 v10, s[2:3], 0, 0, vcc
	v_mul_lo_u32 v7, s15, v9
	v_mul_lo_u32 v8, s14, v10
	v_mad_u64_u32 v[5:6], s[2:3], s14, v9, 0
	v_mov_b32_e32 v2, 0
	s_load_dword s9, s[4:5], 0x44
	v_add_u32_e32 v3, s7, v0
	v_mov_b32_e32 v4, v2
	v_add3_u32 v6, v6, v8, v7
	v_cmp_gt_i64_e64 s[2:3], s[14:15], v[3:4]
	v_lshlrev_b64 v[20:21], 2, v[3:4]
	v_lshlrev_b64 v[3:4], 2, v[5:6]
	s_add_u32 s26, s4, 64
	v_mov_b32_e32 v7, s17
	v_add_co_u32_e32 v26, vcc, s16, v3
	s_addc_u32 s27, s5, 0
	s_waitcnt lgkmcnt(0)
	s_lshl_b32 s9, s9, 3
	v_addc_co_u32_e32 v27, vcc, v7, v4, vcc
	s_mul_i32 s10, s15, s9
	s_mul_hi_u32 s11, s14, s9
	v_add_co_u32_e32 v7, vcc, 7, v9
	s_add_i32 s11, s11, s10
	s_mul_i32 s10, s14, s9
	v_addc_co_u32_e32 v8, vcc, 0, v10, vcc
	s_lshl_b64 s[28:29], s[10:11], 2
	v_mul_lo_u32 v12, s15, v7
	v_mul_lo_u32 v13, s14, v8
	v_mad_u64_u32 v[7:8], s[10:11], s14, v7, 0
	v_mov_b32_e32 v11, s19
	v_add_co_u32_e32 v28, vcc, s18, v3
	v_add3_u32 v8, v8, v13, v12
	v_addc_co_u32_e32 v29, vcc, v11, v4, vcc
	v_lshlrev_b64 v[3:4], 2, v[7:8]
	v_mov_b32_e32 v7, s17
	v_add_co_u32_e32 v30, vcc, s16, v3
	v_addc_co_u32_e32 v31, vcc, v7, v4, vcc
	v_add_co_u32_e32 v7, vcc, 6, v9
	v_addc_co_u32_e32 v8, vcc, 0, v10, vcc
	v_mul_lo_u32 v12, s15, v7
	v_mul_lo_u32 v13, s14, v8
	v_mad_u64_u32 v[7:8], s[10:11], s14, v7, 0
	v_add_co_u32_e32 v32, vcc, s18, v3
	v_add3_u32 v8, v8, v13, v12
	v_addc_co_u32_e32 v33, vcc, v11, v4, vcc
	v_lshlrev_b64 v[3:4], 2, v[7:8]
	v_mov_b32_e32 v7, s17
	v_add_co_u32_e32 v34, vcc, s16, v3
	v_addc_co_u32_e32 v35, vcc, v7, v4, vcc
	v_add_co_u32_e32 v7, vcc, 5, v9
	v_addc_co_u32_e32 v8, vcc, 0, v10, vcc
	v_mul_lo_u32 v12, s15, v7
	v_mul_lo_u32 v13, s14, v8
	v_mad_u64_u32 v[7:8], s[10:11], s14, v7, 0
	;; [unrolled: 12-line block ×5, first 2 shown]
	v_add_co_u32_e32 v48, vcc, s18, v3
	v_add3_u32 v8, v8, v10, v9
	v_addc_co_u32_e32 v49, vcc, v11, v4, vcc
	v_lshlrev_b64 v[3:4], 2, v[7:8]
	v_mov_b32_e32 v7, s17
	v_add_co_u32_e32 v50, vcc, s16, v3
	v_addc_co_u32_e32 v51, vcc, v7, v4, vcc
	v_mov_b32_e32 v7, s19
	v_add_co_u32_e32 v52, vcc, s18, v3
	v_addc_co_u32_e32 v53, vcc, v7, v4, vcc
	;; [unrolled: 3-line block ×3, first 2 shown]
	v_lshlrev_b64 v[3:4], 2, v[3:4]
	v_mov_b32_e32 v5, s17
	v_add_co_u32_e32 v54, vcc, s16, v3
	v_addc_co_u32_e32 v55, vcc, v5, v4, vcc
	v_add_co_u32_e32 v56, vcc, s18, v3
	v_mbcnt_lo_u32_b32 v3, -1, 0
	v_mbcnt_hi_u32_b32 v3, -1, v3
	v_mov_b32_e32 v5, s19
	v_lshlrev_b32_e32 v3, 2, v3
	v_mov_b32_e32 v25, v2
	s_mov_b64 s[30:31], 7
	v_addc_co_u32_e32 v58, vcc, v5, v4, vcc
	v_and_b32_e32 v59, 0x100, v3
	v_mov_b32_e32 v60, 0
	v_mov_b32_e32 v19, 0
	s_mov_b64 s[34:35], s[24:25]
.LBB63_3:                               ; =>This Inner Loop Header: Depth=1
	s_add_u32 s10, s24, s30
	v_mov_b32_e32 v3, s12
	s_addc_u32 s11, 0, s31
	v_mov_b32_e32 v4, s13
	v_cmp_ge_i64_e32 vcc, s[10:11], v[3:4]
	v_add_co_u32_e64 v22, s[10:11], s24, v24
	v_addc_co_u32_e64 v23, s[10:11], 0, v25, s[10:11]
	s_mov_b64 s[10:11], -1
	s_and_b64 vcc, exec, vcc
                                        ; implicit-def: $vgpr3_vgpr4_vgpr5_vgpr6_vgpr7_vgpr8_vgpr9_vgpr10
                                        ; implicit-def: $vgpr63
                                        ; implicit-def: $vgpr11_vgpr12_vgpr13_vgpr14_vgpr15_vgpr16_vgpr17_vgpr18
                                        ; implicit-def: $vgpr3
                                        ; implicit-def: $vgpr4
                                        ; implicit-def: $vgpr57
	s_cbranch_vccz .LBB63_25
; %bb.4:                                ;   in Loop: Header=BB63_3 Depth=1
	s_load_dword s10, s[26:27], 0xc
	v_mov_b32_e32 v61, 0
	v_mov_b32_e32 v62, 0
	s_waitcnt lgkmcnt(0)
	s_and_b32 s10, s10, 0xffff
	v_mad_u32_u24 v3, v1, s10, v0
	v_and_b32_e32 v3, 63, v3
	v_cmp_gt_u32_e32 vcc, 8, v3
	s_and_saveexec_b64 s[10:11], vcc
	s_cbranch_execz .LBB63_8
; %bb.5:                                ;   in Loop: Header=BB63_3 Depth=1
	v_add_co_u32_e32 v3, vcc, v22, v3
	v_addc_co_u32_e32 v4, vcc, 0, v23, vcc
	v_cmp_gt_i64_e32 vcc, s[12:13], v[3:4]
	v_mov_b32_e32 v62, 0
	v_mov_b32_e32 v61, 0
	s_and_saveexec_b64 s[36:37], vcc
	s_cbranch_execz .LBB63_7
; %bb.6:                                ;   in Loop: Header=BB63_3 Depth=1
	v_lshlrev_b64 v[3:4], 2, v[3:4]
	v_mov_b32_e32 v6, s23
	v_add_co_u32_e32 v5, vcc, s22, v3
	v_addc_co_u32_e32 v6, vcc, v6, v4, vcc
	v_mov_b32_e32 v7, s21
	v_add_co_u32_e32 v3, vcc, s20, v3
	v_addc_co_u32_e32 v4, vcc, v7, v4, vcc
	global_load_dword v62, v[3:4], off
	global_load_dword v61, v[5:6], off
.LBB63_7:                               ;   in Loop: Header=BB63_3 Depth=1
	s_or_b64 exec, exec, s[36:37]
.LBB63_8:                               ;   in Loop: Header=BB63_3 Depth=1
	s_or_b64 exec, exec, s[10:11]
	v_mov_b32_e32 v9, v2
	v_cmp_gt_i64_e32 vcc, s[12:13], v[22:23]
	v_mov_b32_e32 v3, v2
	v_mov_b32_e32 v4, v2
	;; [unrolled: 1-line block ×15, first 2 shown]
	s_and_b64 s[36:37], s[2:3], vcc
	v_mov_b32_e32 v9, v8
	v_mov_b32_e32 v8, v7
	;; [unrolled: 1-line block ×7, first 2 shown]
	s_and_saveexec_b64 s[10:11], s[36:37]
	s_cbranch_execz .LBB63_10
; %bb.9:                                ;   in Loop: Header=BB63_3 Depth=1
	v_add_co_u32_e32 v3, vcc, v26, v20
	v_addc_co_u32_e32 v4, vcc, v27, v21, vcc
	global_load_dword v3, v[3:4], off
	v_add_co_u32_e32 v4, vcc, v28, v20
	v_addc_co_u32_e32 v5, vcc, v29, v21, vcc
	global_load_dword v11, v[4:5], off
	v_mov_b32_e32 v4, v2
	v_mov_b32_e32 v5, v2
	;; [unrolled: 1-line block ×14, first 2 shown]
.LBB63_10:                              ;   in Loop: Header=BB63_3 Depth=1
	s_or_b64 exec, exec, s[10:11]
	v_add_co_u32_e32 v63, vcc, 1, v22
	v_addc_co_u32_e32 v64, vcc, 0, v23, vcc
	v_cmp_gt_i64_e32 vcc, s[12:13], v[63:64]
	s_and_b64 s[36:37], s[2:3], vcc
	s_and_saveexec_b64 s[10:11], s[36:37]
	s_cbranch_execz .LBB63_12
; %bb.11:                               ;   in Loop: Header=BB63_3 Depth=1
	v_add_co_u32_e32 v63, vcc, v54, v20
	v_addc_co_u32_e32 v64, vcc, v55, v21, vcc
	global_load_dword v4, v[63:64], off
	v_add_co_u32_e32 v63, vcc, v56, v20
	v_addc_co_u32_e32 v64, vcc, v58, v21, vcc
	global_load_dword v12, v[63:64], off
.LBB63_12:                              ;   in Loop: Header=BB63_3 Depth=1
	s_or_b64 exec, exec, s[10:11]
	v_add_co_u32_e32 v63, vcc, 2, v22
	v_addc_co_u32_e32 v64, vcc, 0, v23, vcc
	v_cmp_gt_i64_e32 vcc, s[12:13], v[63:64]
	s_and_b64 s[36:37], s[2:3], vcc
	s_and_saveexec_b64 s[10:11], s[36:37]
	s_cbranch_execz .LBB63_14
; %bb.13:                               ;   in Loop: Header=BB63_3 Depth=1
	v_add_co_u32_e32 v63, vcc, v50, v20
	v_addc_co_u32_e32 v64, vcc, v51, v21, vcc
	global_load_dword v5, v[63:64], off
	v_add_co_u32_e32 v63, vcc, v52, v20
	v_addc_co_u32_e32 v64, vcc, v53, v21, vcc
	global_load_dword v13, v[63:64], off
.LBB63_14:                              ;   in Loop: Header=BB63_3 Depth=1
	s_or_b64 exec, exec, s[10:11]
	v_add_co_u32_e32 v63, vcc, 3, v22
	v_addc_co_u32_e32 v64, vcc, 0, v23, vcc
	v_cmp_gt_i64_e32 vcc, s[12:13], v[63:64]
	s_and_b64 s[36:37], s[2:3], vcc
	s_and_saveexec_b64 s[10:11], s[36:37]
	s_cbranch_execz .LBB63_16
; %bb.15:                               ;   in Loop: Header=BB63_3 Depth=1
	v_add_co_u32_e32 v63, vcc, v46, v20
	v_addc_co_u32_e32 v64, vcc, v47, v21, vcc
	global_load_dword v6, v[63:64], off
	v_add_co_u32_e32 v63, vcc, v48, v20
	v_addc_co_u32_e32 v64, vcc, v49, v21, vcc
	global_load_dword v14, v[63:64], off
.LBB63_16:                              ;   in Loop: Header=BB63_3 Depth=1
	s_or_b64 exec, exec, s[10:11]
	v_add_co_u32_e32 v63, vcc, 4, v22
	v_addc_co_u32_e32 v64, vcc, 0, v23, vcc
	v_cmp_gt_i64_e32 vcc, s[12:13], v[63:64]
	s_and_b64 s[36:37], s[2:3], vcc
	s_and_saveexec_b64 s[10:11], s[36:37]
	s_cbranch_execz .LBB63_18
; %bb.17:                               ;   in Loop: Header=BB63_3 Depth=1
	v_add_co_u32_e32 v63, vcc, v42, v20
	v_addc_co_u32_e32 v64, vcc, v43, v21, vcc
	global_load_dword v7, v[63:64], off
	v_add_co_u32_e32 v63, vcc, v44, v20
	v_addc_co_u32_e32 v64, vcc, v45, v21, vcc
	global_load_dword v15, v[63:64], off
.LBB63_18:                              ;   in Loop: Header=BB63_3 Depth=1
	s_or_b64 exec, exec, s[10:11]
	v_add_co_u32_e32 v63, vcc, 5, v22
	v_addc_co_u32_e32 v64, vcc, 0, v23, vcc
	v_cmp_gt_i64_e32 vcc, s[12:13], v[63:64]
	s_and_b64 s[36:37], s[2:3], vcc
	s_and_saveexec_b64 s[10:11], s[36:37]
	s_cbranch_execz .LBB63_20
; %bb.19:                               ;   in Loop: Header=BB63_3 Depth=1
	v_add_co_u32_e32 v63, vcc, v38, v20
	v_addc_co_u32_e32 v64, vcc, v39, v21, vcc
	global_load_dword v8, v[63:64], off
	v_add_co_u32_e32 v63, vcc, v40, v20
	v_addc_co_u32_e32 v64, vcc, v41, v21, vcc
	global_load_dword v16, v[63:64], off
.LBB63_20:                              ;   in Loop: Header=BB63_3 Depth=1
	s_or_b64 exec, exec, s[10:11]
	v_add_co_u32_e32 v63, vcc, 6, v22
	v_addc_co_u32_e32 v64, vcc, 0, v23, vcc
	v_cmp_gt_i64_e32 vcc, s[12:13], v[63:64]
	s_and_b64 s[36:37], s[2:3], vcc
	s_and_saveexec_b64 s[10:11], s[36:37]
	s_cbranch_execz .LBB63_22
; %bb.21:                               ;   in Loop: Header=BB63_3 Depth=1
	v_add_co_u32_e32 v63, vcc, v34, v20
	v_addc_co_u32_e32 v64, vcc, v35, v21, vcc
	global_load_dword v9, v[63:64], off
	v_add_co_u32_e32 v63, vcc, v36, v20
	v_addc_co_u32_e32 v64, vcc, v37, v21, vcc
	global_load_dword v17, v[63:64], off
.LBB63_22:                              ;   in Loop: Header=BB63_3 Depth=1
	s_or_b64 exec, exec, s[10:11]
	v_add_co_u32_e32 v63, vcc, 7, v22
	v_addc_co_u32_e32 v64, vcc, 0, v23, vcc
	v_cmp_gt_i64_e32 vcc, s[12:13], v[63:64]
	s_and_b64 s[36:37], s[2:3], vcc
	s_and_saveexec_b64 s[10:11], s[36:37]
	s_cbranch_execz .LBB63_24
; %bb.23:                               ;   in Loop: Header=BB63_3 Depth=1
	v_add_co_u32_e32 v63, vcc, v30, v20
	v_addc_co_u32_e32 v64, vcc, v31, v21, vcc
	global_load_dword v10, v[63:64], off
	v_add_co_u32_e32 v63, vcc, v32, v20
	v_addc_co_u32_e32 v64, vcc, v33, v21, vcc
	global_load_dword v18, v[63:64], off
.LBB63_24:                              ;   in Loop: Header=BB63_3 Depth=1
	s_or_b64 exec, exec, s[10:11]
	s_waitcnt vmcnt(1)
	ds_bpermute_b32 v57, v59, v62
	s_waitcnt vmcnt(0)
	ds_bpermute_b32 v63, v59, v61
	ds_bpermute_b32 v65, v59, v62 offset:4
	ds_bpermute_b32 v66, v59, v61 offset:4
	v_add_f32_e32 v64, v19, v3
	s_waitcnt lgkmcnt(3)
	v_sub_f32_e32 v11, v11, v57
	v_mul_f32_e32 v3, v3, v11
	s_waitcnt lgkmcnt(2)
	v_fma_f32 v57, v3, v63, v60
	s_waitcnt lgkmcnt(1)
	v_sub_f32_e32 v3, v12, v65
	ds_bpermute_b32 v11, v59, v62 offset:8
	v_mul_f32_e32 v3, v4, v3
	s_waitcnt lgkmcnt(1)
	v_fmac_f32_e32 v57, v3, v66
	ds_bpermute_b32 v3, v59, v61 offset:8
	ds_bpermute_b32 v12, v59, v62 offset:12
	s_waitcnt lgkmcnt(2)
	v_sub_f32_e32 v11, v13, v11
	v_mul_f32_e32 v11, v5, v11
	v_add_f32_e32 v4, v4, v64
	s_waitcnt lgkmcnt(1)
	v_fmac_f32_e32 v57, v11, v3
	ds_bpermute_b32 v3, v59, v61 offset:12
	v_add_f32_e32 v4, v5, v4
	s_waitcnt lgkmcnt(1)
	v_sub_f32_e32 v5, v14, v12
	ds_bpermute_b32 v11, v59, v62 offset:16
	v_mul_f32_e32 v5, v6, v5
	s_waitcnt lgkmcnt(1)
	v_fmac_f32_e32 v57, v5, v3
	ds_bpermute_b32 v3, v59, v61 offset:16
	v_add_f32_e32 v4, v6, v4
	s_waitcnt lgkmcnt(1)
	v_sub_f32_e32 v5, v15, v11
	ds_bpermute_b32 v6, v59, v62 offset:20
	v_mul_f32_e32 v5, v7, v5
	s_waitcnt lgkmcnt(1)
	v_fmac_f32_e32 v57, v5, v3
	ds_bpermute_b32 v3, v59, v61 offset:20
	ds_bpermute_b32 v63, v59, v61 offset:28
	s_waitcnt lgkmcnt(2)
	v_sub_f32_e32 v5, v16, v6
	ds_bpermute_b32 v6, v59, v62 offset:24
	v_mul_f32_e32 v5, v8, v5
	s_waitcnt lgkmcnt(2)
	v_fmac_f32_e32 v57, v5, v3
	ds_bpermute_b32 v5, v59, v61 offset:24
	ds_bpermute_b32 v3, v59, v62 offset:28
	v_add_f32_e32 v4, v7, v4
	s_waitcnt lgkmcnt(2)
	v_sub_f32_e32 v6, v17, v6
	v_add_f32_e32 v4, v8, v4
	v_mul_f32_e32 v6, v9, v6
	s_waitcnt lgkmcnt(1)
	v_fmac_f32_e32 v57, v6, v5
	v_add_f32_e32 v4, v9, v4
	s_mov_b64 s[10:11], 0
.LBB63_25:                              ;   in Loop: Header=BB63_3 Depth=1
	s_and_b64 vcc, exec, s[10:11]
	s_cbranch_vccz .LBB63_40
; %bb.26:                               ;   in Loop: Header=BB63_3 Depth=1
	s_load_dword s10, s[26:27], 0x0
	v_mov_b32_e32 v57, 0
	v_mov_b32_e32 v61, 0
	s_waitcnt lgkmcnt(0)
	s_cmp_lt_u32 s6, s10
	s_cselect_b32 s10, 12, 18
	s_add_u32 s10, s26, s10
	s_addc_u32 s11, s27, 0
	global_load_ushort v3, v2, s[10:11]
	s_waitcnt vmcnt(0)
	v_mad_u32_u24 v3, v1, v3, v0
	v_and_b32_e32 v3, 63, v3
	v_cmp_gt_u32_e32 vcc, 8, v3
	s_and_saveexec_b64 s[10:11], vcc
	s_cbranch_execz .LBB63_30
; %bb.27:                               ;   in Loop: Header=BB63_3 Depth=1
	v_add_co_u32_e32 v3, vcc, v22, v3
	v_addc_co_u32_e32 v4, vcc, 0, v23, vcc
	v_cmp_gt_i64_e32 vcc, s[12:13], v[3:4]
	v_mov_b32_e32 v61, 0
	v_mov_b32_e32 v57, 0
	s_and_saveexec_b64 s[36:37], vcc
	s_cbranch_execz .LBB63_29
; %bb.28:                               ;   in Loop: Header=BB63_3 Depth=1
	v_lshlrev_b64 v[3:4], 2, v[3:4]
	v_mov_b32_e32 v6, s23
	v_add_co_u32_e32 v5, vcc, s22, v3
	v_addc_co_u32_e32 v6, vcc, v6, v4, vcc
	v_mov_b32_e32 v7, s21
	v_add_co_u32_e32 v3, vcc, s20, v3
	v_addc_co_u32_e32 v4, vcc, v7, v4, vcc
	global_load_dword v61, v[3:4], off
	global_load_dword v57, v[5:6], off
.LBB63_29:                              ;   in Loop: Header=BB63_3 Depth=1
	s_or_b64 exec, exec, s[36:37]
.LBB63_30:                              ;   in Loop: Header=BB63_3 Depth=1
	s_or_b64 exec, exec, s[10:11]
	v_mov_b32_e32 v9, v2
	v_mov_b32_e32 v3, v2
	;; [unrolled: 1-line block ×23, first 2 shown]
	s_and_saveexec_b64 s[10:11], s[2:3]
	s_cbranch_execnz .LBB63_42
; %bb.31:                               ;   in Loop: Header=BB63_3 Depth=1
	s_or_b64 exec, exec, s[10:11]
	s_and_saveexec_b64 s[10:11], s[2:3]
	s_cbranch_execnz .LBB63_43
.LBB63_32:                              ;   in Loop: Header=BB63_3 Depth=1
	s_or_b64 exec, exec, s[10:11]
	s_and_saveexec_b64 s[10:11], s[2:3]
	s_cbranch_execnz .LBB63_44
.LBB63_33:                              ;   in Loop: Header=BB63_3 Depth=1
	s_or_b64 exec, exec, s[10:11]
	s_and_saveexec_b64 s[10:11], s[2:3]
	s_cbranch_execnz .LBB63_45
.LBB63_34:                              ;   in Loop: Header=BB63_3 Depth=1
	s_or_b64 exec, exec, s[10:11]
	s_and_saveexec_b64 s[10:11], s[2:3]
	s_cbranch_execnz .LBB63_46
.LBB63_35:                              ;   in Loop: Header=BB63_3 Depth=1
	s_or_b64 exec, exec, s[10:11]
	s_and_saveexec_b64 s[10:11], s[2:3]
	s_cbranch_execnz .LBB63_47
.LBB63_36:                              ;   in Loop: Header=BB63_3 Depth=1
	s_or_b64 exec, exec, s[10:11]
	s_and_saveexec_b64 s[10:11], s[2:3]
	s_cbranch_execnz .LBB63_48
.LBB63_37:                              ;   in Loop: Header=BB63_3 Depth=1
	s_or_b64 exec, exec, s[10:11]
	s_and_saveexec_b64 s[10:11], s[2:3]
	s_cbranch_execz .LBB63_39
.LBB63_38:                              ;   in Loop: Header=BB63_3 Depth=1
	v_add_co_u32_e32 v22, vcc, v30, v20
	v_addc_co_u32_e32 v23, vcc, v31, v21, vcc
	global_load_dword v10, v[22:23], off
	v_add_co_u32_e32 v22, vcc, v32, v20
	v_addc_co_u32_e32 v23, vcc, v33, v21, vcc
	global_load_dword v18, v[22:23], off
.LBB63_39:                              ;   in Loop: Header=BB63_3 Depth=1
	s_or_b64 exec, exec, s[10:11]
	s_waitcnt vmcnt(1)
	ds_bpermute_b32 v22, v59, v61
	s_waitcnt vmcnt(0)
	ds_bpermute_b32 v23, v59, v57
	ds_bpermute_b32 v62, v59, v61 offset:4
	ds_bpermute_b32 v63, v59, v57 offset:4
	v_add_f32_e32 v19, v19, v3
	s_waitcnt lgkmcnt(3)
	v_sub_f32_e32 v11, v11, v22
	v_mul_f32_e32 v3, v3, v11
	s_waitcnt lgkmcnt(2)
	v_fmac_f32_e32 v60, v3, v23
	s_waitcnt lgkmcnt(1)
	v_sub_f32_e32 v3, v12, v62
	ds_bpermute_b32 v11, v59, v61 offset:8
	v_mul_f32_e32 v3, v4, v3
	s_waitcnt lgkmcnt(1)
	v_fmac_f32_e32 v60, v3, v63
	ds_bpermute_b32 v3, v59, v57 offset:8
	ds_bpermute_b32 v12, v59, v61 offset:12
	s_waitcnt lgkmcnt(2)
	v_sub_f32_e32 v11, v13, v11
	v_mul_f32_e32 v11, v5, v11
	v_add_f32_e32 v4, v4, v19
	s_waitcnt lgkmcnt(1)
	v_fmac_f32_e32 v60, v11, v3
	ds_bpermute_b32 v3, v59, v57 offset:12
	v_add_f32_e32 v4, v5, v4
	s_waitcnt lgkmcnt(1)
	v_sub_f32_e32 v5, v14, v12
	ds_bpermute_b32 v11, v59, v61 offset:16
	v_mul_f32_e32 v5, v6, v5
	s_waitcnt lgkmcnt(1)
	v_fmac_f32_e32 v60, v5, v3
	ds_bpermute_b32 v3, v59, v57 offset:16
	v_add_f32_e32 v4, v6, v4
	s_waitcnt lgkmcnt(1)
	v_sub_f32_e32 v5, v15, v11
	ds_bpermute_b32 v6, v59, v61 offset:20
	v_mul_f32_e32 v5, v7, v5
	s_waitcnt lgkmcnt(1)
	v_fmac_f32_e32 v60, v5, v3
	ds_bpermute_b32 v3, v59, v57 offset:20
	ds_bpermute_b32 v63, v59, v57 offset:28
	s_waitcnt lgkmcnt(2)
	v_sub_f32_e32 v5, v16, v6
	ds_bpermute_b32 v6, v59, v61 offset:24
	v_mul_f32_e32 v5, v8, v5
	s_waitcnt lgkmcnt(2)
	v_fmac_f32_e32 v60, v5, v3
	ds_bpermute_b32 v5, v59, v57 offset:24
	ds_bpermute_b32 v3, v59, v61 offset:28
	s_waitcnt lgkmcnt(2)
	v_sub_f32_e32 v6, v17, v6
	v_add_f32_e32 v4, v7, v4
	v_mul_f32_e32 v6, v9, v6
	v_add_f32_e32 v4, v8, v4
	s_waitcnt lgkmcnt(1)
	v_fmac_f32_e32 v60, v6, v5
	v_add_f32_e32 v4, v9, v4
	v_mov_b32_e32 v57, v60
.LBB63_40:                              ;   in Loop: Header=BB63_3 Depth=1
	s_waitcnt lgkmcnt(0)
	v_sub_f32_e32 v3, v18, v3
	v_mul_f32_e32 v3, v10, v3
	v_fmac_f32_e32 v57, v3, v63
	v_mov_b32_e32 v3, s29
	v_add_co_u32_e32 v26, vcc, s28, v26
	v_addc_co_u32_e32 v27, vcc, v27, v3, vcc
	v_add_co_u32_e32 v28, vcc, s28, v28
	v_addc_co_u32_e32 v29, vcc, v29, v3, vcc
	;; [unrolled: 2-line block ×16, first 2 shown]
	v_add_f32_e32 v19, v4, v10
	s_add_u32 s34, s34, s9
	v_add_co_u32_e32 v24, vcc, s9, v24
	v_mov_b32_e32 v3, s12
	s_addc_u32 s35, s35, 0
	v_addc_co_u32_e32 v25, vcc, 0, v25, vcc
	v_mov_b32_e32 v4, s13
	v_cmp_lt_i64_e32 vcc, s[34:35], v[3:4]
	s_add_u32 s30, s30, s9
	s_addc_u32 s31, 0, s31
	s_cbranch_vccz .LBB63_50
; %bb.41:                               ;   in Loop: Header=BB63_3 Depth=1
	v_mov_b32_e32 v60, v57
	s_branch .LBB63_3
.LBB63_42:                              ;   in Loop: Header=BB63_3 Depth=1
	v_add_co_u32_e32 v3, vcc, v26, v20
	v_addc_co_u32_e32 v4, vcc, v27, v21, vcc
	global_load_dword v3, v[3:4], off
	v_add_co_u32_e32 v4, vcc, v28, v20
	v_addc_co_u32_e32 v5, vcc, v29, v21, vcc
	global_load_dword v11, v[4:5], off
	v_mov_b32_e32 v4, v2
	v_mov_b32_e32 v5, v2
	;; [unrolled: 1-line block ×14, first 2 shown]
	s_or_b64 exec, exec, s[10:11]
	s_and_saveexec_b64 s[10:11], s[2:3]
	s_cbranch_execz .LBB63_32
.LBB63_43:                              ;   in Loop: Header=BB63_3 Depth=1
	v_add_co_u32_e32 v22, vcc, v54, v20
	v_addc_co_u32_e32 v23, vcc, v55, v21, vcc
	global_load_dword v4, v[22:23], off
	v_add_co_u32_e32 v22, vcc, v56, v20
	v_addc_co_u32_e32 v23, vcc, v58, v21, vcc
	global_load_dword v12, v[22:23], off
	s_or_b64 exec, exec, s[10:11]
	s_and_saveexec_b64 s[10:11], s[2:3]
	s_cbranch_execz .LBB63_33
.LBB63_44:                              ;   in Loop: Header=BB63_3 Depth=1
	v_add_co_u32_e32 v22, vcc, v50, v20
	v_addc_co_u32_e32 v23, vcc, v51, v21, vcc
	global_load_dword v5, v[22:23], off
	v_add_co_u32_e32 v22, vcc, v52, v20
	v_addc_co_u32_e32 v23, vcc, v53, v21, vcc
	global_load_dword v13, v[22:23], off
	s_or_b64 exec, exec, s[10:11]
	s_and_saveexec_b64 s[10:11], s[2:3]
	s_cbranch_execz .LBB63_34
.LBB63_45:                              ;   in Loop: Header=BB63_3 Depth=1
	v_add_co_u32_e32 v22, vcc, v46, v20
	v_addc_co_u32_e32 v23, vcc, v47, v21, vcc
	global_load_dword v6, v[22:23], off
	v_add_co_u32_e32 v22, vcc, v48, v20
	v_addc_co_u32_e32 v23, vcc, v49, v21, vcc
	global_load_dword v14, v[22:23], off
	s_or_b64 exec, exec, s[10:11]
	s_and_saveexec_b64 s[10:11], s[2:3]
	s_cbranch_execz .LBB63_35
.LBB63_46:                              ;   in Loop: Header=BB63_3 Depth=1
	v_add_co_u32_e32 v22, vcc, v42, v20
	v_addc_co_u32_e32 v23, vcc, v43, v21, vcc
	global_load_dword v7, v[22:23], off
	v_add_co_u32_e32 v22, vcc, v44, v20
	v_addc_co_u32_e32 v23, vcc, v45, v21, vcc
	global_load_dword v15, v[22:23], off
	s_or_b64 exec, exec, s[10:11]
	s_and_saveexec_b64 s[10:11], s[2:3]
	s_cbranch_execz .LBB63_36
.LBB63_47:                              ;   in Loop: Header=BB63_3 Depth=1
	v_add_co_u32_e32 v22, vcc, v38, v20
	v_addc_co_u32_e32 v23, vcc, v39, v21, vcc
	global_load_dword v8, v[22:23], off
	v_add_co_u32_e32 v22, vcc, v40, v20
	v_addc_co_u32_e32 v23, vcc, v41, v21, vcc
	global_load_dword v16, v[22:23], off
	s_or_b64 exec, exec, s[10:11]
	s_and_saveexec_b64 s[10:11], s[2:3]
	s_cbranch_execz .LBB63_37
.LBB63_48:                              ;   in Loop: Header=BB63_3 Depth=1
	v_add_co_u32_e32 v22, vcc, v34, v20
	v_addc_co_u32_e32 v23, vcc, v35, v21, vcc
	global_load_dword v9, v[22:23], off
	v_add_co_u32_e32 v22, vcc, v36, v20
	v_addc_co_u32_e32 v23, vcc, v37, v21, vcc
	global_load_dword v17, v[22:23], off
	s_or_b64 exec, exec, s[10:11]
	s_and_saveexec_b64 s[10:11], s[2:3]
	s_cbranch_execnz .LBB63_38
	s_branch .LBB63_39
.LBB63_49:
                                        ; implicit-def: $vgpr19
                                        ; implicit-def: $vgpr57
	s_branch .LBB63_51
.LBB63_50:
	s_cbranch_execnz .LBB63_82
.LBB63_51:
	v_mov_b32_e32 v19, 0
	s_and_b64 vcc, exec, s[0:1]
	v_mov_b32_e32 v57, 0
	s_cbranch_vccnz .LBB63_82
; %bb.52:
	v_lshlrev_b32_e32 v52, 3, v1
	v_add_co_u32_e32 v8, vcc, s24, v52
	v_addc_co_u32_e64 v9, s[0:1], 0, 0, vcc
	v_mul_lo_u32 v4, s15, v8
	v_mul_lo_u32 v5, s14, v9
	v_mad_u64_u32 v[2:3], s[0:1], s14, v8, 0
	v_mov_b32_e32 v6, s17
	s_add_u32 s2, s4, 64
	v_add3_u32 v3, v3, v5, v4
	v_lshlrev_b64 v[4:5], 2, v[2:3]
	s_addc_u32 s3, s5, 0
	v_add_co_u32_e32 v53, vcc, s16, v4
	v_addc_co_u32_e32 v54, vcc, v6, v5, vcc
	v_mov_b32_e32 v6, s19
	v_add_co_u32_e32 v55, vcc, s18, v4
	v_addc_co_u32_e32 v56, vcc, v6, v5, vcc
	v_lshlrev_b32_e32 v4, 5, v1
	s_lshl_b64 s[0:1], s[24:25], 2
	v_mov_b32_e32 v5, s1
	v_add_co_u32_e32 v10, vcc, s0, v4
	v_addc_co_u32_e32 v11, vcc, 0, v5, vcc
	v_add_co_u32_e32 v12, vcc, 4, v10
	v_addc_co_u32_e32 v6, vcc, 0, v11, vcc
	v_mov_b32_e32 v4, s16
	v_mul_lo_u32 v14, s14, v6
	v_mov_b32_e32 v6, s18
	v_mov_b32_e32 v5, s17
	;; [unrolled: 1-line block ×3, first 2 shown]
	v_mad_u64_u32 v[20:21], s[0:1], s14, v12, v[4:5]
	v_mul_lo_u32 v15, s15, v12
	v_mad_u64_u32 v[22:23], s[0:1], s14, v12, v[6:7]
	v_add_co_u32_e32 v12, vcc, 8, v10
	v_addc_co_u32_e32 v16, vcc, 0, v11, vcc
	v_mov_b32_e32 v13, s15
	v_add_co_u32_e32 v2, vcc, s14, v2
	v_addc_co_u32_e32 v3, vcc, v3, v13, vcc
	v_mul_lo_u32 v17, s15, v12
	v_mad_u64_u32 v[24:25], s[0:1], s14, v12, v[4:5]
	v_mad_u64_u32 v[26:27], s[0:1], s14, v12, v[6:7]
	v_add_co_u32_e32 v12, vcc, 12, v10
	v_addc_co_u32_e32 v13, vcc, 0, v11, vcc
	v_add3_u32 v21, v15, v21, v14
	v_add3_u32 v23, v15, v23, v14
	v_mul_lo_u32 v13, s14, v13
	v_mul_lo_u32 v14, s15, v12
	v_mad_u64_u32 v[28:29], s[0:1], s14, v12, v[4:5]
	v_mad_u64_u32 v[30:31], s[0:1], s14, v12, v[6:7]
	v_add_co_u32_e32 v12, vcc, 16, v10
	v_mul_lo_u32 v16, s14, v16
	v_addc_co_u32_e32 v15, vcc, 0, v11, vcc
	v_mul_lo_u32 v18, s15, v12
	v_mad_u64_u32 v[32:33], s[0:1], s14, v12, v[4:5]
	v_mad_u64_u32 v[34:35], s[0:1], s14, v12, v[6:7]
	v_add_co_u32_e32 v12, vcc, 20, v10
	v_add3_u32 v29, v14, v29, v13
	v_add3_u32 v31, v14, v31, v13
	v_addc_co_u32_e32 v13, vcc, 0, v11, vcc
	v_mul_lo_u32 v14, s15, v12
	v_mad_u64_u32 v[36:37], s[0:1], s14, v12, v[4:5]
	v_mad_u64_u32 v[38:39], s[0:1], s14, v12, v[6:7]
	v_add_co_u32_e32 v12, vcc, 24, v10
	v_add3_u32 v25, v17, v25, v16
	v_add3_u32 v27, v17, v27, v16
	v_addc_co_u32_e32 v16, vcc, 0, v11, vcc
	v_add_co_u32_e32 v10, vcc, 28, v10
	v_addc_co_u32_e32 v11, vcc, 0, v11, vcc
	v_mad_u64_u32 v[40:41], s[0:1], s14, v12, v[4:5]
	v_mad_u64_u32 v[44:45], s[0:1], s14, v10, v[4:5]
	v_add_co_u32_e32 v4, vcc, 7, v8
	v_addc_co_u32_e32 v5, vcc, 0, v9, vcc
	v_mad_u64_u32 v[42:43], s[0:1], s14, v12, v[6:7]
	v_mad_u64_u32 v[46:47], s[0:1], s14, v10, v[6:7]
	v_mul_lo_u32 v6, s15, v10
	v_mul_lo_u32 v7, s14, v5
	;; [unrolled: 1-line block ×3, first 2 shown]
	v_mad_u64_u32 v[4:5], s[0:1], s14, v4, 0
	v_mul_lo_u32 v11, s14, v11
	v_mul_lo_u32 v17, s15, v12
	v_add3_u32 v5, v5, v7, v10
	v_lshlrev_b64 v[4:5], 2, v[4:5]
	v_add3_u32 v45, v6, v45, v11
	v_add3_u32 v47, v6, v47, v11
	v_mov_b32_e32 v6, s17
	v_add_co_u32_e32 v58, vcc, s16, v4
	v_addc_co_u32_e32 v59, vcc, v6, v5, vcc
	v_add_co_u32_e32 v6, vcc, 6, v8
	v_addc_co_u32_e32 v7, vcc, 0, v9, vcc
	v_mul_lo_u32 v11, s14, v7
	v_mul_lo_u32 v12, s15, v6
	v_mad_u64_u32 v[6:7], s[0:1], s14, v6, 0
	v_mov_b32_e32 v10, s19
	v_add_co_u32_e32 v60, vcc, s18, v4
	v_add3_u32 v7, v7, v11, v12
	v_addc_co_u32_e32 v61, vcc, v10, v5, vcc
	v_lshlrev_b64 v[4:5], 2, v[6:7]
	v_mov_b32_e32 v6, s17
	v_add_co_u32_e32 v62, vcc, s16, v4
	v_addc_co_u32_e32 v63, vcc, v6, v5, vcc
	v_add_co_u32_e32 v6, vcc, 5, v8
	v_addc_co_u32_e32 v7, vcc, 0, v9, vcc
	v_mul_lo_u32 v11, s14, v7
	v_mul_lo_u32 v12, s15, v6
	v_mad_u64_u32 v[6:7], s[0:1], s14, v6, 0
	v_add_co_u32_e32 v64, vcc, s18, v4
	v_add3_u32 v7, v7, v11, v12
	v_addc_co_u32_e32 v65, vcc, v10, v5, vcc
	v_lshlrev_b64 v[4:5], 2, v[6:7]
	v_mov_b32_e32 v6, s17
	v_add_co_u32_e32 v66, vcc, s16, v4
	v_addc_co_u32_e32 v67, vcc, v6, v5, vcc
	v_add_co_u32_e32 v6, vcc, 4, v8
	v_addc_co_u32_e32 v7, vcc, 0, v9, vcc
	v_mul_lo_u32 v11, s14, v7
	v_mul_lo_u32 v12, s15, v6
	v_mad_u64_u32 v[6:7], s[0:1], s14, v6, 0
	;; [unrolled: 12-line block ×4, first 2 shown]
	v_add_co_u32_e32 v76, vcc, s18, v4
	v_add3_u32 v7, v7, v8, v9
	v_addc_co_u32_e32 v77, vcc, v10, v5, vcc
	v_lshlrev_b64 v[4:5], 2, v[6:7]
	v_mov_b32_e32 v6, s17
	v_add_co_u32_e32 v78, vcc, s16, v4
	v_addc_co_u32_e32 v79, vcc, v6, v5, vcc
	v_mov_b32_e32 v6, s19
	v_add_co_u32_e32 v80, vcc, s18, v4
	v_lshlrev_b64 v[2:3], 2, v[2:3]
	v_addc_co_u32_e32 v81, vcc, v6, v5, vcc
	s_load_dword s0, s[4:5], 0x44
	v_mov_b32_e32 v4, s17
	v_add_co_u32_e32 v82, vcc, s16, v2
	v_addc_co_u32_e32 v83, vcc, v4, v3, vcc
	v_mov_b32_e32 v4, s19
	v_add_co_u32_e32 v84, vcc, s18, v2
	v_mov_b32_e32 v2, 0
	v_mul_lo_u32 v15, s14, v15
	v_mul_lo_u32 v13, s14, v13
	v_mul_lo_u32 v16, s14, v16
	v_addc_co_u32_e32 v85, vcc, v4, v3, vcc
	v_add_u32_e32 v3, s7, v0
	v_mov_b32_e32 v4, v2
	s_waitcnt lgkmcnt(0)
	s_lshl_b32 s7, s0, 3
	v_lshlrev_b64 v[48:49], 2, v[3:4]
	v_mbcnt_lo_u32_b32 v3, -1, 0
	s_mul_i32 s0, s15, s7
	s_mul_hi_u32 s1, s14, s7
	v_mbcnt_hi_u32_b32 v3, -1, v3
	s_add_i32 s1, s1, s0
	s_mul_i32 s0, s14, s7
	v_lshlrev_b32_e32 v3, 2, v3
	v_add3_u32 v33, v18, v33, v15
	v_add3_u32 v35, v18, v35, v15
	;; [unrolled: 1-line block ×6, first 2 shown]
	s_lshl_b64 s[10:11], s[0:1], 2
	s_mov_b64 s[16:17], 7
	v_and_b32_e32 v86, 0x100, v3
	s_mov_b64 s[18:19], s[24:25]
	v_mov_b32_e32 v87, v2
	v_mov_b32_e32 v57, 0
	;; [unrolled: 1-line block ×3, first 2 shown]
	s_branch .LBB63_56
.LBB63_53:                              ;   in Loop: Header=BB63_56 Depth=1
	s_or_b64 exec, exec, s[26:27]
.LBB63_54:                              ;   in Loop: Header=BB63_56 Depth=1
	s_or_b64 exec, exec, s[0:1]
	v_add_co_u32_e32 v3, vcc, v53, v48
	v_addc_co_u32_e32 v4, vcc, v54, v49, vcc
	global_load_dword v9, v[3:4], off
	v_add_co_u32_e32 v3, vcc, v55, v48
	v_addc_co_u32_e32 v4, vcc, v56, v49, vcc
	global_load_dword v11, v[3:4], off
	;; [unrolled: 3-line block ×14, first 2 shown]
	v_add_co_u32_e32 v3, vcc, v44, v48
	v_addc_co_u32_e32 v4, vcc, v45, v49, vcc
	v_add_co_u32_e32 v7, vcc, v46, v48
	v_addc_co_u32_e32 v8, vcc, v47, v49, vcc
	global_load_dword v91, v[7:8], off
	global_load_dword v10, v[3:4], off
	s_waitcnt vmcnt(17)
	ds_bpermute_b32 v3, v86, v6
	s_waitcnt vmcnt(16)
	ds_bpermute_b32 v4, v86, v5
	ds_bpermute_b32 v7, v86, v6 offset:4
	ds_bpermute_b32 v8, v86, v6 offset:8
	s_waitcnt vmcnt(14) lgkmcnt(3)
	v_sub_f32_e32 v3, v11, v3
	v_mul_f32_e32 v3, v9, v3
	s_waitcnt lgkmcnt(2)
	v_fmac_f32_e32 v57, v3, v4
	ds_bpermute_b32 v3, v86, v5 offset:4
	v_add_f32_e32 v4, v19, v9
	s_waitcnt vmcnt(13)
	v_add_f32_e32 v4, v4, v12
	s_waitcnt vmcnt(12) lgkmcnt(2)
	v_sub_f32_e32 v7, v13, v7
	v_mul_f32_e32 v7, v12, v7
	s_waitcnt lgkmcnt(0)
	v_fmac_f32_e32 v57, v7, v3
	ds_bpermute_b32 v3, v86, v5 offset:8
	s_waitcnt vmcnt(11)
	v_add_f32_e32 v4, v4, v14
	s_waitcnt vmcnt(10)
	v_sub_f32_e32 v7, v15, v8
	ds_bpermute_b32 v8, v86, v6 offset:12
	v_mul_f32_e32 v7, v14, v7
	s_waitcnt lgkmcnt(1)
	v_fmac_f32_e32 v57, v7, v3
	ds_bpermute_b32 v3, v86, v5 offset:12
	s_waitcnt vmcnt(9)
	v_add_f32_e32 v4, v4, v16
	s_waitcnt vmcnt(8) lgkmcnt(1)
	v_sub_f32_e32 v7, v17, v8
	ds_bpermute_b32 v8, v86, v6 offset:16
	v_mul_f32_e32 v7, v16, v7
	s_waitcnt lgkmcnt(1)
	v_fmac_f32_e32 v57, v7, v3
	ds_bpermute_b32 v3, v86, v5 offset:16
	s_waitcnt vmcnt(7)
	v_add_f32_e32 v4, v4, v18
	s_waitcnt vmcnt(6) lgkmcnt(1)
	v_sub_f32_e32 v7, v50, v8
	ds_bpermute_b32 v8, v86, v6 offset:20
	v_mul_f32_e32 v7, v18, v7
	s_waitcnt lgkmcnt(1)
	v_fmac_f32_e32 v57, v7, v3
	ds_bpermute_b32 v3, v86, v5 offset:20
	s_waitcnt vmcnt(4) lgkmcnt(1)
	v_sub_f32_e32 v7, v88, v8
	ds_bpermute_b32 v8, v86, v6 offset:24
	v_mul_f32_e32 v7, v51, v7
	s_waitcnt lgkmcnt(1)
	v_fmac_f32_e32 v57, v7, v3
	v_add_f32_e32 v3, v4, v51
	ds_bpermute_b32 v4, v86, v5 offset:24
	ds_bpermute_b32 v6, v86, v6 offset:28
	ds_bpermute_b32 v5, v86, v5 offset:28
	s_waitcnt vmcnt(2) lgkmcnt(3)
	v_sub_f32_e32 v7, v90, v8
	v_mul_f32_e32 v7, v89, v7
	s_waitcnt lgkmcnt(2)
	v_fmac_f32_e32 v57, v7, v4
	v_add_f32_e32 v4, v3, v89
	s_waitcnt vmcnt(1) lgkmcnt(1)
	v_sub_f32_e32 v3, v91, v6
	s_waitcnt vmcnt(0)
	v_mul_f32_e32 v3, v10, v3
	s_waitcnt lgkmcnt(0)
	v_mul_f32_e32 v5, v3, v5
	v_mov_b32_e32 v3, v57
.LBB63_55:                              ;   in Loop: Header=BB63_56 Depth=1
	v_add_f32_e32 v57, v3, v5
	v_mov_b32_e32 v3, s11
	v_add_co_u32_e32 v53, vcc, s10, v53
	v_addc_co_u32_e32 v54, vcc, v54, v3, vcc
	v_add_co_u32_e32 v55, vcc, s10, v55
	v_addc_co_u32_e32 v56, vcc, v56, v3, vcc
	;; [unrolled: 2-line block ×30, first 2 shown]
	v_add_co_u32_e32 v84, vcc, s10, v84
	v_add_f32_e32 v19, v4, v10
	s_add_u32 s18, s18, s7
	v_addc_co_u32_e32 v85, vcc, v85, v3, vcc
	v_mov_b32_e32 v3, s12
	s_addc_u32 s19, s19, 0
	v_mov_b32_e32 v4, s13
	v_cmp_ge_i64_e32 vcc, s[18:19], v[3:4]
	s_add_u32 s16, s16, s7
	s_addc_u32 s17, 0, s17
	s_cbranch_vccnz .LBB63_82
.LBB63_56:                              ; =>This Inner Loop Header: Depth=1
	s_add_u32 s0, s24, s16
	v_mov_b32_e32 v3, s12
	s_addc_u32 s1, 0, s17
	v_mov_b32_e32 v4, s13
	v_cmp_ge_i64_e32 vcc, s[0:1], v[3:4]
	v_add_co_u32_e64 v50, s[0:1], s24, v52
	v_addc_co_u32_e64 v51, s[0:1], 0, v87, s[0:1]
	s_mov_b64 s[0:1], -1
	s_and_b64 vcc, exec, vcc
                                        ; implicit-def: $vgpr10
                                        ; implicit-def: $vgpr5
                                        ; implicit-def: $vgpr4
                                        ; implicit-def: $vgpr3
	s_cbranch_vccz .LBB63_78
; %bb.57:                               ;   in Loop: Header=BB63_56 Depth=1
	s_load_dword s0, s[2:3], 0xc
	v_mov_b32_e32 v88, 0
	v_mov_b32_e32 v89, 0
	s_waitcnt lgkmcnt(0)
	s_and_b32 s0, s0, 0xffff
	v_mad_u32_u24 v3, v1, s0, v0
	v_and_b32_e32 v3, 63, v3
	v_cmp_gt_u32_e32 vcc, 8, v3
	s_and_saveexec_b64 s[0:1], vcc
	s_cbranch_execz .LBB63_61
; %bb.58:                               ;   in Loop: Header=BB63_56 Depth=1
	v_add_co_u32_e32 v3, vcc, v50, v3
	v_addc_co_u32_e32 v4, vcc, 0, v51, vcc
	v_cmp_gt_i64_e32 vcc, s[12:13], v[3:4]
	v_mov_b32_e32 v89, 0
	v_mov_b32_e32 v88, 0
	s_and_saveexec_b64 s[26:27], vcc
	s_cbranch_execz .LBB63_60
; %bb.59:                               ;   in Loop: Header=BB63_56 Depth=1
	v_lshlrev_b64 v[3:4], 2, v[3:4]
	v_mov_b32_e32 v6, s23
	v_add_co_u32_e32 v5, vcc, s22, v3
	v_addc_co_u32_e32 v6, vcc, v6, v4, vcc
	v_mov_b32_e32 v7, s21
	v_add_co_u32_e32 v3, vcc, s20, v3
	v_addc_co_u32_e32 v4, vcc, v7, v4, vcc
	global_load_dword v89, v[3:4], off
	global_load_dword v88, v[5:6], off
.LBB63_60:                              ;   in Loop: Header=BB63_56 Depth=1
	s_or_b64 exec, exec, s[26:27]
.LBB63_61:                              ;   in Loop: Header=BB63_56 Depth=1
	s_or_b64 exec, exec, s[0:1]
	v_mov_b32_e32 v9, v2
	v_mov_b32_e32 v3, v2
	;; [unrolled: 1-line block ×8, first 2 shown]
	v_cmp_gt_i64_e32 vcc, s[12:13], v[50:51]
	v_mov_b32_e32 v17, v8
	v_mov_b32_e32 v16, v7
	;; [unrolled: 1-line block ×15, first 2 shown]
	s_and_saveexec_b64 s[0:1], vcc
	s_cbranch_execz .LBB63_63
; %bb.62:                               ;   in Loop: Header=BB63_56 Depth=1
	v_add_co_u32_e32 v3, vcc, v53, v48
	v_addc_co_u32_e32 v4, vcc, v54, v49, vcc
	global_load_dword v3, v[3:4], off
	v_add_co_u32_e32 v4, vcc, v55, v48
	v_addc_co_u32_e32 v5, vcc, v56, v49, vcc
	global_load_dword v11, v[4:5], off
	v_mov_b32_e32 v4, v2
	v_mov_b32_e32 v5, v2
	;; [unrolled: 1-line block ×14, first 2 shown]
.LBB63_63:                              ;   in Loop: Header=BB63_56 Depth=1
	s_or_b64 exec, exec, s[0:1]
	v_add_co_u32_e32 v90, vcc, 1, v50
	v_addc_co_u32_e32 v91, vcc, 0, v51, vcc
	v_cmp_gt_i64_e32 vcc, s[12:13], v[90:91]
	s_and_saveexec_b64 s[0:1], vcc
	s_cbranch_execz .LBB63_65
; %bb.64:                               ;   in Loop: Header=BB63_56 Depth=1
	v_add_co_u32_e32 v90, vcc, v82, v48
	v_addc_co_u32_e32 v91, vcc, v83, v49, vcc
	global_load_dword v4, v[90:91], off
	v_add_co_u32_e32 v90, vcc, v84, v48
	v_addc_co_u32_e32 v91, vcc, v85, v49, vcc
	global_load_dword v12, v[90:91], off
.LBB63_65:                              ;   in Loop: Header=BB63_56 Depth=1
	s_or_b64 exec, exec, s[0:1]
	v_add_co_u32_e32 v90, vcc, 2, v50
	v_addc_co_u32_e32 v91, vcc, 0, v51, vcc
	v_cmp_gt_i64_e32 vcc, s[12:13], v[90:91]
	s_and_saveexec_b64 s[0:1], vcc
	s_cbranch_execz .LBB63_67
; %bb.66:                               ;   in Loop: Header=BB63_56 Depth=1
	v_add_co_u32_e32 v90, vcc, v78, v48
	v_addc_co_u32_e32 v91, vcc, v79, v49, vcc
	global_load_dword v5, v[90:91], off
	v_add_co_u32_e32 v90, vcc, v80, v48
	v_addc_co_u32_e32 v91, vcc, v81, v49, vcc
	global_load_dword v13, v[90:91], off
.LBB63_67:                              ;   in Loop: Header=BB63_56 Depth=1
	;; [unrolled: 14-line block ×7, first 2 shown]
	s_or_b64 exec, exec, s[0:1]
	s_waitcnt vmcnt(1)
	ds_bpermute_b32 v90, v86, v89
	ds_bpermute_b32 v93, v86, v89 offset:4
	s_waitcnt vmcnt(0)
	ds_bpermute_b32 v91, v86, v88
	ds_bpermute_b32 v94, v86, v88 offset:4
	v_add_f32_e32 v92, v19, v3
	s_waitcnt lgkmcnt(3)
	v_sub_f32_e32 v11, v11, v90
	v_mul_f32_e32 v3, v3, v11
	s_waitcnt lgkmcnt(2)
	v_sub_f32_e32 v11, v12, v93
	ds_bpermute_b32 v12, v86, v89 offset:8
	s_waitcnt lgkmcnt(2)
	v_fma_f32 v3, v3, v91, v57
	v_mul_f32_e32 v11, v4, v11
	s_waitcnt lgkmcnt(1)
	v_fmac_f32_e32 v3, v11, v94
	ds_bpermute_b32 v11, v86, v88 offset:8
	s_waitcnt lgkmcnt(1)
	v_sub_f32_e32 v12, v13, v12
	ds_bpermute_b32 v13, v86, v89 offset:12
	v_mul_f32_e32 v12, v5, v12
	v_add_f32_e32 v4, v4, v92
	s_waitcnt lgkmcnt(1)
	v_fmac_f32_e32 v3, v12, v11
	ds_bpermute_b32 v11, v86, v88 offset:12
	v_add_f32_e32 v4, v5, v4
	s_waitcnt lgkmcnt(1)
	v_sub_f32_e32 v5, v14, v13
	ds_bpermute_b32 v12, v86, v89 offset:16
	v_mul_f32_e32 v5, v6, v5
	s_waitcnt lgkmcnt(1)
	v_fmac_f32_e32 v3, v5, v11
	ds_bpermute_b32 v5, v86, v88 offset:16
	v_add_f32_e32 v4, v6, v4
	s_waitcnt lgkmcnt(1)
	v_sub_f32_e32 v6, v15, v12
	ds_bpermute_b32 v11, v86, v89 offset:20
	v_mul_f32_e32 v6, v7, v6
	s_waitcnt lgkmcnt(1)
	v_fmac_f32_e32 v3, v6, v5
	ds_bpermute_b32 v5, v86, v88 offset:20
	v_add_f32_e32 v4, v7, v4
	ds_bpermute_b32 v7, v86, v89 offset:24
	s_waitcnt lgkmcnt(2)
	v_sub_f32_e32 v6, v16, v11
	v_mul_f32_e32 v6, v8, v6
	s_waitcnt lgkmcnt(1)
	v_fmac_f32_e32 v3, v6, v5
	ds_bpermute_b32 v5, v86, v88 offset:24
	s_waitcnt lgkmcnt(1)
	v_sub_f32_e32 v6, v17, v7
	ds_bpermute_b32 v7, v86, v89 offset:28
	v_add_f32_e32 v4, v8, v4
	ds_bpermute_b32 v8, v86, v88 offset:28
	v_mul_f32_e32 v6, v9, v6
	s_waitcnt lgkmcnt(2)
	v_fmac_f32_e32 v3, v6, v5
	s_waitcnt lgkmcnt(1)
	v_sub_f32_e32 v5, v18, v7
	v_mul_f32_e32 v5, v10, v5
	v_add_f32_e32 v4, v9, v4
	s_waitcnt lgkmcnt(0)
	v_mul_f32_e32 v5, v5, v8
	s_mov_b64 s[0:1], 0
.LBB63_78:                              ;   in Loop: Header=BB63_56 Depth=1
	s_and_b64 vcc, exec, s[0:1]
	s_cbranch_vccz .LBB63_55
; %bb.79:                               ;   in Loop: Header=BB63_56 Depth=1
	s_load_dword s0, s[2:3], 0x0
	v_mov_b32_e32 v5, 0
	v_mov_b32_e32 v6, 0
	s_waitcnt lgkmcnt(0)
	s_cmp_lt_u32 s6, s0
	s_cselect_b32 s0, 12, 18
	s_add_u32 s0, s2, s0
	s_addc_u32 s1, s3, 0
	global_load_ushort v3, v2, s[0:1]
	s_waitcnt vmcnt(0)
	v_mad_u32_u24 v3, v1, v3, v0
	v_and_b32_e32 v3, 63, v3
	v_cmp_gt_u32_e32 vcc, 8, v3
	s_and_saveexec_b64 s[0:1], vcc
	s_cbranch_execz .LBB63_54
; %bb.80:                               ;   in Loop: Header=BB63_56 Depth=1
	v_add_co_u32_e32 v3, vcc, v50, v3
	v_addc_co_u32_e32 v4, vcc, 0, v51, vcc
	v_cmp_gt_i64_e32 vcc, s[12:13], v[3:4]
	v_mov_b32_e32 v6, 0
	v_mov_b32_e32 v5, 0
	s_and_saveexec_b64 s[26:27], vcc
	s_cbranch_execz .LBB63_53
; %bb.81:                               ;   in Loop: Header=BB63_56 Depth=1
	v_lshlrev_b64 v[3:4], 2, v[3:4]
	v_mov_b32_e32 v5, s23
	v_add_co_u32_e32 v7, vcc, s22, v3
	v_addc_co_u32_e32 v8, vcc, v5, v4, vcc
	v_mov_b32_e32 v5, s21
	v_add_co_u32_e32 v3, vcc, s20, v3
	v_addc_co_u32_e32 v4, vcc, v5, v4, vcc
	global_load_dword v6, v[3:4], off
	global_load_dword v5, v[7:8], off
	s_branch .LBB63_53
.LBB63_82:
	s_mov_b32 s7, 0
	s_lshl_b64 s[0:1], s[6:7], 5
	v_or_b32_e32 v4, s0, v0
	v_mov_b32_e32 v5, s1
	v_cmp_gt_i64_e32 vcc, s[14:15], v[4:5]
	s_and_saveexec_b64 s[0:1], vcc
	s_cbranch_execz .LBB63_87
; %bb.83:
	s_load_dword s0, s[4:5], 0x4c
	v_mov_b32_e32 v2, 0
	v_mov_b32_e32 v0, s8
	s_waitcnt lgkmcnt(0)
	s_lshr_b32 s0, s0, 16
	v_mad_u64_u32 v[2:3], s[0:1], s0, v0, v[1:2]
	s_load_dwordx4 s[0:3], s[4:5], 0x30
	v_lshlrev_b64 v[0:1], 2, v[4:5]
	v_mul_lo_u32 v3, v3, s14
	v_mul_lo_u32 v6, v2, s15
	s_waitcnt lgkmcnt(0)
	s_cmp_eq_u64 s[0:1], 0
	s_cbranch_scc1 .LBB63_85
; %bb.84:
	v_mad_u64_u32 v[4:5], s[4:5], v2, s14, 0
	v_mov_b32_e32 v7, s1
	v_add3_u32 v5, v5, v6, v3
	v_lshlrev_b64 v[4:5], 2, v[4:5]
	v_add_co_u32_e32 v4, vcc, s0, v4
	v_addc_co_u32_e32 v5, vcc, v7, v5, vcc
	v_add_co_u32_e32 v4, vcc, v4, v0
	v_addc_co_u32_e32 v5, vcc, v5, v1, vcc
	global_store_dword v[4:5], v57, off
.LBB63_85:
	s_cmp_eq_u64 s[2:3], 0
	s_cbranch_scc1 .LBB63_87
; %bb.86:
	v_mad_u64_u32 v[4:5], s[0:1], v2, s14, 0
	v_mov_b32_e32 v7, s3
	v_add3_u32 v5, v5, v6, v3
	v_lshlrev_b64 v[2:3], 2, v[4:5]
	v_add_co_u32_e32 v2, vcc, s2, v2
	v_addc_co_u32_e32 v3, vcc, v7, v3, vcc
	v_add_co_u32_e32 v0, vcc, v2, v0
	v_addc_co_u32_e32 v1, vcc, v3, v1, vcc
	global_store_dword v[0:1], v19, off
.LBB63_87:
	s_endpgm
	.section	.rodata,"a",@progbits
	.p2align	6, 0x0
	.amdhsa_kernel _ZN2at6native12_GLOBAL__N_135GammaBetaBackwardCUDAKernelTemplateIffLj32ELj1ELj8ELb1ELb0ELb0EEEvllPKT_S5_PKT0_S8_PS3_S9_
		.amdhsa_group_segment_fixed_size 0
		.amdhsa_private_segment_fixed_size 0
		.amdhsa_kernarg_size 320
		.amdhsa_user_sgpr_count 6
		.amdhsa_user_sgpr_private_segment_buffer 1
		.amdhsa_user_sgpr_dispatch_ptr 0
		.amdhsa_user_sgpr_queue_ptr 0
		.amdhsa_user_sgpr_kernarg_segment_ptr 1
		.amdhsa_user_sgpr_dispatch_id 0
		.amdhsa_user_sgpr_flat_scratch_init 0
		.amdhsa_user_sgpr_private_segment_size 0
		.amdhsa_uses_dynamic_stack 0
		.amdhsa_system_sgpr_private_segment_wavefront_offset 0
		.amdhsa_system_sgpr_workgroup_id_x 1
		.amdhsa_system_sgpr_workgroup_id_y 1
		.amdhsa_system_sgpr_workgroup_id_z 0
		.amdhsa_system_sgpr_workgroup_info 0
		.amdhsa_system_vgpr_workitem_id 1
		.amdhsa_next_free_vgpr 95
		.amdhsa_next_free_sgpr 38
		.amdhsa_reserve_vcc 1
		.amdhsa_reserve_flat_scratch 0
		.amdhsa_float_round_mode_32 0
		.amdhsa_float_round_mode_16_64 0
		.amdhsa_float_denorm_mode_32 3
		.amdhsa_float_denorm_mode_16_64 3
		.amdhsa_dx10_clamp 1
		.amdhsa_ieee_mode 1
		.amdhsa_fp16_overflow 0
		.amdhsa_exception_fp_ieee_invalid_op 0
		.amdhsa_exception_fp_denorm_src 0
		.amdhsa_exception_fp_ieee_div_zero 0
		.amdhsa_exception_fp_ieee_overflow 0
		.amdhsa_exception_fp_ieee_underflow 0
		.amdhsa_exception_fp_ieee_inexact 0
		.amdhsa_exception_int_div_zero 0
	.end_amdhsa_kernel
	.section	.text._ZN2at6native12_GLOBAL__N_135GammaBetaBackwardCUDAKernelTemplateIffLj32ELj1ELj8ELb1ELb0ELb0EEEvllPKT_S5_PKT0_S8_PS3_S9_,"axG",@progbits,_ZN2at6native12_GLOBAL__N_135GammaBetaBackwardCUDAKernelTemplateIffLj32ELj1ELj8ELb1ELb0ELb0EEEvllPKT_S5_PKT0_S8_PS3_S9_,comdat
.Lfunc_end63:
	.size	_ZN2at6native12_GLOBAL__N_135GammaBetaBackwardCUDAKernelTemplateIffLj32ELj1ELj8ELb1ELb0ELb0EEEvllPKT_S5_PKT0_S8_PS3_S9_, .Lfunc_end63-_ZN2at6native12_GLOBAL__N_135GammaBetaBackwardCUDAKernelTemplateIffLj32ELj1ELj8ELb1ELb0ELb0EEEvllPKT_S5_PKT0_S8_PS3_S9_
                                        ; -- End function
	.set _ZN2at6native12_GLOBAL__N_135GammaBetaBackwardCUDAKernelTemplateIffLj32ELj1ELj8ELb1ELb0ELb0EEEvllPKT_S5_PKT0_S8_PS3_S9_.num_vgpr, 95
	.set _ZN2at6native12_GLOBAL__N_135GammaBetaBackwardCUDAKernelTemplateIffLj32ELj1ELj8ELb1ELb0ELb0EEEvllPKT_S5_PKT0_S8_PS3_S9_.num_agpr, 0
	.set _ZN2at6native12_GLOBAL__N_135GammaBetaBackwardCUDAKernelTemplateIffLj32ELj1ELj8ELb1ELb0ELb0EEEvllPKT_S5_PKT0_S8_PS3_S9_.numbered_sgpr, 38
	.set _ZN2at6native12_GLOBAL__N_135GammaBetaBackwardCUDAKernelTemplateIffLj32ELj1ELj8ELb1ELb0ELb0EEEvllPKT_S5_PKT0_S8_PS3_S9_.num_named_barrier, 0
	.set _ZN2at6native12_GLOBAL__N_135GammaBetaBackwardCUDAKernelTemplateIffLj32ELj1ELj8ELb1ELb0ELb0EEEvllPKT_S5_PKT0_S8_PS3_S9_.private_seg_size, 0
	.set _ZN2at6native12_GLOBAL__N_135GammaBetaBackwardCUDAKernelTemplateIffLj32ELj1ELj8ELb1ELb0ELb0EEEvllPKT_S5_PKT0_S8_PS3_S9_.uses_vcc, 1
	.set _ZN2at6native12_GLOBAL__N_135GammaBetaBackwardCUDAKernelTemplateIffLj32ELj1ELj8ELb1ELb0ELb0EEEvllPKT_S5_PKT0_S8_PS3_S9_.uses_flat_scratch, 0
	.set _ZN2at6native12_GLOBAL__N_135GammaBetaBackwardCUDAKernelTemplateIffLj32ELj1ELj8ELb1ELb0ELb0EEEvllPKT_S5_PKT0_S8_PS3_S9_.has_dyn_sized_stack, 0
	.set _ZN2at6native12_GLOBAL__N_135GammaBetaBackwardCUDAKernelTemplateIffLj32ELj1ELj8ELb1ELb0ELb0EEEvllPKT_S5_PKT0_S8_PS3_S9_.has_recursion, 0
	.set _ZN2at6native12_GLOBAL__N_135GammaBetaBackwardCUDAKernelTemplateIffLj32ELj1ELj8ELb1ELb0ELb0EEEvllPKT_S5_PKT0_S8_PS3_S9_.has_indirect_call, 0
	.section	.AMDGPU.csdata,"",@progbits
; Kernel info:
; codeLenInByte = 6628
; TotalNumSgprs: 42
; NumVgprs: 95
; ScratchSize: 0
; MemoryBound: 0
; FloatMode: 240
; IeeeMode: 1
; LDSByteSize: 0 bytes/workgroup (compile time only)
; SGPRBlocks: 5
; VGPRBlocks: 23
; NumSGPRsForWavesPerEU: 42
; NumVGPRsForWavesPerEU: 95
; Occupancy: 2
; WaveLimiterHint : 0
; COMPUTE_PGM_RSRC2:SCRATCH_EN: 0
; COMPUTE_PGM_RSRC2:USER_SGPR: 6
; COMPUTE_PGM_RSRC2:TRAP_HANDLER: 0
; COMPUTE_PGM_RSRC2:TGID_X_EN: 1
; COMPUTE_PGM_RSRC2:TGID_Y_EN: 1
; COMPUTE_PGM_RSRC2:TGID_Z_EN: 0
; COMPUTE_PGM_RSRC2:TIDIG_COMP_CNT: 1
	.section	.text._ZN2at6native12_GLOBAL__N_135GammaBetaBackwardCUDAKernelTemplateIffLj32ELj8ELj64ELb0ELb1ELb0EEEvllPKT_S5_PKT0_S8_PS3_S9_,"axG",@progbits,_ZN2at6native12_GLOBAL__N_135GammaBetaBackwardCUDAKernelTemplateIffLj32ELj8ELj64ELb0ELb1ELb0EEEvllPKT_S5_PKT0_S8_PS3_S9_,comdat
	.globl	_ZN2at6native12_GLOBAL__N_135GammaBetaBackwardCUDAKernelTemplateIffLj32ELj8ELj64ELb0ELb1ELb0EEEvllPKT_S5_PKT0_S8_PS3_S9_ ; -- Begin function _ZN2at6native12_GLOBAL__N_135GammaBetaBackwardCUDAKernelTemplateIffLj32ELj8ELj64ELb0ELb1ELb0EEEvllPKT_S5_PKT0_S8_PS3_S9_
	.p2align	8
	.type	_ZN2at6native12_GLOBAL__N_135GammaBetaBackwardCUDAKernelTemplateIffLj32ELj8ELj64ELb0ELb1ELb0EEEvllPKT_S5_PKT0_S8_PS3_S9_,@function
_ZN2at6native12_GLOBAL__N_135GammaBetaBackwardCUDAKernelTemplateIffLj32ELj8ELj64ELb0ELb1ELb0EEEvllPKT_S5_PKT0_S8_PS3_S9_: ; @_ZN2at6native12_GLOBAL__N_135GammaBetaBackwardCUDAKernelTemplateIffLj32ELj8ELj64ELb0ELb1ELb0EEEvllPKT_S5_PKT0_S8_PS3_S9_
; %bb.0:
	s_load_dwordx4 s[20:23], s[4:5], 0x0
	s_lshl_b32 s24, s7, 6
	s_mov_b32 s25, 0
	v_mov_b32_e32 v2, s24
	v_mov_b32_e32 v3, s25
	s_waitcnt lgkmcnt(0)
	v_cmp_gt_i64_e32 vcc, s[20:21], v[2:3]
	s_cbranch_vccnz .LBB64_2
; %bb.1:
	s_mov_b64 s[0:1], 0
	s_branch .LBB64_3
.LBB64_2:
	s_mov_b64 s[0:1], -1
.LBB64_3:
	s_load_dwordx4 s[16:19], s[4:5], 0x30
	v_mov_b32_e32 v18, 0
	s_andn2_b64 vcc, exec, s[0:1]
	v_mbcnt_lo_u32_b32 v8, -1, 0
	v_mov_b32_e32 v3, 0
	s_cbranch_vccnz .LBB64_10
; %bb.4:
	s_load_dword s0, s[4:5], 0x4c
	s_load_dword s2, s[4:5], 0x44
	s_load_dwordx8 s[8:15], s[4:5], 0x10
	v_lshlrev_b32_e32 v4, 3, v1
	v_mbcnt_hi_u32_b32 v6, -1, v8
	v_add_co_u32_e32 v4, vcc, s24, v4
	v_lshlrev_b32_e32 v6, 2, v6
	s_waitcnt lgkmcnt(0)
	s_lshl_b32 s4, s2, 6
	v_addc_co_u32_e64 v17, s[2:3], 0, 0, vcc
	v_and_b32_e32 v9, 0x100, v6
	v_mul_lo_u32 v18, s23, v4
	v_mul_lo_u32 v19, s22, v17
	v_mad_u64_u32 v[6:7], s[2:3], s22, v4, 0
	s_and_b32 s0, s0, 0xffff
	v_mad_u32_u24 v2, v1, s0, v0
	v_and_b32_e32 v5, 63, v2
	v_mov_b32_e32 v3, 0
	v_lshl_add_u32 v2, s6, 5, v0
	v_add_co_u32_e32 v4, vcc, v4, v5
	v_add3_u32 v7, v7, v19, v18
	v_cmp_gt_u32_e64 s[0:1], 8, v5
	v_addc_co_u32_e32 v5, vcc, 0, v17, vcc
	v_lshlrev_b64 v[6:7], 2, v[6:7]
	v_lshlrev_b64 v[17:18], 2, v[2:3]
	s_mul_i32 s2, s23, s4
	v_add_co_u32_e32 v2, vcc, v6, v17
	s_mul_hi_u32 s3, s22, s4
	s_mov_b32 s5, 0
	v_addc_co_u32_e32 v17, vcc, v7, v18, vcc
	v_lshlrev_b64 v[6:7], 2, v[4:5]
	s_add_i32 s3, s3, s2
	s_mul_i32 s2, s22, s4
	v_or_b32_e32 v10, 4, v9
	v_or_b32_e32 v11, 8, v9
	;; [unrolled: 1-line block ×7, first 2 shown]
	s_lshl_b64 s[26:27], s[4:5], 2
	s_lshl_b64 s[28:29], s[2:3], 2
	;; [unrolled: 1-line block ×3, first 2 shown]
	v_mov_b32_e32 v18, v3
	s_branch .LBB64_7
.LBB64_5:                               ;   in Loop: Header=BB64_7 Depth=1
	s_or_b64 exec, exec, s[30:31]
.LBB64_6:                               ;   in Loop: Header=BB64_7 Depth=1
	s_or_b64 exec, exec, s[2:3]
	v_mov_b32_e32 v22, s9
	v_add_co_u32_e32 v21, vcc, s8, v2
	v_addc_co_u32_e32 v22, vcc, v22, v17, vcc
	v_mov_b32_e32 v24, s11
	v_add_co_u32_e32 v23, vcc, s10, v2
	v_addc_co_u32_e32 v24, vcc, v24, v17, vcc
	global_load_dword v28, v[23:24], off
	global_load_dword v29, v[21:22], off
	v_mov_b32_e32 v27, s23
	v_add_co_u32_e32 v25, vcc, s22, v23
	v_addc_co_u32_e32 v26, vcc, v24, v27, vcc
	v_add_co_u32_e32 v23, vcc, s22, v21
	s_waitcnt vmcnt(3)
	ds_bpermute_b32 v21, v9, v20
	v_addc_co_u32_e32 v24, vcc, v22, v27, vcc
	s_waitcnt vmcnt(2)
	ds_bpermute_b32 v22, v9, v19
	global_load_dword v30, v[23:24], off
	s_add_u32 s24, s24, s4
	s_addc_u32 s25, s25, 0
	v_add_co_u32_e64 v2, s[2:3], s28, v2
	s_waitcnt vmcnt(2) lgkmcnt(1)
	v_sub_f32_e32 v21, v28, v21
	global_load_dword v28, v[25:26], off
	s_waitcnt vmcnt(2)
	v_mul_f32_e32 v21, v29, v21
	s_waitcnt lgkmcnt(0)
	v_fmac_f32_e32 v3, v21, v22
	v_add_co_u32_e32 v21, vcc, s22, v25
	v_addc_co_u32_e32 v22, vcc, v26, v27, vcc
	v_add_co_u32_e32 v25, vcc, s22, v23
	ds_bpermute_b32 v23, v10, v20
	v_addc_co_u32_e32 v26, vcc, v24, v27, vcc
	ds_bpermute_b32 v24, v10, v19
	global_load_dword v31, v[25:26], off
	v_add_f32_e32 v18, v18, v29
	s_waitcnt vmcnt(2)
	v_add_f32_e32 v18, v18, v30
	s_waitcnt vmcnt(1) lgkmcnt(1)
	v_sub_f32_e32 v23, v28, v23
	global_load_dword v28, v[21:22], off
	v_mul_f32_e32 v23, v30, v23
	s_waitcnt lgkmcnt(0)
	v_fmac_f32_e32 v3, v23, v24
	v_add_co_u32_e32 v23, vcc, s22, v21
	v_addc_co_u32_e32 v24, vcc, v22, v27, vcc
	v_add_co_u32_e32 v21, vcc, s22, v25
	ds_bpermute_b32 v25, v11, v20
	v_addc_co_u32_e32 v22, vcc, v26, v27, vcc
	ds_bpermute_b32 v26, v11, v19
	global_load_dword v32, v[21:22], off
	s_waitcnt vmcnt(2)
	v_add_f32_e32 v18, v18, v31
	s_waitcnt vmcnt(1) lgkmcnt(1)
	v_sub_f32_e32 v25, v28, v25
	global_load_dword v28, v[23:24], off
	v_mul_f32_e32 v25, v31, v25
	s_waitcnt lgkmcnt(0)
	v_fmac_f32_e32 v3, v25, v26
	v_add_co_u32_e32 v25, vcc, s22, v23
	v_addc_co_u32_e32 v26, vcc, v24, v27, vcc
	v_add_co_u32_e32 v23, vcc, s22, v21
	ds_bpermute_b32 v21, v12, v20
	v_addc_co_u32_e32 v24, vcc, v22, v27, vcc
	ds_bpermute_b32 v22, v12, v19
	global_load_dword v33, v[23:24], off
	s_waitcnt vmcnt(2)
	v_add_f32_e32 v18, v18, v32
	s_waitcnt vmcnt(1) lgkmcnt(1)
	v_sub_f32_e32 v21, v28, v21
	global_load_dword v28, v[25:26], off
	v_mul_f32_e32 v21, v32, v21
	s_waitcnt lgkmcnt(0)
	v_fmac_f32_e32 v3, v21, v22
	v_add_co_u32_e32 v21, vcc, s22, v25
	v_addc_co_u32_e32 v22, vcc, v26, v27, vcc
	v_add_co_u32_e32 v25, vcc, s22, v23
	ds_bpermute_b32 v23, v13, v20
	v_addc_co_u32_e32 v26, vcc, v24, v27, vcc
	global_load_dword v34, v[25:26], off
	ds_bpermute_b32 v24, v13, v19
	s_waitcnt vmcnt(2)
	v_add_f32_e32 v18, v18, v33
	s_waitcnt vmcnt(1) lgkmcnt(1)
	v_sub_f32_e32 v23, v28, v23
	global_load_dword v28, v[21:22], off
	v_mul_f32_e32 v23, v33, v23
	s_waitcnt lgkmcnt(0)
	v_fmac_f32_e32 v3, v23, v24
	v_add_co_u32_e32 v23, vcc, s22, v21
	v_addc_co_u32_e32 v24, vcc, v22, v27, vcc
	v_add_co_u32_e32 v21, vcc, s22, v25
	ds_bpermute_b32 v25, v14, v20
	v_addc_co_u32_e32 v22, vcc, v26, v27, vcc
	ds_bpermute_b32 v26, v14, v19
	s_waitcnt vmcnt(1)
	v_add_f32_e32 v18, v18, v34
	s_waitcnt vmcnt(0) lgkmcnt(1)
	v_sub_f32_e32 v25, v28, v25
	v_mul_f32_e32 v25, v34, v25
	s_waitcnt lgkmcnt(0)
	v_fmac_f32_e32 v3, v25, v26
	v_add_co_u32_e32 v25, vcc, s22, v23
	v_addc_co_u32_e32 v26, vcc, v24, v27, vcc
	global_load_dword v28, v[23:24], off
	v_add_co_u32_e32 v23, vcc, s22, v21
	global_load_dword v21, v[21:22], off
	v_addc_co_u32_e32 v24, vcc, v22, v27, vcc
	ds_bpermute_b32 v22, v15, v20
	ds_bpermute_b32 v27, v15, v19
	;; [unrolled: 1-line block ×4, first 2 shown]
	v_add_co_u32_e32 v6, vcc, s26, v6
	s_waitcnt vmcnt(1) lgkmcnt(3)
	v_sub_f32_e32 v22, v28, v22
	s_waitcnt vmcnt(0)
	v_mul_f32_e32 v22, v21, v22
	s_waitcnt lgkmcnt(2)
	v_fmac_f32_e32 v3, v22, v27
	global_load_dword v22, v[25:26], off
	global_load_dword v27, v[23:24], off
	v_add_f32_e32 v18, v18, v21
	v_mov_b32_e32 v21, s29
	v_addc_co_u32_e64 v17, s[2:3], v17, v21, s[2:3]
	s_waitcnt vmcnt(1) lgkmcnt(1)
	v_sub_f32_e32 v20, v22, v20
	s_waitcnt vmcnt(0)
	v_mul_f32_e32 v20, v27, v20
	s_waitcnt lgkmcnt(0)
	v_fmac_f32_e32 v3, v20, v19
	v_mov_b32_e32 v19, s27
	v_addc_co_u32_e32 v7, vcc, v7, v19, vcc
	v_add_co_u32_e32 v4, vcc, s4, v4
	v_mov_b32_e32 v19, s20
	v_addc_co_u32_e32 v5, vcc, 0, v5, vcc
	v_mov_b32_e32 v20, s21
	v_cmp_lt_i64_e32 vcc, s[24:25], v[19:20]
	v_add_f32_e32 v18, v18, v27
	s_cbranch_vccz .LBB64_10
.LBB64_7:                               ; =>This Inner Loop Header: Depth=1
	v_mov_b32_e32 v19, 0
	v_mov_b32_e32 v20, 0
	s_and_saveexec_b64 s[2:3], s[0:1]
	s_cbranch_execz .LBB64_6
; %bb.8:                                ;   in Loop: Header=BB64_7 Depth=1
	v_cmp_gt_i64_e32 vcc, s[20:21], v[4:5]
	v_mov_b32_e32 v20, 0
	v_mov_b32_e32 v19, 0
	s_and_saveexec_b64 s[30:31], vcc
	s_cbranch_execz .LBB64_5
; %bb.9:                                ;   in Loop: Header=BB64_7 Depth=1
	v_mov_b32_e32 v19, s15
	v_add_co_u32_e32 v21, vcc, s14, v6
	v_addc_co_u32_e32 v22, vcc, v19, v7, vcc
	v_mov_b32_e32 v19, s13
	v_add_co_u32_e32 v23, vcc, s12, v6
	v_addc_co_u32_e32 v24, vcc, v19, v7, vcc
	global_load_dword v20, v[23:24], off
	global_load_dword v19, v[21:22], off
	s_branch .LBB64_5
.LBB64_10:
	v_mad_u32_u24 v2, v1, 33, v0
	v_lshl_add_u32 v4, v2, 2, 0
	ds_write_b32 v4, v3
	ds_write_b32 v4, v18 offset:1056
	v_sub_u32_e32 v4, v2, v1
	s_movk_i32 s0, 0x800
	v_cmp_gt_u32_e32 vcc, s0, v4
	s_waitcnt lgkmcnt(0)
	s_barrier
	s_and_saveexec_b64 s[0:1], vcc
	s_cbranch_execz .LBB64_74
; %bb.11:
	v_and_b32_e32 v1, 63, v4
	v_lshrrev_b32_e32 v2, 6, v4
	v_cmp_gt_u32_e64 s[0:1], 8, v1
	v_mul_u32_u24_e32 v3, 33, v1
                                        ; implicit-def: $vgpr1
                                        ; implicit-def: $vgpr6
	s_and_saveexec_b64 s[2:3], s[0:1]
	s_cbranch_execz .LBB64_13
; %bb.12:
	v_add_u32_e32 v1, v2, v3
	v_lshl_add_u32 v1, v1, 2, 0
	ds_read_b32 v6, v1
	ds_read_b32 v1, v1 offset:1056
.LBB64_13:
	s_or_b64 exec, exec, s[2:3]
	v_mbcnt_hi_u32_b32 v7, -1, v8
	v_and_b32_e32 v5, 64, v7
	v_add_u32_e32 v8, 64, v5
	v_xor_b32_e32 v5, 4, v7
	v_cmp_lt_i32_e32 vcc, v5, v8
	v_cndmask_b32_e32 v5, v7, v5, vcc
	v_lshlrev_b32_e32 v5, 2, v5
	s_waitcnt lgkmcnt(1)
	ds_bpermute_b32 v9, v5, v6
	s_waitcnt lgkmcnt(1)
	ds_bpermute_b32 v10, v5, v1
	v_cmp_eq_u32_e64 s[2:3], 0, v0
	s_mov_b32 s7, 0
	s_lshl_b64 s[4:5], s[6:7], 5
	s_waitcnt lgkmcnt(1)
	v_add_f32_e32 v9, v6, v9
	v_xor_b32_e32 v6, 2, v7
	v_cmp_lt_i32_e32 vcc, v6, v8
	v_cndmask_b32_e32 v6, v7, v6, vcc
	v_lshlrev_b32_e32 v6, 2, v6
	s_waitcnt lgkmcnt(0)
	v_add_f32_e32 v1, v1, v10
	ds_bpermute_b32 v10, v6, v9
	ds_bpermute_b32 v11, v6, v1
	s_cmp_lg_u64 s[16:17], 0
	s_cselect_b64 s[8:9], -1, 0
	s_cmp_lg_u64 s[18:19], 0
	s_waitcnt lgkmcnt(1)
	v_add_f32_e32 v0, v9, v10
	v_xor_b32_e32 v9, 1, v7
	v_cmp_lt_i32_e32 vcc, v9, v8
	v_cndmask_b32_e32 v7, v7, v9, vcc
	s_waitcnt lgkmcnt(0)
	v_add_f32_e32 v1, v1, v11
	v_lshlrev_b32_e32 v7, 2, v7
	ds_bpermute_b32 v8, v7, v0
	ds_bpermute_b32 v9, v7, v1
	s_cselect_b64 s[6:7], -1, 0
	s_waitcnt lgkmcnt(1)
	v_add_f32_e32 v8, v0, v8
	s_waitcnt lgkmcnt(0)
	v_add_f32_e32 v9, v1, v9
	s_and_saveexec_b64 s[10:11], s[2:3]
	s_cbranch_execz .LBB64_18
; %bb.14:
	v_mov_b32_e32 v1, s5
	v_or_b32_e32 v0, s4, v2
	v_lshlrev_b64 v[0:1], 2, v[0:1]
	s_andn2_b64 vcc, exec, s[8:9]
	s_cbranch_vccnz .LBB64_16
; %bb.15:
	v_mov_b32_e32 v11, s17
	v_add_co_u32_e32 v10, vcc, s16, v0
	v_addc_co_u32_e32 v11, vcc, v11, v1, vcc
	global_store_dword v[10:11], v8, off
.LBB64_16:
	s_andn2_b64 vcc, exec, s[6:7]
	s_cbranch_vccnz .LBB64_18
; %bb.17:
	v_mov_b32_e32 v10, s19
	v_add_co_u32_e32 v0, vcc, s18, v0
	v_addc_co_u32_e32 v1, vcc, v10, v1, vcc
	global_store_dword v[0:1], v9, off
.LBB64_18:
	s_or_b64 exec, exec, s[10:11]
	s_movk_i32 s10, 0x700
	v_cmp_gt_u32_e32 vcc, s10, v4
	s_and_b64 exec, exec, vcc
	s_cbranch_execz .LBB64_74
; %bb.19:
	s_and_saveexec_b64 s[10:11], s[0:1]
	s_cbranch_execz .LBB64_21
; %bb.20:
	v_add_u32_e32 v0, v2, v3
	v_lshl_add_u32 v0, v0, 2, 0
	ds_read_b32 v8, v0 offset:16
	ds_read_b32 v9, v0 offset:1072
.LBB64_21:
	s_or_b64 exec, exec, s[10:11]
	s_waitcnt lgkmcnt(1)
	ds_bpermute_b32 v0, v5, v8
	s_waitcnt lgkmcnt(1)
	ds_bpermute_b32 v1, v5, v9
	s_waitcnt lgkmcnt(1)
	v_add_f32_e32 v0, v8, v0
	s_waitcnt lgkmcnt(0)
	v_add_f32_e32 v1, v9, v1
	ds_bpermute_b32 v8, v6, v0
	ds_bpermute_b32 v9, v6, v1
	s_waitcnt lgkmcnt(1)
	v_add_f32_e32 v0, v0, v8
	s_waitcnt lgkmcnt(0)
	v_add_f32_e32 v1, v1, v9
	ds_bpermute_b32 v8, v7, v0
	ds_bpermute_b32 v9, v7, v1
	s_waitcnt lgkmcnt(1)
	v_add_f32_e32 v0, v0, v8
	s_waitcnt lgkmcnt(0)
	v_add_f32_e32 v1, v1, v9
	s_and_saveexec_b64 s[10:11], s[2:3]
	s_cbranch_execz .LBB64_26
; %bb.22:
	s_andn2_b64 vcc, exec, s[8:9]
	s_cbranch_vccnz .LBB64_24
; %bb.23:
	v_mov_b32_e32 v9, s5
	v_add_co_u32_e32 v8, vcc, s4, v2
	v_addc_co_u32_e32 v9, vcc, 0, v9, vcc
	v_lshlrev_b64 v[8:9], 2, v[8:9]
	v_mov_b32_e32 v10, s17
	v_add_co_u32_e32 v8, vcc, s16, v8
	v_addc_co_u32_e32 v9, vcc, v10, v9, vcc
	global_store_dword v[8:9], v0, off offset:16
.LBB64_24:
	s_andn2_b64 vcc, exec, s[6:7]
	s_cbranch_vccnz .LBB64_26
; %bb.25:
	v_mov_b32_e32 v9, s5
	v_add_co_u32_e32 v8, vcc, s4, v2
	v_addc_co_u32_e32 v9, vcc, 0, v9, vcc
	v_lshlrev_b64 v[8:9], 2, v[8:9]
	v_mov_b32_e32 v10, s19
	v_add_co_u32_e32 v8, vcc, s18, v8
	v_addc_co_u32_e32 v9, vcc, v10, v9, vcc
	global_store_dword v[8:9], v1, off offset:16
.LBB64_26:
	s_or_b64 exec, exec, s[10:11]
	s_movk_i32 s10, 0x600
	v_cmp_gt_u32_e32 vcc, s10, v4
	s_and_b64 exec, exec, vcc
	s_cbranch_execz .LBB64_74
; %bb.27:
	s_and_saveexec_b64 s[10:11], s[0:1]
	s_cbranch_execz .LBB64_29
; %bb.28:
	v_add_u32_e32 v0, v2, v3
	v_lshl_add_u32 v1, v0, 2, 0
	ds_read_b32 v0, v1 offset:32
	ds_read_b32 v1, v1 offset:1088
.LBB64_29:
	s_or_b64 exec, exec, s[10:11]
	s_waitcnt lgkmcnt(1)
	ds_bpermute_b32 v8, v5, v0
	s_waitcnt lgkmcnt(1)
	ds_bpermute_b32 v9, v5, v1
	s_waitcnt lgkmcnt(1)
	v_add_f32_e32 v0, v0, v8
	s_waitcnt lgkmcnt(0)
	v_add_f32_e32 v1, v1, v9
	ds_bpermute_b32 v8, v6, v0
	ds_bpermute_b32 v9, v6, v1
	s_waitcnt lgkmcnt(1)
	v_add_f32_e32 v0, v0, v8
	s_waitcnt lgkmcnt(0)
	v_add_f32_e32 v1, v1, v9
	ds_bpermute_b32 v8, v7, v0
	ds_bpermute_b32 v9, v7, v1
	s_waitcnt lgkmcnt(1)
	v_add_f32_e32 v0, v0, v8
	s_waitcnt lgkmcnt(0)
	v_add_f32_e32 v1, v1, v9
	s_and_saveexec_b64 s[10:11], s[2:3]
	s_cbranch_execz .LBB64_34
; %bb.30:
	s_andn2_b64 vcc, exec, s[8:9]
	s_cbranch_vccnz .LBB64_32
; %bb.31:
	v_mov_b32_e32 v9, s5
	v_add_co_u32_e32 v8, vcc, s4, v2
	v_addc_co_u32_e32 v9, vcc, 0, v9, vcc
	v_lshlrev_b64 v[8:9], 2, v[8:9]
	v_mov_b32_e32 v10, s17
	v_add_co_u32_e32 v8, vcc, s16, v8
	v_addc_co_u32_e32 v9, vcc, v10, v9, vcc
	global_store_dword v[8:9], v0, off offset:32
.LBB64_32:
	s_andn2_b64 vcc, exec, s[6:7]
	s_cbranch_vccnz .LBB64_34
; %bb.33:
	v_mov_b32_e32 v9, s5
	v_add_co_u32_e32 v8, vcc, s4, v2
	v_addc_co_u32_e32 v9, vcc, 0, v9, vcc
	v_lshlrev_b64 v[8:9], 2, v[8:9]
	v_mov_b32_e32 v10, s19
	v_add_co_u32_e32 v8, vcc, s18, v8
	v_addc_co_u32_e32 v9, vcc, v10, v9, vcc
	global_store_dword v[8:9], v1, off offset:32
.LBB64_34:
	;; [unrolled: 62-line block ×6, first 2 shown]
	s_or_b64 exec, exec, s[10:11]
	s_movk_i32 s10, 0x100
	v_cmp_gt_u32_e32 vcc, s10, v4
	s_and_b64 exec, exec, vcc
	s_cbranch_execz .LBB64_74
; %bb.67:
	s_and_saveexec_b64 s[10:11], s[0:1]
	s_cbranch_execz .LBB64_69
; %bb.68:
	v_add_u32_e32 v0, v2, v3
	v_lshl_add_u32 v1, v0, 2, 0
	ds_read_b32 v0, v1 offset:112
	ds_read_b32 v1, v1 offset:1168
.LBB64_69:
	s_or_b64 exec, exec, s[10:11]
	s_waitcnt lgkmcnt(1)
	ds_bpermute_b32 v3, v5, v0
	s_waitcnt lgkmcnt(1)
	ds_bpermute_b32 v4, v5, v1
	s_waitcnt lgkmcnt(1)
	v_add_f32_e32 v0, v0, v3
	s_waitcnt lgkmcnt(0)
	v_add_f32_e32 v1, v1, v4
	ds_bpermute_b32 v3, v6, v0
	ds_bpermute_b32 v4, v6, v1
	s_waitcnt lgkmcnt(1)
	v_add_f32_e32 v3, v0, v3
	s_waitcnt lgkmcnt(0)
	v_add_f32_e32 v0, v1, v4
	ds_bpermute_b32 v4, v7, v3
	ds_bpermute_b32 v1, v7, v0
	s_and_b64 exec, exec, s[2:3]
	s_cbranch_execz .LBB64_74
; %bb.70:
	s_andn2_b64 vcc, exec, s[8:9]
	s_cbranch_vccnz .LBB64_72
; %bb.71:
	s_waitcnt lgkmcnt(1)
	v_add_f32_e32 v5, v3, v4
	v_mov_b32_e32 v4, s5
	v_add_co_u32_e32 v3, vcc, s4, v2
	v_addc_co_u32_e32 v4, vcc, 0, v4, vcc
	v_lshlrev_b64 v[3:4], 2, v[3:4]
	v_mov_b32_e32 v6, s17
	v_add_co_u32_e32 v3, vcc, s16, v3
	v_addc_co_u32_e32 v4, vcc, v6, v4, vcc
	global_store_dword v[3:4], v5, off offset:112
.LBB64_72:
	s_andn2_b64 vcc, exec, s[6:7]
	s_cbranch_vccnz .LBB64_74
; %bb.73:
	s_waitcnt lgkmcnt(0)
	v_add_f32_e32 v3, v0, v1
	v_mov_b32_e32 v1, s5
	v_add_co_u32_e32 v0, vcc, s4, v2
	v_addc_co_u32_e32 v1, vcc, 0, v1, vcc
	v_lshlrev_b64 v[0:1], 2, v[0:1]
	v_mov_b32_e32 v2, s19
	v_add_co_u32_e32 v0, vcc, s18, v0
	v_addc_co_u32_e32 v1, vcc, v2, v1, vcc
	global_store_dword v[0:1], v3, off offset:112
.LBB64_74:
	s_endpgm
	.section	.rodata,"a",@progbits
	.p2align	6, 0x0
	.amdhsa_kernel _ZN2at6native12_GLOBAL__N_135GammaBetaBackwardCUDAKernelTemplateIffLj32ELj8ELj64ELb0ELb1ELb0EEEvllPKT_S5_PKT0_S8_PS3_S9_
		.amdhsa_group_segment_fixed_size 0
		.amdhsa_private_segment_fixed_size 0
		.amdhsa_kernarg_size 320
		.amdhsa_user_sgpr_count 6
		.amdhsa_user_sgpr_private_segment_buffer 1
		.amdhsa_user_sgpr_dispatch_ptr 0
		.amdhsa_user_sgpr_queue_ptr 0
		.amdhsa_user_sgpr_kernarg_segment_ptr 1
		.amdhsa_user_sgpr_dispatch_id 0
		.amdhsa_user_sgpr_flat_scratch_init 0
		.amdhsa_user_sgpr_private_segment_size 0
		.amdhsa_uses_dynamic_stack 0
		.amdhsa_system_sgpr_private_segment_wavefront_offset 0
		.amdhsa_system_sgpr_workgroup_id_x 1
		.amdhsa_system_sgpr_workgroup_id_y 1
		.amdhsa_system_sgpr_workgroup_id_z 0
		.amdhsa_system_sgpr_workgroup_info 0
		.amdhsa_system_vgpr_workitem_id 1
		.amdhsa_next_free_vgpr 35
		.amdhsa_next_free_sgpr 32
		.amdhsa_reserve_vcc 1
		.amdhsa_reserve_flat_scratch 0
		.amdhsa_float_round_mode_32 0
		.amdhsa_float_round_mode_16_64 0
		.amdhsa_float_denorm_mode_32 3
		.amdhsa_float_denorm_mode_16_64 3
		.amdhsa_dx10_clamp 1
		.amdhsa_ieee_mode 1
		.amdhsa_fp16_overflow 0
		.amdhsa_exception_fp_ieee_invalid_op 0
		.amdhsa_exception_fp_denorm_src 0
		.amdhsa_exception_fp_ieee_div_zero 0
		.amdhsa_exception_fp_ieee_overflow 0
		.amdhsa_exception_fp_ieee_underflow 0
		.amdhsa_exception_fp_ieee_inexact 0
		.amdhsa_exception_int_div_zero 0
	.end_amdhsa_kernel
	.section	.text._ZN2at6native12_GLOBAL__N_135GammaBetaBackwardCUDAKernelTemplateIffLj32ELj8ELj64ELb0ELb1ELb0EEEvllPKT_S5_PKT0_S8_PS3_S9_,"axG",@progbits,_ZN2at6native12_GLOBAL__N_135GammaBetaBackwardCUDAKernelTemplateIffLj32ELj8ELj64ELb0ELb1ELb0EEEvllPKT_S5_PKT0_S8_PS3_S9_,comdat
.Lfunc_end64:
	.size	_ZN2at6native12_GLOBAL__N_135GammaBetaBackwardCUDAKernelTemplateIffLj32ELj8ELj64ELb0ELb1ELb0EEEvllPKT_S5_PKT0_S8_PS3_S9_, .Lfunc_end64-_ZN2at6native12_GLOBAL__N_135GammaBetaBackwardCUDAKernelTemplateIffLj32ELj8ELj64ELb0ELb1ELb0EEEvllPKT_S5_PKT0_S8_PS3_S9_
                                        ; -- End function
	.set _ZN2at6native12_GLOBAL__N_135GammaBetaBackwardCUDAKernelTemplateIffLj32ELj8ELj64ELb0ELb1ELb0EEEvllPKT_S5_PKT0_S8_PS3_S9_.num_vgpr, 35
	.set _ZN2at6native12_GLOBAL__N_135GammaBetaBackwardCUDAKernelTemplateIffLj32ELj8ELj64ELb0ELb1ELb0EEEvllPKT_S5_PKT0_S8_PS3_S9_.num_agpr, 0
	.set _ZN2at6native12_GLOBAL__N_135GammaBetaBackwardCUDAKernelTemplateIffLj32ELj8ELj64ELb0ELb1ELb0EEEvllPKT_S5_PKT0_S8_PS3_S9_.numbered_sgpr, 32
	.set _ZN2at6native12_GLOBAL__N_135GammaBetaBackwardCUDAKernelTemplateIffLj32ELj8ELj64ELb0ELb1ELb0EEEvllPKT_S5_PKT0_S8_PS3_S9_.num_named_barrier, 0
	.set _ZN2at6native12_GLOBAL__N_135GammaBetaBackwardCUDAKernelTemplateIffLj32ELj8ELj64ELb0ELb1ELb0EEEvllPKT_S5_PKT0_S8_PS3_S9_.private_seg_size, 0
	.set _ZN2at6native12_GLOBAL__N_135GammaBetaBackwardCUDAKernelTemplateIffLj32ELj8ELj64ELb0ELb1ELb0EEEvllPKT_S5_PKT0_S8_PS3_S9_.uses_vcc, 1
	.set _ZN2at6native12_GLOBAL__N_135GammaBetaBackwardCUDAKernelTemplateIffLj32ELj8ELj64ELb0ELb1ELb0EEEvllPKT_S5_PKT0_S8_PS3_S9_.uses_flat_scratch, 0
	.set _ZN2at6native12_GLOBAL__N_135GammaBetaBackwardCUDAKernelTemplateIffLj32ELj8ELj64ELb0ELb1ELb0EEEvllPKT_S5_PKT0_S8_PS3_S9_.has_dyn_sized_stack, 0
	.set _ZN2at6native12_GLOBAL__N_135GammaBetaBackwardCUDAKernelTemplateIffLj32ELj8ELj64ELb0ELb1ELb0EEEvllPKT_S5_PKT0_S8_PS3_S9_.has_recursion, 0
	.set _ZN2at6native12_GLOBAL__N_135GammaBetaBackwardCUDAKernelTemplateIffLj32ELj8ELj64ELb0ELb1ELb0EEEvllPKT_S5_PKT0_S8_PS3_S9_.has_indirect_call, 0
	.section	.AMDGPU.csdata,"",@progbits
; Kernel info:
; codeLenInByte = 3388
; TotalNumSgprs: 36
; NumVgprs: 35
; ScratchSize: 0
; MemoryBound: 0
; FloatMode: 240
; IeeeMode: 1
; LDSByteSize: 0 bytes/workgroup (compile time only)
; SGPRBlocks: 4
; VGPRBlocks: 8
; NumSGPRsForWavesPerEU: 36
; NumVGPRsForWavesPerEU: 35
; Occupancy: 7
; WaveLimiterHint : 0
; COMPUTE_PGM_RSRC2:SCRATCH_EN: 0
; COMPUTE_PGM_RSRC2:USER_SGPR: 6
; COMPUTE_PGM_RSRC2:TRAP_HANDLER: 0
; COMPUTE_PGM_RSRC2:TGID_X_EN: 1
; COMPUTE_PGM_RSRC2:TGID_Y_EN: 1
; COMPUTE_PGM_RSRC2:TGID_Z_EN: 0
; COMPUTE_PGM_RSRC2:TIDIG_COMP_CNT: 1
	.section	.text._ZN2at6native12_GLOBAL__N_135GammaBetaBackwardCUDAKernelTemplateIffLj32ELj8ELj64ELb0ELb0ELb0EEEvllPKT_S5_PKT0_S8_PS3_S9_,"axG",@progbits,_ZN2at6native12_GLOBAL__N_135GammaBetaBackwardCUDAKernelTemplateIffLj32ELj8ELj64ELb0ELb0ELb0EEEvllPKT_S5_PKT0_S8_PS3_S9_,comdat
	.globl	_ZN2at6native12_GLOBAL__N_135GammaBetaBackwardCUDAKernelTemplateIffLj32ELj8ELj64ELb0ELb0ELb0EEEvllPKT_S5_PKT0_S8_PS3_S9_ ; -- Begin function _ZN2at6native12_GLOBAL__N_135GammaBetaBackwardCUDAKernelTemplateIffLj32ELj8ELj64ELb0ELb0ELb0EEEvllPKT_S5_PKT0_S8_PS3_S9_
	.p2align	8
	.type	_ZN2at6native12_GLOBAL__N_135GammaBetaBackwardCUDAKernelTemplateIffLj32ELj8ELj64ELb0ELb0ELb0EEEvllPKT_S5_PKT0_S8_PS3_S9_,@function
_ZN2at6native12_GLOBAL__N_135GammaBetaBackwardCUDAKernelTemplateIffLj32ELj8ELj64ELb0ELb0ELb0EEEvllPKT_S5_PKT0_S8_PS3_S9_: ; @_ZN2at6native12_GLOBAL__N_135GammaBetaBackwardCUDAKernelTemplateIffLj32ELj8ELj64ELb0ELb0ELb0EEEvllPKT_S5_PKT0_S8_PS3_S9_
; %bb.0:
	s_load_dwordx8 s[12:19], s[4:5], 0x0
	s_load_dwordx4 s[20:23], s[4:5], 0x20
	s_lshl_b32 s10, s7, 6
	s_lshl_b32 s33, s6, 5
	s_mov_b32 s11, 0
	v_mov_b32_e32 v2, s10
	s_or_b32 s0, s33, 31
	v_mov_b32_e32 v3, s11
	v_mov_b32_e32 v18, s0
	;; [unrolled: 1-line block ×3, first 2 shown]
	s_waitcnt lgkmcnt(0)
	v_cmp_gt_i64_e64 s[0:1], s[12:13], v[2:3]
	v_cmp_le_i64_e32 vcc, s[14:15], v[18:19]
	v_cndmask_b32_e64 v2, 0, 1, s[0:1]
	v_cmp_ne_u32_e64 s[0:1], 1, v2
	s_cbranch_vccz .LBB65_49
; %bb.1:
	s_and_b64 vcc, exec, s[0:1]
	v_mov_b32_e32 v55, 0
	s_cbranch_vccnz .LBB65_50
; %bb.2:
	v_lshlrev_b32_e32 v22, 3, v1
	v_add_co_u32_e32 v9, vcc, s10, v22
	v_addc_co_u32_e64 v10, s[2:3], 0, 0, vcc
	v_mul_lo_u32 v7, s15, v9
	v_mul_lo_u32 v8, s14, v10
	v_mad_u64_u32 v[5:6], s[2:3], s14, v9, 0
	v_mov_b32_e32 v2, 0
	s_load_dword s7, s[4:5], 0x44
	v_add_u32_e32 v3, s33, v0
	v_mov_b32_e32 v4, v2
	v_add3_u32 v6, v6, v8, v7
	v_cmp_gt_i64_e64 s[2:3], s[14:15], v[3:4]
	v_lshlrev_b64 v[20:21], 2, v[3:4]
	v_lshlrev_b64 v[3:4], 2, v[5:6]
	s_add_u32 s24, s4, 64
	v_mov_b32_e32 v7, s17
	v_add_co_u32_e32 v23, vcc, s16, v3
	s_addc_u32 s25, s5, 0
	s_waitcnt lgkmcnt(0)
	s_lshl_b32 s7, s7, 6
	v_addc_co_u32_e32 v24, vcc, v7, v4, vcc
	s_mul_i32 s8, s15, s7
	s_mul_hi_u32 s9, s14, s7
	v_add_co_u32_e32 v7, vcc, 7, v9
	s_add_i32 s9, s9, s8
	s_mul_i32 s8, s14, s7
	v_addc_co_u32_e32 v8, vcc, 0, v10, vcc
	s_lshl_b64 s[26:27], s[8:9], 2
	v_mul_lo_u32 v12, s15, v7
	v_mul_lo_u32 v13, s14, v8
	v_mad_u64_u32 v[7:8], s[8:9], s14, v7, 0
	v_mov_b32_e32 v11, s19
	v_add_co_u32_e32 v25, vcc, s18, v3
	v_add3_u32 v8, v8, v13, v12
	v_addc_co_u32_e32 v26, vcc, v11, v4, vcc
	v_lshlrev_b64 v[3:4], 2, v[7:8]
	v_mov_b32_e32 v7, s17
	v_add_co_u32_e32 v27, vcc, s16, v3
	v_addc_co_u32_e32 v28, vcc, v7, v4, vcc
	v_add_co_u32_e32 v7, vcc, 6, v9
	v_addc_co_u32_e32 v8, vcc, 0, v10, vcc
	v_mul_lo_u32 v12, s15, v7
	v_mul_lo_u32 v13, s14, v8
	v_mad_u64_u32 v[7:8], s[8:9], s14, v7, 0
	v_add_co_u32_e32 v29, vcc, s18, v3
	v_add3_u32 v8, v8, v13, v12
	v_addc_co_u32_e32 v30, vcc, v11, v4, vcc
	v_lshlrev_b64 v[3:4], 2, v[7:8]
	v_mov_b32_e32 v7, s17
	v_add_co_u32_e32 v31, vcc, s16, v3
	v_addc_co_u32_e32 v32, vcc, v7, v4, vcc
	v_add_co_u32_e32 v7, vcc, 5, v9
	v_addc_co_u32_e32 v8, vcc, 0, v10, vcc
	v_mul_lo_u32 v12, s15, v7
	v_mul_lo_u32 v13, s14, v8
	v_mad_u64_u32 v[7:8], s[8:9], s14, v7, 0
	;; [unrolled: 12-line block ×5, first 2 shown]
	v_add_co_u32_e32 v45, vcc, s18, v3
	v_add3_u32 v8, v8, v10, v9
	v_addc_co_u32_e32 v46, vcc, v11, v4, vcc
	v_lshlrev_b64 v[3:4], 2, v[7:8]
	v_mov_b32_e32 v7, s17
	v_add_co_u32_e32 v47, vcc, s16, v3
	v_addc_co_u32_e32 v48, vcc, v7, v4, vcc
	v_mov_b32_e32 v7, s19
	v_add_co_u32_e32 v49, vcc, s18, v3
	v_addc_co_u32_e32 v50, vcc, v7, v4, vcc
	;; [unrolled: 3-line block ×3, first 2 shown]
	v_lshlrev_b64 v[3:4], 2, v[3:4]
	v_mov_b32_e32 v5, s17
	v_add_co_u32_e32 v51, vcc, s16, v3
	v_addc_co_u32_e32 v52, vcc, v5, v4, vcc
	v_add_co_u32_e32 v53, vcc, s18, v3
	v_mbcnt_lo_u32_b32 v3, -1, 0
	v_mbcnt_hi_u32_b32 v3, -1, v3
	v_mov_b32_e32 v5, s19
	s_add_u32 s28, s10, 63
	v_lshlrev_b32_e32 v3, 2, v3
	v_addc_co_u32_e32 v54, vcc, v5, v4, vcc
	s_addc_u32 s29, 0, 0
	v_and_b32_e32 v56, 0x100, v3
	v_mov_b32_e32 v57, 0
	v_mov_b32_e32 v19, 0
	s_mov_b64 s[30:31], s[10:11]
.LBB65_3:                               ; =>This Inner Loop Header: Depth=1
	v_mov_b32_e32 v3, s12
	v_mov_b32_e32 v4, s13
	v_cmp_ge_i64_e32 vcc, s[28:29], v[3:4]
	v_mov_b32_e32 v3, s29
	v_add_co_u32_e64 v58, s[8:9], s28, v22
	v_addc_co_u32_e64 v59, s[8:9], 0, v3, s[8:9]
	s_mov_b64 s[8:9], -1
	s_and_b64 vcc, exec, vcc
                                        ; implicit-def: $vgpr3_vgpr4_vgpr5_vgpr6_vgpr7_vgpr8_vgpr9_vgpr10
                                        ; implicit-def: $vgpr62
                                        ; implicit-def: $vgpr11_vgpr12_vgpr13_vgpr14_vgpr15_vgpr16_vgpr17_vgpr18
                                        ; implicit-def: $vgpr3
                                        ; implicit-def: $vgpr4
                                        ; implicit-def: $vgpr55
	s_cbranch_vccz .LBB65_25
; %bb.4:                                ;   in Loop: Header=BB65_3 Depth=1
	s_load_dword s8, s[24:25], 0xc
	v_mov_b32_e32 v60, 0
	v_mov_b32_e32 v61, 0
	s_waitcnt lgkmcnt(0)
	s_and_b32 s8, s8, 0xffff
	v_mad_u32_u24 v3, v1, s8, v0
	v_and_b32_e32 v3, 63, v3
	v_cmp_gt_u32_e32 vcc, 8, v3
	s_and_saveexec_b64 s[8:9], vcc
	s_cbranch_execz .LBB65_8
; %bb.5:                                ;   in Loop: Header=BB65_3 Depth=1
	v_add_co_u32_e32 v3, vcc, v58, v3
	v_addc_co_u32_e32 v4, vcc, 0, v59, vcc
	v_add_co_u32_e32 v3, vcc, 0xffffffc1, v3
	v_addc_co_u32_e32 v4, vcc, -1, v4, vcc
	v_cmp_gt_i64_e32 vcc, s[12:13], v[3:4]
	v_mov_b32_e32 v61, 0
	v_mov_b32_e32 v60, 0
	s_and_saveexec_b64 s[34:35], vcc
	s_cbranch_execz .LBB65_7
; %bb.6:                                ;   in Loop: Header=BB65_3 Depth=1
	v_lshlrev_b64 v[3:4], 2, v[3:4]
	v_mov_b32_e32 v6, s23
	v_add_co_u32_e32 v5, vcc, s22, v3
	v_addc_co_u32_e32 v6, vcc, v6, v4, vcc
	v_mov_b32_e32 v7, s21
	v_add_co_u32_e32 v3, vcc, s20, v3
	v_addc_co_u32_e32 v4, vcc, v7, v4, vcc
	global_load_dword v61, v[3:4], off
	global_load_dword v60, v[5:6], off
.LBB65_7:                               ;   in Loop: Header=BB65_3 Depth=1
	s_or_b64 exec, exec, s[34:35]
.LBB65_8:                               ;   in Loop: Header=BB65_3 Depth=1
	s_or_b64 exec, exec, s[8:9]
	v_add_co_u32_e32 v3, vcc, 0xffffffc1, v58
	v_addc_co_u32_e32 v4, vcc, -1, v59, vcc
	v_mov_b32_e32 v9, v2
	v_cmp_gt_i64_e32 vcc, s[12:13], v[3:4]
	v_mov_b32_e32 v3, v2
	v_mov_b32_e32 v4, v2
	;; [unrolled: 1-line block ×15, first 2 shown]
	s_and_b64 s[34:35], s[2:3], vcc
	v_mov_b32_e32 v9, v8
	v_mov_b32_e32 v8, v7
	;; [unrolled: 1-line block ×7, first 2 shown]
	s_and_saveexec_b64 s[8:9], s[34:35]
	s_cbranch_execz .LBB65_10
; %bb.9:                                ;   in Loop: Header=BB65_3 Depth=1
	v_add_co_u32_e32 v3, vcc, v23, v20
	v_addc_co_u32_e32 v4, vcc, v24, v21, vcc
	global_load_dword v3, v[3:4], off
	v_add_co_u32_e32 v4, vcc, v25, v20
	v_addc_co_u32_e32 v5, vcc, v26, v21, vcc
	global_load_dword v11, v[4:5], off
	v_mov_b32_e32 v4, v2
	v_mov_b32_e32 v5, v2
	;; [unrolled: 1-line block ×14, first 2 shown]
.LBB65_10:                              ;   in Loop: Header=BB65_3 Depth=1
	s_or_b64 exec, exec, s[8:9]
	v_add_co_u32_e32 v62, vcc, 0xffffffc2, v58
	v_addc_co_u32_e32 v63, vcc, -1, v59, vcc
	v_cmp_gt_i64_e32 vcc, s[12:13], v[62:63]
	s_and_b64 s[34:35], s[2:3], vcc
	s_and_saveexec_b64 s[8:9], s[34:35]
	s_cbranch_execz .LBB65_12
; %bb.11:                               ;   in Loop: Header=BB65_3 Depth=1
	v_add_co_u32_e32 v62, vcc, v51, v20
	v_addc_co_u32_e32 v63, vcc, v52, v21, vcc
	global_load_dword v4, v[62:63], off
	v_add_co_u32_e32 v62, vcc, v53, v20
	v_addc_co_u32_e32 v63, vcc, v54, v21, vcc
	global_load_dword v12, v[62:63], off
.LBB65_12:                              ;   in Loop: Header=BB65_3 Depth=1
	s_or_b64 exec, exec, s[8:9]
	v_add_co_u32_e32 v62, vcc, 0xffffffc3, v58
	v_addc_co_u32_e32 v63, vcc, -1, v59, vcc
	v_cmp_gt_i64_e32 vcc, s[12:13], v[62:63]
	s_and_b64 s[34:35], s[2:3], vcc
	s_and_saveexec_b64 s[8:9], s[34:35]
	s_cbranch_execz .LBB65_14
; %bb.13:                               ;   in Loop: Header=BB65_3 Depth=1
	v_add_co_u32_e32 v62, vcc, v47, v20
	v_addc_co_u32_e32 v63, vcc, v48, v21, vcc
	global_load_dword v5, v[62:63], off
	v_add_co_u32_e32 v62, vcc, v49, v20
	v_addc_co_u32_e32 v63, vcc, v50, v21, vcc
	global_load_dword v13, v[62:63], off
.LBB65_14:                              ;   in Loop: Header=BB65_3 Depth=1
	;; [unrolled: 15-line block ×7, first 2 shown]
	s_or_b64 exec, exec, s[8:9]
	s_waitcnt vmcnt(1)
	ds_bpermute_b32 v55, v56, v61
	s_waitcnt vmcnt(0)
	ds_bpermute_b32 v62, v56, v60
	ds_bpermute_b32 v64, v56, v61 offset:4
	ds_bpermute_b32 v65, v56, v60 offset:4
	v_add_f32_e32 v63, v19, v3
	s_waitcnt lgkmcnt(3)
	v_sub_f32_e32 v11, v11, v55
	v_mul_f32_e32 v3, v3, v11
	s_waitcnt lgkmcnt(2)
	v_fma_f32 v55, v3, v62, v57
	s_waitcnt lgkmcnt(1)
	v_sub_f32_e32 v3, v12, v64
	ds_bpermute_b32 v11, v56, v61 offset:8
	v_mul_f32_e32 v3, v4, v3
	s_waitcnt lgkmcnt(1)
	v_fmac_f32_e32 v55, v3, v65
	ds_bpermute_b32 v3, v56, v60 offset:8
	ds_bpermute_b32 v12, v56, v61 offset:12
	s_waitcnt lgkmcnt(2)
	v_sub_f32_e32 v11, v13, v11
	v_mul_f32_e32 v11, v5, v11
	v_add_f32_e32 v4, v4, v63
	s_waitcnt lgkmcnt(1)
	v_fmac_f32_e32 v55, v11, v3
	ds_bpermute_b32 v3, v56, v60 offset:12
	v_add_f32_e32 v4, v5, v4
	s_waitcnt lgkmcnt(1)
	v_sub_f32_e32 v5, v14, v12
	ds_bpermute_b32 v11, v56, v61 offset:16
	v_mul_f32_e32 v5, v6, v5
	s_waitcnt lgkmcnt(1)
	v_fmac_f32_e32 v55, v5, v3
	ds_bpermute_b32 v3, v56, v60 offset:16
	v_add_f32_e32 v4, v6, v4
	s_waitcnt lgkmcnt(1)
	v_sub_f32_e32 v5, v15, v11
	ds_bpermute_b32 v6, v56, v61 offset:20
	v_mul_f32_e32 v5, v7, v5
	s_waitcnt lgkmcnt(1)
	v_fmac_f32_e32 v55, v5, v3
	ds_bpermute_b32 v3, v56, v60 offset:20
	ds_bpermute_b32 v62, v56, v60 offset:28
	s_waitcnt lgkmcnt(2)
	v_sub_f32_e32 v5, v16, v6
	ds_bpermute_b32 v6, v56, v61 offset:24
	v_mul_f32_e32 v5, v8, v5
	s_waitcnt lgkmcnt(2)
	v_fmac_f32_e32 v55, v5, v3
	ds_bpermute_b32 v5, v56, v60 offset:24
	ds_bpermute_b32 v3, v56, v61 offset:28
	v_add_f32_e32 v4, v7, v4
	s_waitcnt lgkmcnt(2)
	v_sub_f32_e32 v6, v17, v6
	v_add_f32_e32 v4, v8, v4
	v_mul_f32_e32 v6, v9, v6
	s_waitcnt lgkmcnt(1)
	v_fmac_f32_e32 v55, v6, v5
	v_add_f32_e32 v4, v9, v4
	s_mov_b64 s[8:9], 0
.LBB65_25:                              ;   in Loop: Header=BB65_3 Depth=1
	s_and_b64 vcc, exec, s[8:9]
	s_cbranch_vccz .LBB65_40
; %bb.26:                               ;   in Loop: Header=BB65_3 Depth=1
	s_load_dword s8, s[24:25], 0x0
	v_mov_b32_e32 v55, 0
	v_mov_b32_e32 v60, 0
	s_waitcnt lgkmcnt(0)
	s_cmp_lt_u32 s6, s8
	s_cselect_b32 s8, 12, 18
	s_add_u32 s8, s24, s8
	s_addc_u32 s9, s25, 0
	global_load_ushort v3, v2, s[8:9]
	s_waitcnt vmcnt(0)
	v_mad_u32_u24 v3, v1, v3, v0
	v_and_b32_e32 v3, 63, v3
	v_cmp_gt_u32_e32 vcc, 8, v3
	s_and_saveexec_b64 s[8:9], vcc
	s_cbranch_execz .LBB65_30
; %bb.27:                               ;   in Loop: Header=BB65_3 Depth=1
	v_add_co_u32_e32 v3, vcc, v58, v3
	v_addc_co_u32_e32 v4, vcc, 0, v59, vcc
	v_add_co_u32_e32 v3, vcc, 0xffffffc1, v3
	v_addc_co_u32_e32 v4, vcc, -1, v4, vcc
	v_cmp_gt_i64_e32 vcc, s[12:13], v[3:4]
	v_mov_b32_e32 v60, 0
	v_mov_b32_e32 v55, 0
	s_and_saveexec_b64 s[34:35], vcc
	s_cbranch_execz .LBB65_29
; %bb.28:                               ;   in Loop: Header=BB65_3 Depth=1
	v_lshlrev_b64 v[3:4], 2, v[3:4]
	v_mov_b32_e32 v6, s23
	v_add_co_u32_e32 v5, vcc, s22, v3
	v_addc_co_u32_e32 v6, vcc, v6, v4, vcc
	v_mov_b32_e32 v7, s21
	v_add_co_u32_e32 v3, vcc, s20, v3
	v_addc_co_u32_e32 v4, vcc, v7, v4, vcc
	global_load_dword v60, v[3:4], off
	global_load_dword v55, v[5:6], off
.LBB65_29:                              ;   in Loop: Header=BB65_3 Depth=1
	s_or_b64 exec, exec, s[34:35]
.LBB65_30:                              ;   in Loop: Header=BB65_3 Depth=1
	s_or_b64 exec, exec, s[8:9]
	v_mov_b32_e32 v9, v2
	v_mov_b32_e32 v3, v2
	;; [unrolled: 1-line block ×23, first 2 shown]
	s_and_saveexec_b64 s[8:9], s[2:3]
	s_cbranch_execnz .LBB65_42
; %bb.31:                               ;   in Loop: Header=BB65_3 Depth=1
	s_or_b64 exec, exec, s[8:9]
	s_and_saveexec_b64 s[8:9], s[2:3]
	s_cbranch_execnz .LBB65_43
.LBB65_32:                              ;   in Loop: Header=BB65_3 Depth=1
	s_or_b64 exec, exec, s[8:9]
	s_and_saveexec_b64 s[8:9], s[2:3]
	s_cbranch_execnz .LBB65_44
.LBB65_33:                              ;   in Loop: Header=BB65_3 Depth=1
	s_or_b64 exec, exec, s[8:9]
	s_and_saveexec_b64 s[8:9], s[2:3]
	s_cbranch_execnz .LBB65_45
.LBB65_34:                              ;   in Loop: Header=BB65_3 Depth=1
	s_or_b64 exec, exec, s[8:9]
	s_and_saveexec_b64 s[8:9], s[2:3]
	s_cbranch_execnz .LBB65_46
.LBB65_35:                              ;   in Loop: Header=BB65_3 Depth=1
	s_or_b64 exec, exec, s[8:9]
	s_and_saveexec_b64 s[8:9], s[2:3]
	s_cbranch_execnz .LBB65_47
.LBB65_36:                              ;   in Loop: Header=BB65_3 Depth=1
	s_or_b64 exec, exec, s[8:9]
	s_and_saveexec_b64 s[8:9], s[2:3]
	s_cbranch_execnz .LBB65_48
.LBB65_37:                              ;   in Loop: Header=BB65_3 Depth=1
	s_or_b64 exec, exec, s[8:9]
	s_and_saveexec_b64 s[8:9], s[2:3]
	s_cbranch_execz .LBB65_39
.LBB65_38:                              ;   in Loop: Header=BB65_3 Depth=1
	v_add_co_u32_e32 v58, vcc, v27, v20
	v_addc_co_u32_e32 v59, vcc, v28, v21, vcc
	global_load_dword v10, v[58:59], off
	v_add_co_u32_e32 v58, vcc, v29, v20
	v_addc_co_u32_e32 v59, vcc, v30, v21, vcc
	global_load_dword v18, v[58:59], off
.LBB65_39:                              ;   in Loop: Header=BB65_3 Depth=1
	s_or_b64 exec, exec, s[8:9]
	s_waitcnt vmcnt(1)
	ds_bpermute_b32 v58, v56, v60
	s_waitcnt vmcnt(0)
	ds_bpermute_b32 v59, v56, v55
	ds_bpermute_b32 v61, v56, v60 offset:4
	ds_bpermute_b32 v62, v56, v55 offset:4
	v_add_f32_e32 v19, v19, v3
	s_waitcnt lgkmcnt(3)
	v_sub_f32_e32 v11, v11, v58
	v_mul_f32_e32 v3, v3, v11
	s_waitcnt lgkmcnt(2)
	v_fmac_f32_e32 v57, v3, v59
	s_waitcnt lgkmcnt(1)
	v_sub_f32_e32 v3, v12, v61
	ds_bpermute_b32 v11, v56, v60 offset:8
	v_mul_f32_e32 v3, v4, v3
	s_waitcnt lgkmcnt(1)
	v_fmac_f32_e32 v57, v3, v62
	ds_bpermute_b32 v3, v56, v55 offset:8
	ds_bpermute_b32 v12, v56, v60 offset:12
	s_waitcnt lgkmcnt(2)
	v_sub_f32_e32 v11, v13, v11
	v_mul_f32_e32 v11, v5, v11
	v_add_f32_e32 v4, v4, v19
	s_waitcnt lgkmcnt(1)
	v_fmac_f32_e32 v57, v11, v3
	ds_bpermute_b32 v3, v56, v55 offset:12
	v_add_f32_e32 v4, v5, v4
	s_waitcnt lgkmcnt(1)
	v_sub_f32_e32 v5, v14, v12
	ds_bpermute_b32 v11, v56, v60 offset:16
	v_mul_f32_e32 v5, v6, v5
	s_waitcnt lgkmcnt(1)
	v_fmac_f32_e32 v57, v5, v3
	ds_bpermute_b32 v3, v56, v55 offset:16
	v_add_f32_e32 v4, v6, v4
	s_waitcnt lgkmcnt(1)
	v_sub_f32_e32 v5, v15, v11
	ds_bpermute_b32 v6, v56, v60 offset:20
	v_mul_f32_e32 v5, v7, v5
	s_waitcnt lgkmcnt(1)
	v_fmac_f32_e32 v57, v5, v3
	ds_bpermute_b32 v3, v56, v55 offset:20
	ds_bpermute_b32 v62, v56, v55 offset:28
	s_waitcnt lgkmcnt(2)
	v_sub_f32_e32 v5, v16, v6
	ds_bpermute_b32 v6, v56, v60 offset:24
	v_mul_f32_e32 v5, v8, v5
	s_waitcnt lgkmcnt(2)
	v_fmac_f32_e32 v57, v5, v3
	ds_bpermute_b32 v5, v56, v55 offset:24
	ds_bpermute_b32 v3, v56, v60 offset:28
	s_waitcnt lgkmcnt(2)
	v_sub_f32_e32 v6, v17, v6
	v_add_f32_e32 v4, v7, v4
	v_mul_f32_e32 v6, v9, v6
	v_add_f32_e32 v4, v8, v4
	s_waitcnt lgkmcnt(1)
	v_fmac_f32_e32 v57, v6, v5
	v_add_f32_e32 v4, v9, v4
	v_mov_b32_e32 v55, v57
.LBB65_40:                              ;   in Loop: Header=BB65_3 Depth=1
	s_waitcnt lgkmcnt(0)
	v_sub_f32_e32 v3, v18, v3
	v_mul_f32_e32 v3, v10, v3
	v_fmac_f32_e32 v55, v3, v62
	v_mov_b32_e32 v3, s27
	v_add_co_u32_e32 v23, vcc, s26, v23
	v_addc_co_u32_e32 v24, vcc, v24, v3, vcc
	v_add_co_u32_e32 v25, vcc, s26, v25
	v_addc_co_u32_e32 v26, vcc, v26, v3, vcc
	;; [unrolled: 2-line block ×15, first 2 shown]
	v_add_co_u32_e32 v53, vcc, s26, v53
	v_add_f32_e32 v19, v4, v10
	s_add_u32 s30, s30, s7
	v_addc_co_u32_e32 v54, vcc, v54, v3, vcc
	v_mov_b32_e32 v3, s12
	s_addc_u32 s31, s31, 0
	v_mov_b32_e32 v4, s13
	v_cmp_lt_i64_e32 vcc, s[30:31], v[3:4]
	s_add_u32 s28, s28, s7
	s_addc_u32 s29, s29, 0
	s_cbranch_vccz .LBB65_50
; %bb.41:                               ;   in Loop: Header=BB65_3 Depth=1
	v_mov_b32_e32 v57, v55
	s_branch .LBB65_3
.LBB65_42:                              ;   in Loop: Header=BB65_3 Depth=1
	v_add_co_u32_e32 v3, vcc, v23, v20
	v_addc_co_u32_e32 v4, vcc, v24, v21, vcc
	global_load_dword v3, v[3:4], off
	v_add_co_u32_e32 v4, vcc, v25, v20
	v_addc_co_u32_e32 v5, vcc, v26, v21, vcc
	global_load_dword v11, v[4:5], off
	v_mov_b32_e32 v4, v2
	v_mov_b32_e32 v5, v2
	;; [unrolled: 1-line block ×14, first 2 shown]
	s_or_b64 exec, exec, s[8:9]
	s_and_saveexec_b64 s[8:9], s[2:3]
	s_cbranch_execz .LBB65_32
.LBB65_43:                              ;   in Loop: Header=BB65_3 Depth=1
	v_add_co_u32_e32 v58, vcc, v51, v20
	v_addc_co_u32_e32 v59, vcc, v52, v21, vcc
	global_load_dword v4, v[58:59], off
	v_add_co_u32_e32 v58, vcc, v53, v20
	v_addc_co_u32_e32 v59, vcc, v54, v21, vcc
	global_load_dword v12, v[58:59], off
	s_or_b64 exec, exec, s[8:9]
	s_and_saveexec_b64 s[8:9], s[2:3]
	s_cbranch_execz .LBB65_33
.LBB65_44:                              ;   in Loop: Header=BB65_3 Depth=1
	v_add_co_u32_e32 v58, vcc, v47, v20
	v_addc_co_u32_e32 v59, vcc, v48, v21, vcc
	global_load_dword v5, v[58:59], off
	v_add_co_u32_e32 v58, vcc, v49, v20
	v_addc_co_u32_e32 v59, vcc, v50, v21, vcc
	global_load_dword v13, v[58:59], off
	s_or_b64 exec, exec, s[8:9]
	s_and_saveexec_b64 s[8:9], s[2:3]
	s_cbranch_execz .LBB65_34
.LBB65_45:                              ;   in Loop: Header=BB65_3 Depth=1
	v_add_co_u32_e32 v58, vcc, v43, v20
	v_addc_co_u32_e32 v59, vcc, v44, v21, vcc
	global_load_dword v6, v[58:59], off
	v_add_co_u32_e32 v58, vcc, v45, v20
	v_addc_co_u32_e32 v59, vcc, v46, v21, vcc
	global_load_dword v14, v[58:59], off
	s_or_b64 exec, exec, s[8:9]
	s_and_saveexec_b64 s[8:9], s[2:3]
	s_cbranch_execz .LBB65_35
.LBB65_46:                              ;   in Loop: Header=BB65_3 Depth=1
	v_add_co_u32_e32 v58, vcc, v39, v20
	v_addc_co_u32_e32 v59, vcc, v40, v21, vcc
	global_load_dword v7, v[58:59], off
	v_add_co_u32_e32 v58, vcc, v41, v20
	v_addc_co_u32_e32 v59, vcc, v42, v21, vcc
	global_load_dword v15, v[58:59], off
	s_or_b64 exec, exec, s[8:9]
	s_and_saveexec_b64 s[8:9], s[2:3]
	s_cbranch_execz .LBB65_36
.LBB65_47:                              ;   in Loop: Header=BB65_3 Depth=1
	v_add_co_u32_e32 v58, vcc, v35, v20
	v_addc_co_u32_e32 v59, vcc, v36, v21, vcc
	global_load_dword v8, v[58:59], off
	v_add_co_u32_e32 v58, vcc, v37, v20
	v_addc_co_u32_e32 v59, vcc, v38, v21, vcc
	global_load_dword v16, v[58:59], off
	s_or_b64 exec, exec, s[8:9]
	s_and_saveexec_b64 s[8:9], s[2:3]
	s_cbranch_execz .LBB65_37
.LBB65_48:                              ;   in Loop: Header=BB65_3 Depth=1
	v_add_co_u32_e32 v58, vcc, v31, v20
	v_addc_co_u32_e32 v59, vcc, v32, v21, vcc
	global_load_dword v9, v[58:59], off
	v_add_co_u32_e32 v58, vcc, v33, v20
	v_addc_co_u32_e32 v59, vcc, v34, v21, vcc
	global_load_dword v17, v[58:59], off
	s_or_b64 exec, exec, s[8:9]
	s_and_saveexec_b64 s[8:9], s[2:3]
	s_cbranch_execnz .LBB65_38
	s_branch .LBB65_39
.LBB65_49:
                                        ; implicit-def: $vgpr19
                                        ; implicit-def: $vgpr55
	s_branch .LBB65_51
.LBB65_50:
	s_cbranch_execnz .LBB65_82
.LBB65_51:
	v_mov_b32_e32 v19, 0
	s_and_b64 vcc, exec, s[0:1]
	v_mov_b32_e32 v55, 0
	s_cbranch_vccnz .LBB65_82
; %bb.52:
	v_lshlrev_b32_e32 v50, 3, v1
	v_add_co_u32_e32 v8, vcc, s10, v50
	v_addc_co_u32_e64 v9, s[0:1], 0, 0, vcc
	s_load_dword s7, s[4:5], 0x44
	v_mul_lo_u32 v4, s15, v8
	v_mul_lo_u32 v5, s14, v9
	v_mad_u64_u32 v[2:3], s[0:1], s14, v8, 0
	s_add_u32 s2, s4, 64
	s_addc_u32 s3, s5, 0
	v_add3_u32 v3, v3, v5, v4
	s_waitcnt lgkmcnt(0)
	s_lshl_b32 s7, s7, 6
	v_lshlrev_b64 v[4:5], 2, v[2:3]
	s_mul_i32 s0, s15, s7
	s_mul_hi_u32 s1, s14, s7
	v_mov_b32_e32 v6, s17
	v_add_co_u32_e32 v51, vcc, s16, v4
	s_add_i32 s1, s1, s0
	s_mul_i32 s0, s14, s7
	v_addc_co_u32_e32 v52, vcc, v6, v5, vcc
	s_lshl_b64 s[8:9], s[0:1], 2
	v_mov_b32_e32 v6, s19
	v_add_co_u32_e32 v53, vcc, s18, v4
	s_add_u32 s24, s10, 63
	v_addc_co_u32_e32 v54, vcc, v6, v5, vcc
	s_addc_u32 s25, 0, 0
	v_lshlrev_b32_e32 v4, 5, v1
	s_lshl_b64 s[0:1], s[10:11], 2
	v_mov_b32_e32 v5, s1
	v_add_co_u32_e32 v10, vcc, s0, v4
	v_addc_co_u32_e32 v11, vcc, 0, v5, vcc
	v_add_co_u32_e32 v12, vcc, 4, v10
	v_addc_co_u32_e32 v6, vcc, 0, v11, vcc
	v_mov_b32_e32 v4, s16
	v_mul_lo_u32 v14, s14, v6
	v_mov_b32_e32 v6, s18
	v_mov_b32_e32 v5, s17
	v_mov_b32_e32 v7, s19
	v_mad_u64_u32 v[20:21], s[0:1], s14, v12, v[4:5]
	v_mul_lo_u32 v15, s15, v12
	v_mad_u64_u32 v[22:23], s[0:1], s14, v12, v[6:7]
	v_add_co_u32_e32 v12, vcc, 8, v10
	v_addc_co_u32_e32 v16, vcc, 0, v11, vcc
	v_mov_b32_e32 v13, s15
	v_add_co_u32_e32 v2, vcc, s14, v2
	v_addc_co_u32_e32 v3, vcc, v3, v13, vcc
	v_mul_lo_u32 v17, s15, v12
	v_mad_u64_u32 v[24:25], s[0:1], s14, v12, v[4:5]
	v_mad_u64_u32 v[26:27], s[0:1], s14, v12, v[6:7]
	v_add_co_u32_e32 v12, vcc, 12, v10
	v_addc_co_u32_e32 v13, vcc, 0, v11, vcc
	v_add3_u32 v21, v15, v21, v14
	v_add3_u32 v23, v15, v23, v14
	v_mul_lo_u32 v13, s14, v13
	v_mul_lo_u32 v14, s15, v12
	v_mad_u64_u32 v[28:29], s[0:1], s14, v12, v[4:5]
	v_mad_u64_u32 v[30:31], s[0:1], s14, v12, v[6:7]
	v_add_co_u32_e32 v12, vcc, 16, v10
	v_mul_lo_u32 v16, s14, v16
	v_addc_co_u32_e32 v15, vcc, 0, v11, vcc
	v_mul_lo_u32 v18, s15, v12
	v_mad_u64_u32 v[32:33], s[0:1], s14, v12, v[4:5]
	v_mad_u64_u32 v[34:35], s[0:1], s14, v12, v[6:7]
	v_add_co_u32_e32 v12, vcc, 20, v10
	v_add3_u32 v29, v14, v29, v13
	v_add3_u32 v31, v14, v31, v13
	v_addc_co_u32_e32 v13, vcc, 0, v11, vcc
	v_mul_lo_u32 v14, s15, v12
	v_mad_u64_u32 v[36:37], s[0:1], s14, v12, v[4:5]
	v_mad_u64_u32 v[38:39], s[0:1], s14, v12, v[6:7]
	v_add_co_u32_e32 v12, vcc, 24, v10
	v_add3_u32 v25, v17, v25, v16
	v_add3_u32 v27, v17, v27, v16
	v_addc_co_u32_e32 v16, vcc, 0, v11, vcc
	v_add_co_u32_e32 v10, vcc, 28, v10
	v_addc_co_u32_e32 v11, vcc, 0, v11, vcc
	v_mad_u64_u32 v[40:41], s[0:1], s14, v12, v[4:5]
	v_mad_u64_u32 v[44:45], s[0:1], s14, v10, v[4:5]
	v_add_co_u32_e32 v4, vcc, 7, v8
	v_addc_co_u32_e32 v5, vcc, 0, v9, vcc
	v_mad_u64_u32 v[42:43], s[0:1], s14, v12, v[6:7]
	v_mad_u64_u32 v[46:47], s[0:1], s14, v10, v[6:7]
	v_mul_lo_u32 v6, s15, v10
	v_mul_lo_u32 v7, s14, v5
	;; [unrolled: 1-line block ×3, first 2 shown]
	v_mad_u64_u32 v[4:5], s[0:1], s14, v4, 0
	v_mul_lo_u32 v11, s14, v11
	v_mul_lo_u32 v17, s15, v12
	v_add3_u32 v5, v5, v7, v10
	v_lshlrev_b64 v[4:5], 2, v[4:5]
	v_add3_u32 v45, v6, v45, v11
	v_add3_u32 v47, v6, v47, v11
	v_mov_b32_e32 v6, s17
	v_add_co_u32_e32 v56, vcc, s16, v4
	v_addc_co_u32_e32 v57, vcc, v6, v5, vcc
	v_add_co_u32_e32 v6, vcc, 6, v8
	v_addc_co_u32_e32 v7, vcc, 0, v9, vcc
	v_mul_lo_u32 v11, s14, v7
	v_mul_lo_u32 v12, s15, v6
	v_mad_u64_u32 v[6:7], s[0:1], s14, v6, 0
	v_mov_b32_e32 v10, s19
	v_add_co_u32_e32 v58, vcc, s18, v4
	v_add3_u32 v7, v7, v11, v12
	v_addc_co_u32_e32 v59, vcc, v10, v5, vcc
	v_lshlrev_b64 v[4:5], 2, v[6:7]
	v_mov_b32_e32 v6, s17
	v_add_co_u32_e32 v60, vcc, s16, v4
	v_addc_co_u32_e32 v61, vcc, v6, v5, vcc
	v_add_co_u32_e32 v6, vcc, 5, v8
	v_addc_co_u32_e32 v7, vcc, 0, v9, vcc
	v_mul_lo_u32 v11, s14, v7
	v_mul_lo_u32 v12, s15, v6
	v_mad_u64_u32 v[6:7], s[0:1], s14, v6, 0
	v_add_co_u32_e32 v62, vcc, s18, v4
	v_add3_u32 v7, v7, v11, v12
	v_addc_co_u32_e32 v63, vcc, v10, v5, vcc
	v_lshlrev_b64 v[4:5], 2, v[6:7]
	v_mov_b32_e32 v6, s17
	v_add_co_u32_e32 v64, vcc, s16, v4
	v_addc_co_u32_e32 v65, vcc, v6, v5, vcc
	v_add_co_u32_e32 v6, vcc, 4, v8
	v_addc_co_u32_e32 v7, vcc, 0, v9, vcc
	v_mul_lo_u32 v11, s14, v7
	v_mul_lo_u32 v12, s15, v6
	v_mad_u64_u32 v[6:7], s[0:1], s14, v6, 0
	;; [unrolled: 12-line block ×4, first 2 shown]
	v_add_co_u32_e32 v74, vcc, s18, v4
	v_add3_u32 v7, v7, v8, v9
	v_addc_co_u32_e32 v75, vcc, v10, v5, vcc
	v_lshlrev_b64 v[4:5], 2, v[6:7]
	v_mov_b32_e32 v6, s17
	v_add_co_u32_e32 v76, vcc, s16, v4
	v_addc_co_u32_e32 v77, vcc, v6, v5, vcc
	v_mov_b32_e32 v6, s19
	v_add_co_u32_e32 v78, vcc, s18, v4
	v_lshlrev_b64 v[2:3], 2, v[2:3]
	v_addc_co_u32_e32 v79, vcc, v6, v5, vcc
	v_mov_b32_e32 v4, s17
	v_add_co_u32_e32 v80, vcc, s16, v2
	v_addc_co_u32_e32 v81, vcc, v4, v3, vcc
	v_mov_b32_e32 v4, s19
	v_add_co_u32_e32 v82, vcc, s18, v2
	v_mov_b32_e32 v2, 0
	v_mul_lo_u32 v15, s14, v15
	v_mul_lo_u32 v13, s14, v13
	;; [unrolled: 1-line block ×3, first 2 shown]
	v_addc_co_u32_e32 v83, vcc, v4, v3, vcc
	v_add_u32_e32 v3, s33, v0
	v_mov_b32_e32 v4, v2
	v_lshlrev_b64 v[48:49], 2, v[3:4]
	v_mbcnt_lo_u32_b32 v3, -1, 0
	v_mbcnt_hi_u32_b32 v3, -1, v3
	v_lshlrev_b32_e32 v3, 2, v3
	v_add3_u32 v33, v18, v33, v15
	v_add3_u32 v35, v18, v35, v15
	;; [unrolled: 1-line block ×6, first 2 shown]
	v_and_b32_e32 v84, 0x100, v3
	v_mov_b32_e32 v55, 0
	v_mov_b32_e32 v19, 0
	s_branch .LBB65_56
.LBB65_53:                              ;   in Loop: Header=BB65_56 Depth=1
	s_or_b64 exec, exec, s[16:17]
.LBB65_54:                              ;   in Loop: Header=BB65_56 Depth=1
	s_or_b64 exec, exec, s[0:1]
	v_add_co_u32_e32 v3, vcc, v51, v48
	v_addc_co_u32_e32 v4, vcc, v52, v49, vcc
	global_load_dword v9, v[3:4], off
	v_add_co_u32_e32 v3, vcc, v53, v48
	v_addc_co_u32_e32 v4, vcc, v54, v49, vcc
	global_load_dword v11, v[3:4], off
	;; [unrolled: 3-line block ×14, first 2 shown]
	v_add_co_u32_e32 v3, vcc, v44, v48
	v_addc_co_u32_e32 v4, vcc, v45, v49, vcc
	v_add_co_u32_e32 v7, vcc, v46, v48
	v_addc_co_u32_e32 v8, vcc, v47, v49, vcc
	global_load_dword v90, v[7:8], off
	global_load_dword v10, v[3:4], off
	s_waitcnt vmcnt(17)
	ds_bpermute_b32 v3, v84, v6
	s_waitcnt vmcnt(16)
	ds_bpermute_b32 v4, v84, v5
	ds_bpermute_b32 v7, v84, v6 offset:4
	ds_bpermute_b32 v8, v84, v6 offset:8
	s_waitcnt vmcnt(14) lgkmcnt(3)
	v_sub_f32_e32 v3, v11, v3
	v_mul_f32_e32 v3, v9, v3
	s_waitcnt lgkmcnt(2)
	v_fmac_f32_e32 v55, v3, v4
	ds_bpermute_b32 v3, v84, v5 offset:4
	v_add_f32_e32 v4, v19, v9
	s_waitcnt vmcnt(13)
	v_add_f32_e32 v4, v4, v12
	s_waitcnt vmcnt(12) lgkmcnt(2)
	v_sub_f32_e32 v7, v13, v7
	v_mul_f32_e32 v7, v12, v7
	s_waitcnt lgkmcnt(0)
	v_fmac_f32_e32 v55, v7, v3
	ds_bpermute_b32 v3, v84, v5 offset:8
	s_waitcnt vmcnt(11)
	v_add_f32_e32 v4, v4, v14
	s_waitcnt vmcnt(10)
	v_sub_f32_e32 v7, v15, v8
	ds_bpermute_b32 v8, v84, v6 offset:12
	v_mul_f32_e32 v7, v14, v7
	s_waitcnt lgkmcnt(1)
	v_fmac_f32_e32 v55, v7, v3
	ds_bpermute_b32 v3, v84, v5 offset:12
	s_waitcnt vmcnt(9)
	v_add_f32_e32 v4, v4, v16
	s_waitcnt vmcnt(8) lgkmcnt(1)
	v_sub_f32_e32 v7, v17, v8
	ds_bpermute_b32 v8, v84, v6 offset:16
	v_mul_f32_e32 v7, v16, v7
	s_waitcnt lgkmcnt(1)
	v_fmac_f32_e32 v55, v7, v3
	ds_bpermute_b32 v3, v84, v5 offset:16
	s_waitcnt vmcnt(7)
	v_add_f32_e32 v4, v4, v18
	s_waitcnt vmcnt(6) lgkmcnt(1)
	v_sub_f32_e32 v7, v85, v8
	ds_bpermute_b32 v8, v84, v6 offset:20
	v_mul_f32_e32 v7, v18, v7
	s_waitcnt lgkmcnt(1)
	v_fmac_f32_e32 v55, v7, v3
	ds_bpermute_b32 v3, v84, v5 offset:20
	s_waitcnt vmcnt(4) lgkmcnt(1)
	v_sub_f32_e32 v7, v87, v8
	ds_bpermute_b32 v8, v84, v6 offset:24
	v_mul_f32_e32 v7, v86, v7
	s_waitcnt lgkmcnt(1)
	v_fmac_f32_e32 v55, v7, v3
	v_add_f32_e32 v3, v4, v86
	ds_bpermute_b32 v4, v84, v5 offset:24
	ds_bpermute_b32 v6, v84, v6 offset:28
	;; [unrolled: 1-line block ×3, first 2 shown]
	s_waitcnt vmcnt(2) lgkmcnt(3)
	v_sub_f32_e32 v7, v89, v8
	v_mul_f32_e32 v7, v88, v7
	s_waitcnt lgkmcnt(2)
	v_fmac_f32_e32 v55, v7, v4
	v_add_f32_e32 v4, v3, v88
	s_waitcnt vmcnt(1) lgkmcnt(1)
	v_sub_f32_e32 v3, v90, v6
	s_waitcnt vmcnt(0)
	v_mul_f32_e32 v3, v10, v3
	s_waitcnt lgkmcnt(0)
	v_mul_f32_e32 v5, v3, v5
	v_mov_b32_e32 v3, v55
.LBB65_55:                              ;   in Loop: Header=BB65_56 Depth=1
	v_add_f32_e32 v55, v3, v5
	v_mov_b32_e32 v5, s9
	v_add_co_u32_e32 v51, vcc, s8, v51
	v_addc_co_u32_e32 v52, vcc, v52, v5, vcc
	v_add_co_u32_e32 v53, vcc, s8, v53
	v_addc_co_u32_e32 v54, vcc, v54, v5, vcc
	;; [unrolled: 2-line block ×28, first 2 shown]
	v_add_f32_e32 v19, v4, v10
	s_add_u32 s10, s10, s7
	v_add_co_u32_e32 v80, vcc, s8, v80
	v_mov_b32_e32 v3, s12
	s_addc_u32 s11, s11, 0
	v_addc_co_u32_e32 v81, vcc, v81, v5, vcc
	v_mov_b32_e32 v4, s13
	v_cmp_ge_i64_e32 vcc, s[10:11], v[3:4]
	s_add_u32 s24, s24, s7
	v_add_co_u32_e64 v82, s[0:1], s8, v82
	s_addc_u32 s25, s25, 0
	v_addc_co_u32_e64 v83, s[0:1], v83, v5, s[0:1]
	s_cbranch_vccnz .LBB65_82
.LBB65_56:                              ; =>This Inner Loop Header: Depth=1
	v_mov_b32_e32 v3, s12
	v_mov_b32_e32 v4, s13
	v_cmp_ge_i64_e32 vcc, s[24:25], v[3:4]
	v_mov_b32_e32 v3, s25
	v_add_co_u32_e64 v85, s[0:1], s24, v50
	v_addc_co_u32_e64 v86, s[0:1], 0, v3, s[0:1]
	s_mov_b64 s[0:1], -1
	s_and_b64 vcc, exec, vcc
                                        ; implicit-def: $vgpr10
                                        ; implicit-def: $vgpr5
                                        ; implicit-def: $vgpr4
                                        ; implicit-def: $vgpr3
	s_cbranch_vccz .LBB65_78
; %bb.57:                               ;   in Loop: Header=BB65_56 Depth=1
	s_load_dword s0, s[2:3], 0xc
	v_mov_b32_e32 v87, 0
	v_mov_b32_e32 v88, 0
	s_waitcnt lgkmcnt(0)
	s_and_b32 s0, s0, 0xffff
	v_mad_u32_u24 v3, v1, s0, v0
	v_and_b32_e32 v3, 63, v3
	v_cmp_gt_u32_e32 vcc, 8, v3
	s_and_saveexec_b64 s[0:1], vcc
	s_cbranch_execz .LBB65_61
; %bb.58:                               ;   in Loop: Header=BB65_56 Depth=1
	v_add_co_u32_e32 v3, vcc, v85, v3
	v_addc_co_u32_e32 v4, vcc, 0, v86, vcc
	v_add_co_u32_e32 v3, vcc, 0xffffffc1, v3
	v_addc_co_u32_e32 v4, vcc, -1, v4, vcc
	v_cmp_gt_i64_e32 vcc, s[12:13], v[3:4]
	v_mov_b32_e32 v88, 0
	v_mov_b32_e32 v87, 0
	s_and_saveexec_b64 s[16:17], vcc
	s_cbranch_execz .LBB65_60
; %bb.59:                               ;   in Loop: Header=BB65_56 Depth=1
	v_lshlrev_b64 v[3:4], 2, v[3:4]
	v_mov_b32_e32 v6, s23
	v_add_co_u32_e32 v5, vcc, s22, v3
	v_addc_co_u32_e32 v6, vcc, v6, v4, vcc
	v_mov_b32_e32 v7, s21
	v_add_co_u32_e32 v3, vcc, s20, v3
	v_addc_co_u32_e32 v4, vcc, v7, v4, vcc
	global_load_dword v88, v[3:4], off
	global_load_dword v87, v[5:6], off
.LBB65_60:                              ;   in Loop: Header=BB65_56 Depth=1
	s_or_b64 exec, exec, s[16:17]
.LBB65_61:                              ;   in Loop: Header=BB65_56 Depth=1
	s_or_b64 exec, exec, s[0:1]
	v_add_co_u32_e32 v3, vcc, 0xffffffc1, v85
	v_addc_co_u32_e32 v4, vcc, -1, v86, vcc
	v_mov_b32_e32 v9, v2
	v_cmp_gt_i64_e32 vcc, s[12:13], v[3:4]
	v_mov_b32_e32 v3, v2
	v_mov_b32_e32 v4, v2
	;; [unrolled: 1-line block ×22, first 2 shown]
	s_and_saveexec_b64 s[0:1], vcc
	s_cbranch_execz .LBB65_63
; %bb.62:                               ;   in Loop: Header=BB65_56 Depth=1
	v_add_co_u32_e32 v3, vcc, v51, v48
	v_addc_co_u32_e32 v4, vcc, v52, v49, vcc
	global_load_dword v3, v[3:4], off
	v_add_co_u32_e32 v4, vcc, v53, v48
	v_addc_co_u32_e32 v5, vcc, v54, v49, vcc
	global_load_dword v11, v[4:5], off
	v_mov_b32_e32 v4, v2
	v_mov_b32_e32 v5, v2
	v_mov_b32_e32 v6, v2
	v_mov_b32_e32 v7, v2
	v_mov_b32_e32 v8, v2
	v_mov_b32_e32 v9, v2
	v_mov_b32_e32 v10, v2
	v_mov_b32_e32 v12, v2
	v_mov_b32_e32 v13, v2
	v_mov_b32_e32 v14, v2
	v_mov_b32_e32 v15, v2
	v_mov_b32_e32 v16, v2
	v_mov_b32_e32 v17, v2
	v_mov_b32_e32 v18, v2
.LBB65_63:                              ;   in Loop: Header=BB65_56 Depth=1
	s_or_b64 exec, exec, s[0:1]
	v_add_co_u32_e32 v89, vcc, 0xffffffc2, v85
	v_addc_co_u32_e32 v90, vcc, -1, v86, vcc
	v_cmp_gt_i64_e32 vcc, s[12:13], v[89:90]
	s_and_saveexec_b64 s[0:1], vcc
	s_cbranch_execz .LBB65_65
; %bb.64:                               ;   in Loop: Header=BB65_56 Depth=1
	v_add_co_u32_e32 v89, vcc, v80, v48
	v_addc_co_u32_e32 v90, vcc, v81, v49, vcc
	global_load_dword v4, v[89:90], off
	v_add_co_u32_e32 v89, vcc, v82, v48
	v_addc_co_u32_e32 v90, vcc, v83, v49, vcc
	global_load_dword v12, v[89:90], off
.LBB65_65:                              ;   in Loop: Header=BB65_56 Depth=1
	s_or_b64 exec, exec, s[0:1]
	v_add_co_u32_e32 v89, vcc, 0xffffffc3, v85
	v_addc_co_u32_e32 v90, vcc, -1, v86, vcc
	v_cmp_gt_i64_e32 vcc, s[12:13], v[89:90]
	s_and_saveexec_b64 s[0:1], vcc
	s_cbranch_execz .LBB65_67
; %bb.66:                               ;   in Loop: Header=BB65_56 Depth=1
	v_add_co_u32_e32 v89, vcc, v76, v48
	v_addc_co_u32_e32 v90, vcc, v77, v49, vcc
	global_load_dword v5, v[89:90], off
	v_add_co_u32_e32 v89, vcc, v78, v48
	v_addc_co_u32_e32 v90, vcc, v79, v49, vcc
	global_load_dword v13, v[89:90], off
.LBB65_67:                              ;   in Loop: Header=BB65_56 Depth=1
	;; [unrolled: 14-line block ×7, first 2 shown]
	s_or_b64 exec, exec, s[0:1]
	s_waitcnt vmcnt(1)
	ds_bpermute_b32 v89, v84, v88
	ds_bpermute_b32 v92, v84, v88 offset:4
	s_waitcnt vmcnt(0)
	ds_bpermute_b32 v90, v84, v87
	ds_bpermute_b32 v93, v84, v87 offset:4
	v_add_f32_e32 v91, v19, v3
	s_waitcnt lgkmcnt(3)
	v_sub_f32_e32 v11, v11, v89
	v_mul_f32_e32 v3, v3, v11
	s_waitcnt lgkmcnt(2)
	v_sub_f32_e32 v11, v12, v92
	ds_bpermute_b32 v12, v84, v88 offset:8
	s_waitcnt lgkmcnt(2)
	v_fma_f32 v3, v3, v90, v55
	v_mul_f32_e32 v11, v4, v11
	s_waitcnt lgkmcnt(1)
	v_fmac_f32_e32 v3, v11, v93
	ds_bpermute_b32 v11, v84, v87 offset:8
	s_waitcnt lgkmcnt(1)
	v_sub_f32_e32 v12, v13, v12
	ds_bpermute_b32 v13, v84, v88 offset:12
	v_mul_f32_e32 v12, v5, v12
	v_add_f32_e32 v4, v4, v91
	s_waitcnt lgkmcnt(1)
	v_fmac_f32_e32 v3, v12, v11
	ds_bpermute_b32 v11, v84, v87 offset:12
	v_add_f32_e32 v4, v5, v4
	s_waitcnt lgkmcnt(1)
	v_sub_f32_e32 v5, v14, v13
	ds_bpermute_b32 v12, v84, v88 offset:16
	v_mul_f32_e32 v5, v6, v5
	s_waitcnt lgkmcnt(1)
	v_fmac_f32_e32 v3, v5, v11
	ds_bpermute_b32 v5, v84, v87 offset:16
	v_add_f32_e32 v4, v6, v4
	s_waitcnt lgkmcnt(1)
	v_sub_f32_e32 v6, v15, v12
	ds_bpermute_b32 v11, v84, v88 offset:20
	v_mul_f32_e32 v6, v7, v6
	s_waitcnt lgkmcnt(1)
	v_fmac_f32_e32 v3, v6, v5
	ds_bpermute_b32 v5, v84, v87 offset:20
	v_add_f32_e32 v4, v7, v4
	ds_bpermute_b32 v7, v84, v88 offset:24
	s_waitcnt lgkmcnt(2)
	v_sub_f32_e32 v6, v16, v11
	v_mul_f32_e32 v6, v8, v6
	s_waitcnt lgkmcnt(1)
	v_fmac_f32_e32 v3, v6, v5
	ds_bpermute_b32 v5, v84, v87 offset:24
	s_waitcnt lgkmcnt(1)
	v_sub_f32_e32 v6, v17, v7
	ds_bpermute_b32 v7, v84, v88 offset:28
	v_add_f32_e32 v4, v8, v4
	ds_bpermute_b32 v8, v84, v87 offset:28
	v_mul_f32_e32 v6, v9, v6
	s_waitcnt lgkmcnt(2)
	v_fmac_f32_e32 v3, v6, v5
	s_waitcnt lgkmcnt(1)
	v_sub_f32_e32 v5, v18, v7
	v_mul_f32_e32 v5, v10, v5
	v_add_f32_e32 v4, v9, v4
	s_waitcnt lgkmcnt(0)
	v_mul_f32_e32 v5, v5, v8
	s_mov_b64 s[0:1], 0
.LBB65_78:                              ;   in Loop: Header=BB65_56 Depth=1
	s_and_b64 vcc, exec, s[0:1]
	s_cbranch_vccz .LBB65_55
; %bb.79:                               ;   in Loop: Header=BB65_56 Depth=1
	s_load_dword s0, s[2:3], 0x0
	v_mov_b32_e32 v5, 0
	v_mov_b32_e32 v6, 0
	s_waitcnt lgkmcnt(0)
	s_cmp_lt_u32 s6, s0
	s_cselect_b32 s0, 12, 18
	s_add_u32 s0, s2, s0
	s_addc_u32 s1, s3, 0
	global_load_ushort v3, v2, s[0:1]
	s_waitcnt vmcnt(0)
	v_mad_u32_u24 v3, v1, v3, v0
	v_and_b32_e32 v3, 63, v3
	v_cmp_gt_u32_e32 vcc, 8, v3
	s_and_saveexec_b64 s[0:1], vcc
	s_cbranch_execz .LBB65_54
; %bb.80:                               ;   in Loop: Header=BB65_56 Depth=1
	v_add_co_u32_e32 v3, vcc, v85, v3
	v_addc_co_u32_e32 v4, vcc, 0, v86, vcc
	v_add_co_u32_e32 v3, vcc, 0xffffffc1, v3
	v_addc_co_u32_e32 v4, vcc, -1, v4, vcc
	v_cmp_gt_i64_e32 vcc, s[12:13], v[3:4]
	v_mov_b32_e32 v6, 0
	v_mov_b32_e32 v5, 0
	s_and_saveexec_b64 s[16:17], vcc
	s_cbranch_execz .LBB65_53
; %bb.81:                               ;   in Loop: Header=BB65_56 Depth=1
	v_lshlrev_b64 v[3:4], 2, v[3:4]
	v_mov_b32_e32 v5, s23
	v_add_co_u32_e32 v7, vcc, s22, v3
	v_addc_co_u32_e32 v8, vcc, v5, v4, vcc
	v_mov_b32_e32 v5, s21
	v_add_co_u32_e32 v3, vcc, s20, v3
	v_addc_co_u32_e32 v4, vcc, v5, v4, vcc
	global_load_dword v6, v[3:4], off
	global_load_dword v5, v[7:8], off
	s_branch .LBB65_53
.LBB65_82:
	v_mad_u32_u24 v2, v1, 33, v0
	v_lshl_add_u32 v3, v2, 2, 0
	ds_write_b32 v3, v55
	ds_write_b32 v3, v19 offset:1056
	v_sub_u32_e32 v3, v2, v1
	s_movk_i32 s0, 0x800
	v_cmp_gt_u32_e32 vcc, s0, v3
	s_waitcnt lgkmcnt(0)
	s_barrier
	s_and_saveexec_b64 s[0:1], vcc
	s_cbranch_execz .LBB65_146
; %bb.83:
	s_load_dwordx4 s[8:11], s[4:5], 0x30
	v_and_b32_e32 v1, 63, v3
	v_lshrrev_b32_e32 v2, 6, v3
	v_cmp_gt_u32_e64 s[0:1], 8, v1
	v_mul_u32_u24_e32 v4, 33, v1
                                        ; implicit-def: $vgpr1
                                        ; implicit-def: $vgpr6
	s_and_saveexec_b64 s[2:3], s[0:1]
	s_cbranch_execz .LBB65_85
; %bb.84:
	v_add_u32_e32 v1, v2, v4
	v_lshl_add_u32 v1, v1, 2, 0
	ds_read_b32 v6, v1
	ds_read_b32 v1, v1 offset:1056
.LBB65_85:
	s_or_b64 exec, exec, s[2:3]
	v_mbcnt_lo_u32_b32 v5, -1, 0
	v_mbcnt_hi_u32_b32 v7, -1, v5
	v_and_b32_e32 v5, 64, v7
	v_add_u32_e32 v8, 64, v5
	v_xor_b32_e32 v5, 4, v7
	v_cmp_lt_i32_e32 vcc, v5, v8
	v_cndmask_b32_e32 v5, v7, v5, vcc
	v_lshlrev_b32_e32 v5, 2, v5
	s_waitcnt lgkmcnt(0)
	ds_bpermute_b32 v9, v5, v6
	ds_bpermute_b32 v10, v5, v1
	v_cmp_eq_u32_e64 s[2:3], 0, v0
	s_mov_b32 s7, 0
	s_lshl_b64 s[4:5], s[6:7], 5
	s_waitcnt lgkmcnt(1)
	v_add_f32_e32 v9, v6, v9
	v_xor_b32_e32 v6, 2, v7
	v_cmp_lt_i32_e32 vcc, v6, v8
	v_cndmask_b32_e32 v6, v7, v6, vcc
	v_lshlrev_b32_e32 v6, 2, v6
	ds_bpermute_b32 v11, v6, v9
	s_waitcnt lgkmcnt(1)
	v_add_f32_e32 v0, v1, v10
	v_xor_b32_e32 v10, 1, v7
	v_cmp_lt_i32_e32 vcc, v10, v8
	v_cndmask_b32_e32 v7, v7, v10, vcc
	s_waitcnt lgkmcnt(0)
	v_add_f32_e32 v1, v9, v11
	ds_bpermute_b32 v9, v6, v0
	v_lshlrev_b32_e32 v7, 2, v7
	ds_bpermute_b32 v8, v7, v1
	s_cmp_lg_u64 s[8:9], 0
	s_cselect_b64 s[12:13], -1, 0
	s_waitcnt lgkmcnt(1)
	v_add_f32_e32 v9, v0, v9
	ds_bpermute_b32 v10, v7, v9
	s_waitcnt lgkmcnt(1)
	v_add_f32_e32 v8, v1, v8
	v_or_b32_e32 v0, s4, v2
	v_mov_b32_e32 v1, s5
	v_cmp_gt_i64_e32 vcc, s[14:15], v[0:1]
	s_cmp_lg_u64 s[10:11], 0
	s_cselect_b64 s[6:7], -1, 0
	s_waitcnt lgkmcnt(0)
	v_add_f32_e32 v9, v9, v10
	s_and_b64 s[18:19], s[2:3], vcc
	s_and_saveexec_b64 s[16:17], s[18:19]
	s_cbranch_execz .LBB65_90
; %bb.86:
	v_lshlrev_b64 v[0:1], 2, v[0:1]
	s_andn2_b64 vcc, exec, s[12:13]
	s_cbranch_vccnz .LBB65_88
; %bb.87:
	v_mov_b32_e32 v11, s9
	v_add_co_u32_e32 v10, vcc, s8, v0
	v_addc_co_u32_e32 v11, vcc, v11, v1, vcc
	global_store_dword v[10:11], v8, off
.LBB65_88:
	s_andn2_b64 vcc, exec, s[6:7]
	s_cbranch_vccnz .LBB65_90
; %bb.89:
	v_mov_b32_e32 v10, s11
	v_add_co_u32_e32 v0, vcc, s10, v0
	v_addc_co_u32_e32 v1, vcc, v10, v1, vcc
	global_store_dword v[0:1], v9, off
.LBB65_90:
	s_or_b64 exec, exec, s[16:17]
	s_movk_i32 s16, 0x700
	v_cmp_gt_u32_e32 vcc, s16, v3
	s_and_b64 exec, exec, vcc
	s_cbranch_execz .LBB65_146
; %bb.91:
	s_and_saveexec_b64 s[16:17], s[0:1]
	s_cbranch_execz .LBB65_93
; %bb.92:
	v_add_u32_e32 v0, v2, v4
	v_lshl_add_u32 v0, v0, 2, 0
	ds_read_b32 v8, v0 offset:16
	ds_read_b32 v9, v0 offset:1072
.LBB65_93:
	s_or_b64 exec, exec, s[16:17]
	s_waitcnt lgkmcnt(1)
	ds_bpermute_b32 v0, v5, v8
	s_waitcnt lgkmcnt(1)
	ds_bpermute_b32 v1, v5, v9
	v_add_u32_e32 v10, 4, v2
	v_mov_b32_e32 v11, s5
	s_waitcnt lgkmcnt(1)
	v_add_f32_e32 v0, v8, v0
	s_waitcnt lgkmcnt(0)
	v_add_f32_e32 v1, v9, v1
	ds_bpermute_b32 v8, v6, v0
	ds_bpermute_b32 v9, v6, v1
	s_waitcnt lgkmcnt(1)
	v_add_f32_e32 v8, v0, v8
	s_waitcnt lgkmcnt(0)
	v_add_f32_e32 v9, v1, v9
	ds_bpermute_b32 v12, v7, v8
	ds_bpermute_b32 v13, v7, v9
	v_add_co_u32_e32 v0, vcc, s4, v10
	v_addc_co_u32_e32 v1, vcc, 0, v11, vcc
	v_cmp_gt_i64_e32 vcc, s[14:15], v[0:1]
	s_waitcnt lgkmcnt(1)
	v_add_f32_e32 v0, v8, v12
	s_waitcnt lgkmcnt(0)
	v_add_f32_e32 v1, v9, v13
	s_and_b64 s[18:19], s[2:3], vcc
	s_and_saveexec_b64 s[16:17], s[18:19]
	s_cbranch_execz .LBB65_98
; %bb.94:
	s_andn2_b64 vcc, exec, s[12:13]
	s_cbranch_vccnz .LBB65_96
; %bb.95:
	v_mov_b32_e32 v9, s5
	v_add_co_u32_e32 v8, vcc, s4, v2
	v_addc_co_u32_e32 v9, vcc, 0, v9, vcc
	v_lshlrev_b64 v[8:9], 2, v[8:9]
	v_mov_b32_e32 v10, s9
	v_add_co_u32_e32 v8, vcc, s8, v8
	v_addc_co_u32_e32 v9, vcc, v10, v9, vcc
	global_store_dword v[8:9], v0, off offset:16
.LBB65_96:
	s_andn2_b64 vcc, exec, s[6:7]
	s_cbranch_vccnz .LBB65_98
; %bb.97:
	v_mov_b32_e32 v9, s5
	v_add_co_u32_e32 v8, vcc, s4, v2
	v_addc_co_u32_e32 v9, vcc, 0, v9, vcc
	v_lshlrev_b64 v[8:9], 2, v[8:9]
	v_mov_b32_e32 v10, s11
	v_add_co_u32_e32 v8, vcc, s10, v8
	v_addc_co_u32_e32 v9, vcc, v10, v9, vcc
	global_store_dword v[8:9], v1, off offset:16
.LBB65_98:
	s_or_b64 exec, exec, s[16:17]
	s_movk_i32 s16, 0x600
	v_cmp_gt_u32_e32 vcc, s16, v3
	s_and_b64 exec, exec, vcc
	s_cbranch_execz .LBB65_146
; %bb.99:
	s_and_saveexec_b64 s[16:17], s[0:1]
	s_cbranch_execz .LBB65_101
; %bb.100:
	v_add_u32_e32 v0, v2, v4
	v_lshl_add_u32 v1, v0, 2, 0
	ds_read_b32 v0, v1 offset:32
	ds_read_b32 v1, v1 offset:1088
.LBB65_101:
	s_or_b64 exec, exec, s[16:17]
	s_waitcnt lgkmcnt(1)
	ds_bpermute_b32 v8, v5, v0
	s_waitcnt lgkmcnt(1)
	ds_bpermute_b32 v9, v5, v1
	v_add_u32_e32 v10, 8, v2
	v_mov_b32_e32 v11, s5
	s_waitcnt lgkmcnt(1)
	v_add_f32_e32 v0, v0, v8
	s_waitcnt lgkmcnt(0)
	v_add_f32_e32 v1, v1, v9
	ds_bpermute_b32 v8, v6, v0
	ds_bpermute_b32 v9, v6, v1
	s_waitcnt lgkmcnt(1)
	v_add_f32_e32 v8, v0, v8
	s_waitcnt lgkmcnt(0)
	v_add_f32_e32 v9, v1, v9
	ds_bpermute_b32 v12, v7, v8
	ds_bpermute_b32 v13, v7, v9
	v_add_co_u32_e32 v0, vcc, s4, v10
	v_addc_co_u32_e32 v1, vcc, 0, v11, vcc
	v_cmp_gt_i64_e32 vcc, s[14:15], v[0:1]
	s_waitcnt lgkmcnt(1)
	v_add_f32_e32 v0, v8, v12
	s_waitcnt lgkmcnt(0)
	v_add_f32_e32 v1, v9, v13
	s_and_b64 s[18:19], s[2:3], vcc
	s_and_saveexec_b64 s[16:17], s[18:19]
	s_cbranch_execz .LBB65_106
; %bb.102:
	s_andn2_b64 vcc, exec, s[12:13]
	s_cbranch_vccnz .LBB65_104
; %bb.103:
	v_mov_b32_e32 v9, s5
	v_add_co_u32_e32 v8, vcc, s4, v2
	v_addc_co_u32_e32 v9, vcc, 0, v9, vcc
	v_lshlrev_b64 v[8:9], 2, v[8:9]
	v_mov_b32_e32 v10, s9
	v_add_co_u32_e32 v8, vcc, s8, v8
	v_addc_co_u32_e32 v9, vcc, v10, v9, vcc
	global_store_dword v[8:9], v0, off offset:32
.LBB65_104:
	s_andn2_b64 vcc, exec, s[6:7]
	s_cbranch_vccnz .LBB65_106
; %bb.105:
	v_mov_b32_e32 v9, s5
	v_add_co_u32_e32 v8, vcc, s4, v2
	v_addc_co_u32_e32 v9, vcc, 0, v9, vcc
	v_lshlrev_b64 v[8:9], 2, v[8:9]
	v_mov_b32_e32 v10, s11
	v_add_co_u32_e32 v8, vcc, s10, v8
	v_addc_co_u32_e32 v9, vcc, v10, v9, vcc
	global_store_dword v[8:9], v1, off offset:32
.LBB65_106:
	s_or_b64 exec, exec, s[16:17]
	s_movk_i32 s16, 0x500
	v_cmp_gt_u32_e32 vcc, s16, v3
	s_and_b64 exec, exec, vcc
	s_cbranch_execz .LBB65_146
; %bb.107:
	s_and_saveexec_b64 s[16:17], s[0:1]
	s_cbranch_execz .LBB65_109
; %bb.108:
	v_add_u32_e32 v0, v2, v4
	v_lshl_add_u32 v1, v0, 2, 0
	ds_read_b32 v0, v1 offset:48
	ds_read_b32 v1, v1 offset:1104
.LBB65_109:
	s_or_b64 exec, exec, s[16:17]
	s_waitcnt lgkmcnt(1)
	ds_bpermute_b32 v8, v5, v0
	s_waitcnt lgkmcnt(1)
	ds_bpermute_b32 v9, v5, v1
	v_add_u32_e32 v10, 12, v2
	v_mov_b32_e32 v11, s5
	s_waitcnt lgkmcnt(1)
	v_add_f32_e32 v0, v0, v8
	s_waitcnt lgkmcnt(0)
	v_add_f32_e32 v1, v1, v9
	ds_bpermute_b32 v8, v6, v0
	ds_bpermute_b32 v9, v6, v1
	s_waitcnt lgkmcnt(1)
	v_add_f32_e32 v8, v0, v8
	s_waitcnt lgkmcnt(0)
	v_add_f32_e32 v9, v1, v9
	ds_bpermute_b32 v12, v7, v8
	ds_bpermute_b32 v13, v7, v9
	v_add_co_u32_e32 v0, vcc, s4, v10
	v_addc_co_u32_e32 v1, vcc, 0, v11, vcc
	v_cmp_gt_i64_e32 vcc, s[14:15], v[0:1]
	s_waitcnt lgkmcnt(1)
	v_add_f32_e32 v0, v8, v12
	s_waitcnt lgkmcnt(0)
	v_add_f32_e32 v1, v9, v13
	s_and_b64 s[18:19], s[2:3], vcc
	s_and_saveexec_b64 s[16:17], s[18:19]
	s_cbranch_execz .LBB65_114
; %bb.110:
	s_andn2_b64 vcc, exec, s[12:13]
	s_cbranch_vccnz .LBB65_112
; %bb.111:
	v_mov_b32_e32 v9, s5
	v_add_co_u32_e32 v8, vcc, s4, v2
	v_addc_co_u32_e32 v9, vcc, 0, v9, vcc
	v_lshlrev_b64 v[8:9], 2, v[8:9]
	v_mov_b32_e32 v10, s9
	v_add_co_u32_e32 v8, vcc, s8, v8
	v_addc_co_u32_e32 v9, vcc, v10, v9, vcc
	global_store_dword v[8:9], v0, off offset:48
.LBB65_112:
	s_andn2_b64 vcc, exec, s[6:7]
	s_cbranch_vccnz .LBB65_114
; %bb.113:
	v_mov_b32_e32 v9, s5
	v_add_co_u32_e32 v8, vcc, s4, v2
	v_addc_co_u32_e32 v9, vcc, 0, v9, vcc
	v_lshlrev_b64 v[8:9], 2, v[8:9]
	v_mov_b32_e32 v10, s11
	v_add_co_u32_e32 v8, vcc, s10, v8
	v_addc_co_u32_e32 v9, vcc, v10, v9, vcc
	global_store_dword v[8:9], v1, off offset:48
.LBB65_114:
	s_or_b64 exec, exec, s[16:17]
	s_movk_i32 s16, 0x400
	v_cmp_gt_u32_e32 vcc, s16, v3
	s_and_b64 exec, exec, vcc
	s_cbranch_execz .LBB65_146
; %bb.115:
	s_and_saveexec_b64 s[16:17], s[0:1]
	s_cbranch_execz .LBB65_117
; %bb.116:
	v_add_u32_e32 v0, v2, v4
	v_lshl_add_u32 v1, v0, 2, 0
	ds_read_b32 v0, v1 offset:64
	ds_read_b32 v1, v1 offset:1120
.LBB65_117:
	s_or_b64 exec, exec, s[16:17]
	s_waitcnt lgkmcnt(1)
	ds_bpermute_b32 v8, v5, v0
	s_waitcnt lgkmcnt(1)
	ds_bpermute_b32 v9, v5, v1
	v_add_u32_e32 v10, 16, v2
	s_waitcnt lgkmcnt(1)
	v_add_f32_e32 v0, v0, v8
	s_waitcnt lgkmcnt(0)
	v_add_f32_e32 v1, v1, v9
	ds_bpermute_b32 v8, v6, v0
	ds_bpermute_b32 v9, v6, v1
	s_waitcnt lgkmcnt(1)
	v_add_f32_e32 v8, v0, v8
	s_waitcnt lgkmcnt(0)
	v_add_f32_e32 v9, v1, v9
	ds_bpermute_b32 v11, v7, v8
	ds_bpermute_b32 v12, v7, v9
	v_mov_b32_e32 v1, s5
	v_or_b32_e32 v0, s4, v10
	v_cmp_gt_i64_e32 vcc, s[14:15], v[0:1]
	s_waitcnt lgkmcnt(1)
	v_add_f32_e32 v0, v8, v11
	s_waitcnt lgkmcnt(0)
	v_add_f32_e32 v1, v9, v12
	s_and_b64 s[18:19], s[2:3], vcc
	s_and_saveexec_b64 s[16:17], s[18:19]
	s_cbranch_execz .LBB65_122
; %bb.118:
	s_andn2_b64 vcc, exec, s[12:13]
	s_cbranch_vccnz .LBB65_120
; %bb.119:
	v_mov_b32_e32 v9, s5
	v_add_co_u32_e32 v8, vcc, s4, v2
	v_addc_co_u32_e32 v9, vcc, 0, v9, vcc
	v_lshlrev_b64 v[8:9], 2, v[8:9]
	v_mov_b32_e32 v10, s9
	v_add_co_u32_e32 v8, vcc, s8, v8
	v_addc_co_u32_e32 v9, vcc, v10, v9, vcc
	global_store_dword v[8:9], v0, off offset:64
.LBB65_120:
	s_andn2_b64 vcc, exec, s[6:7]
	s_cbranch_vccnz .LBB65_122
; %bb.121:
	v_mov_b32_e32 v9, s5
	v_add_co_u32_e32 v8, vcc, s4, v2
	v_addc_co_u32_e32 v9, vcc, 0, v9, vcc
	v_lshlrev_b64 v[8:9], 2, v[8:9]
	v_mov_b32_e32 v10, s11
	v_add_co_u32_e32 v8, vcc, s10, v8
	v_addc_co_u32_e32 v9, vcc, v10, v9, vcc
	global_store_dword v[8:9], v1, off offset:64
.LBB65_122:
	s_or_b64 exec, exec, s[16:17]
	s_movk_i32 s16, 0x300
	v_cmp_gt_u32_e32 vcc, s16, v3
	s_and_b64 exec, exec, vcc
	s_cbranch_execz .LBB65_146
; %bb.123:
	s_and_saveexec_b64 s[16:17], s[0:1]
	s_cbranch_execz .LBB65_125
; %bb.124:
	v_add_u32_e32 v0, v2, v4
	v_lshl_add_u32 v1, v0, 2, 0
	ds_read_b32 v0, v1 offset:80
	ds_read_b32 v1, v1 offset:1136
.LBB65_125:
	s_or_b64 exec, exec, s[16:17]
	s_waitcnt lgkmcnt(1)
	ds_bpermute_b32 v8, v5, v0
	s_waitcnt lgkmcnt(1)
	ds_bpermute_b32 v9, v5, v1
	v_add_u32_e32 v10, 20, v2
	v_mov_b32_e32 v11, s5
	s_waitcnt lgkmcnt(1)
	v_add_f32_e32 v0, v0, v8
	s_waitcnt lgkmcnt(0)
	v_add_f32_e32 v1, v1, v9
	ds_bpermute_b32 v8, v6, v0
	ds_bpermute_b32 v9, v6, v1
	s_waitcnt lgkmcnt(1)
	v_add_f32_e32 v8, v0, v8
	s_waitcnt lgkmcnt(0)
	v_add_f32_e32 v9, v1, v9
	ds_bpermute_b32 v12, v7, v8
	ds_bpermute_b32 v13, v7, v9
	v_add_co_u32_e32 v0, vcc, s4, v10
	v_addc_co_u32_e32 v1, vcc, 0, v11, vcc
	v_cmp_gt_i64_e32 vcc, s[14:15], v[0:1]
	s_waitcnt lgkmcnt(1)
	v_add_f32_e32 v0, v8, v12
	s_waitcnt lgkmcnt(0)
	v_add_f32_e32 v1, v9, v13
	s_and_b64 s[18:19], s[2:3], vcc
	s_and_saveexec_b64 s[16:17], s[18:19]
	s_cbranch_execz .LBB65_130
; %bb.126:
	s_andn2_b64 vcc, exec, s[12:13]
	s_cbranch_vccnz .LBB65_128
; %bb.127:
	v_mov_b32_e32 v9, s5
	v_add_co_u32_e32 v8, vcc, s4, v2
	v_addc_co_u32_e32 v9, vcc, 0, v9, vcc
	v_lshlrev_b64 v[8:9], 2, v[8:9]
	v_mov_b32_e32 v10, s9
	v_add_co_u32_e32 v8, vcc, s8, v8
	v_addc_co_u32_e32 v9, vcc, v10, v9, vcc
	global_store_dword v[8:9], v0, off offset:80
.LBB65_128:
	s_andn2_b64 vcc, exec, s[6:7]
	s_cbranch_vccnz .LBB65_130
; %bb.129:
	v_mov_b32_e32 v9, s5
	v_add_co_u32_e32 v8, vcc, s4, v2
	v_addc_co_u32_e32 v9, vcc, 0, v9, vcc
	v_lshlrev_b64 v[8:9], 2, v[8:9]
	v_mov_b32_e32 v10, s11
	v_add_co_u32_e32 v8, vcc, s10, v8
	v_addc_co_u32_e32 v9, vcc, v10, v9, vcc
	global_store_dword v[8:9], v1, off offset:80
.LBB65_130:
	s_or_b64 exec, exec, s[16:17]
	s_movk_i32 s16, 0x200
	v_cmp_gt_u32_e32 vcc, s16, v3
	s_and_b64 exec, exec, vcc
	s_cbranch_execz .LBB65_146
; %bb.131:
	s_and_saveexec_b64 s[16:17], s[0:1]
	s_cbranch_execz .LBB65_133
; %bb.132:
	v_add_u32_e32 v0, v2, v4
	v_lshl_add_u32 v1, v0, 2, 0
	ds_read_b32 v0, v1 offset:96
	ds_read_b32 v1, v1 offset:1152
.LBB65_133:
	s_or_b64 exec, exec, s[16:17]
	s_waitcnt lgkmcnt(1)
	ds_bpermute_b32 v8, v5, v0
	s_waitcnt lgkmcnt(1)
	ds_bpermute_b32 v9, v5, v1
	v_add_u32_e32 v10, 24, v2
	s_waitcnt lgkmcnt(1)
	v_add_f32_e32 v0, v0, v8
	s_waitcnt lgkmcnt(0)
	v_add_f32_e32 v1, v1, v9
	ds_bpermute_b32 v8, v6, v0
	ds_bpermute_b32 v9, v6, v1
	s_waitcnt lgkmcnt(1)
	v_add_f32_e32 v8, v0, v8
	s_waitcnt lgkmcnt(0)
	v_add_f32_e32 v9, v1, v9
	ds_bpermute_b32 v11, v7, v8
	ds_bpermute_b32 v12, v7, v9
	v_mov_b32_e32 v1, s5
	v_or_b32_e32 v0, s4, v10
	v_cmp_gt_i64_e32 vcc, s[14:15], v[0:1]
	s_waitcnt lgkmcnt(1)
	v_add_f32_e32 v0, v8, v11
	s_waitcnt lgkmcnt(0)
	v_add_f32_e32 v1, v9, v12
	s_and_b64 s[18:19], s[2:3], vcc
	s_and_saveexec_b64 s[16:17], s[18:19]
	s_cbranch_execz .LBB65_138
; %bb.134:
	s_andn2_b64 vcc, exec, s[12:13]
	s_cbranch_vccnz .LBB65_136
; %bb.135:
	v_mov_b32_e32 v9, s5
	v_add_co_u32_e32 v8, vcc, s4, v2
	v_addc_co_u32_e32 v9, vcc, 0, v9, vcc
	v_lshlrev_b64 v[8:9], 2, v[8:9]
	v_mov_b32_e32 v10, s9
	v_add_co_u32_e32 v8, vcc, s8, v8
	v_addc_co_u32_e32 v9, vcc, v10, v9, vcc
	global_store_dword v[8:9], v0, off offset:96
.LBB65_136:
	s_andn2_b64 vcc, exec, s[6:7]
	s_cbranch_vccnz .LBB65_138
; %bb.137:
	v_mov_b32_e32 v9, s5
	v_add_co_u32_e32 v8, vcc, s4, v2
	v_addc_co_u32_e32 v9, vcc, 0, v9, vcc
	v_lshlrev_b64 v[8:9], 2, v[8:9]
	v_mov_b32_e32 v10, s11
	v_add_co_u32_e32 v8, vcc, s10, v8
	v_addc_co_u32_e32 v9, vcc, v10, v9, vcc
	global_store_dword v[8:9], v1, off offset:96
.LBB65_138:
	s_or_b64 exec, exec, s[16:17]
	s_movk_i32 s16, 0x100
	v_cmp_gt_u32_e32 vcc, s16, v3
	s_and_b64 exec, exec, vcc
	s_cbranch_execz .LBB65_146
; %bb.139:
	s_and_saveexec_b64 s[16:17], s[0:1]
	s_cbranch_execz .LBB65_141
; %bb.140:
	v_add_u32_e32 v0, v2, v4
	v_lshl_add_u32 v1, v0, 2, 0
	ds_read_b32 v0, v1 offset:112
	ds_read_b32 v1, v1 offset:1168
.LBB65_141:
	s_or_b64 exec, exec, s[16:17]
	s_waitcnt lgkmcnt(1)
	ds_bpermute_b32 v3, v5, v0
	s_waitcnt lgkmcnt(1)
	ds_bpermute_b32 v4, v5, v1
	v_add_u32_e32 v5, 28, v2
	v_or_b32_e32 v5, s4, v5
	s_waitcnt lgkmcnt(1)
	v_add_f32_e32 v0, v0, v3
	s_waitcnt lgkmcnt(0)
	v_add_f32_e32 v1, v1, v4
	ds_bpermute_b32 v3, v6, v0
	ds_bpermute_b32 v4, v6, v1
	v_mov_b32_e32 v6, s5
	v_cmp_gt_i64_e32 vcc, s[14:15], v[5:6]
	s_waitcnt lgkmcnt(1)
	v_add_f32_e32 v3, v0, v3
	s_waitcnt lgkmcnt(0)
	v_add_f32_e32 v0, v1, v4
	ds_bpermute_b32 v4, v7, v3
	ds_bpermute_b32 v1, v7, v0
	s_and_b64 s[0:1], s[2:3], vcc
	s_and_b64 exec, exec, s[0:1]
	s_cbranch_execz .LBB65_146
; %bb.142:
	s_andn2_b64 vcc, exec, s[12:13]
	s_cbranch_vccnz .LBB65_144
; %bb.143:
	s_waitcnt lgkmcnt(1)
	v_add_f32_e32 v5, v3, v4
	v_mov_b32_e32 v4, s5
	v_add_co_u32_e32 v3, vcc, s4, v2
	v_addc_co_u32_e32 v4, vcc, 0, v4, vcc
	v_lshlrev_b64 v[3:4], 2, v[3:4]
	v_mov_b32_e32 v6, s9
	v_add_co_u32_e32 v3, vcc, s8, v3
	v_addc_co_u32_e32 v4, vcc, v6, v4, vcc
	global_store_dword v[3:4], v5, off offset:112
.LBB65_144:
	s_andn2_b64 vcc, exec, s[6:7]
	s_cbranch_vccnz .LBB65_146
; %bb.145:
	s_waitcnt lgkmcnt(0)
	v_add_f32_e32 v3, v0, v1
	v_mov_b32_e32 v1, s5
	v_add_co_u32_e32 v0, vcc, s4, v2
	v_addc_co_u32_e32 v1, vcc, 0, v1, vcc
	v_lshlrev_b64 v[0:1], 2, v[0:1]
	v_mov_b32_e32 v2, s11
	v_add_co_u32_e32 v0, vcc, s10, v0
	v_addc_co_u32_e32 v1, vcc, v2, v1, vcc
	global_store_dword v[0:1], v3, off offset:112
.LBB65_146:
	s_endpgm
	.section	.rodata,"a",@progbits
	.p2align	6, 0x0
	.amdhsa_kernel _ZN2at6native12_GLOBAL__N_135GammaBetaBackwardCUDAKernelTemplateIffLj32ELj8ELj64ELb0ELb0ELb0EEEvllPKT_S5_PKT0_S8_PS3_S9_
		.amdhsa_group_segment_fixed_size 0
		.amdhsa_private_segment_fixed_size 0
		.amdhsa_kernarg_size 320
		.amdhsa_user_sgpr_count 6
		.amdhsa_user_sgpr_private_segment_buffer 1
		.amdhsa_user_sgpr_dispatch_ptr 0
		.amdhsa_user_sgpr_queue_ptr 0
		.amdhsa_user_sgpr_kernarg_segment_ptr 1
		.amdhsa_user_sgpr_dispatch_id 0
		.amdhsa_user_sgpr_flat_scratch_init 0
		.amdhsa_user_sgpr_private_segment_size 0
		.amdhsa_uses_dynamic_stack 0
		.amdhsa_system_sgpr_private_segment_wavefront_offset 0
		.amdhsa_system_sgpr_workgroup_id_x 1
		.amdhsa_system_sgpr_workgroup_id_y 1
		.amdhsa_system_sgpr_workgroup_id_z 0
		.amdhsa_system_sgpr_workgroup_info 0
		.amdhsa_system_vgpr_workitem_id 1
		.amdhsa_next_free_vgpr 94
		.amdhsa_next_free_sgpr 36
		.amdhsa_reserve_vcc 1
		.amdhsa_reserve_flat_scratch 0
		.amdhsa_float_round_mode_32 0
		.amdhsa_float_round_mode_16_64 0
		.amdhsa_float_denorm_mode_32 3
		.amdhsa_float_denorm_mode_16_64 3
		.amdhsa_dx10_clamp 1
		.amdhsa_ieee_mode 1
		.amdhsa_fp16_overflow 0
		.amdhsa_exception_fp_ieee_invalid_op 0
		.amdhsa_exception_fp_denorm_src 0
		.amdhsa_exception_fp_ieee_div_zero 0
		.amdhsa_exception_fp_ieee_overflow 0
		.amdhsa_exception_fp_ieee_underflow 0
		.amdhsa_exception_fp_ieee_inexact 0
		.amdhsa_exception_int_div_zero 0
	.end_amdhsa_kernel
	.section	.text._ZN2at6native12_GLOBAL__N_135GammaBetaBackwardCUDAKernelTemplateIffLj32ELj8ELj64ELb0ELb0ELb0EEEvllPKT_S5_PKT0_S8_PS3_S9_,"axG",@progbits,_ZN2at6native12_GLOBAL__N_135GammaBetaBackwardCUDAKernelTemplateIffLj32ELj8ELj64ELb0ELb0ELb0EEEvllPKT_S5_PKT0_S8_PS3_S9_,comdat
.Lfunc_end65:
	.size	_ZN2at6native12_GLOBAL__N_135GammaBetaBackwardCUDAKernelTemplateIffLj32ELj8ELj64ELb0ELb0ELb0EEEvllPKT_S5_PKT0_S8_PS3_S9_, .Lfunc_end65-_ZN2at6native12_GLOBAL__N_135GammaBetaBackwardCUDAKernelTemplateIffLj32ELj8ELj64ELb0ELb0ELb0EEEvllPKT_S5_PKT0_S8_PS3_S9_
                                        ; -- End function
	.set _ZN2at6native12_GLOBAL__N_135GammaBetaBackwardCUDAKernelTemplateIffLj32ELj8ELj64ELb0ELb0ELb0EEEvllPKT_S5_PKT0_S8_PS3_S9_.num_vgpr, 94
	.set _ZN2at6native12_GLOBAL__N_135GammaBetaBackwardCUDAKernelTemplateIffLj32ELj8ELj64ELb0ELb0ELb0EEEvllPKT_S5_PKT0_S8_PS3_S9_.num_agpr, 0
	.set _ZN2at6native12_GLOBAL__N_135GammaBetaBackwardCUDAKernelTemplateIffLj32ELj8ELj64ELb0ELb0ELb0EEEvllPKT_S5_PKT0_S8_PS3_S9_.numbered_sgpr, 36
	.set _ZN2at6native12_GLOBAL__N_135GammaBetaBackwardCUDAKernelTemplateIffLj32ELj8ELj64ELb0ELb0ELb0EEEvllPKT_S5_PKT0_S8_PS3_S9_.num_named_barrier, 0
	.set _ZN2at6native12_GLOBAL__N_135GammaBetaBackwardCUDAKernelTemplateIffLj32ELj8ELj64ELb0ELb0ELb0EEEvllPKT_S5_PKT0_S8_PS3_S9_.private_seg_size, 0
	.set _ZN2at6native12_GLOBAL__N_135GammaBetaBackwardCUDAKernelTemplateIffLj32ELj8ELj64ELb0ELb0ELb0EEEvllPKT_S5_PKT0_S8_PS3_S9_.uses_vcc, 1
	.set _ZN2at6native12_GLOBAL__N_135GammaBetaBackwardCUDAKernelTemplateIffLj32ELj8ELj64ELb0ELb0ELb0EEEvllPKT_S5_PKT0_S8_PS3_S9_.uses_flat_scratch, 0
	.set _ZN2at6native12_GLOBAL__N_135GammaBetaBackwardCUDAKernelTemplateIffLj32ELj8ELj64ELb0ELb0ELb0EEEvllPKT_S5_PKT0_S8_PS3_S9_.has_dyn_sized_stack, 0
	.set _ZN2at6native12_GLOBAL__N_135GammaBetaBackwardCUDAKernelTemplateIffLj32ELj8ELj64ELb0ELb0ELb0EEEvllPKT_S5_PKT0_S8_PS3_S9_.has_recursion, 0
	.set _ZN2at6native12_GLOBAL__N_135GammaBetaBackwardCUDAKernelTemplateIffLj32ELj8ELj64ELb0ELb0ELb0EEEvllPKT_S5_PKT0_S8_PS3_S9_.has_indirect_call, 0
	.section	.AMDGPU.csdata,"",@progbits
; Kernel info:
; codeLenInByte = 8968
; TotalNumSgprs: 40
; NumVgprs: 94
; ScratchSize: 0
; MemoryBound: 0
; FloatMode: 240
; IeeeMode: 1
; LDSByteSize: 0 bytes/workgroup (compile time only)
; SGPRBlocks: 4
; VGPRBlocks: 23
; NumSGPRsForWavesPerEU: 40
; NumVGPRsForWavesPerEU: 94
; Occupancy: 2
; WaveLimiterHint : 0
; COMPUTE_PGM_RSRC2:SCRATCH_EN: 0
; COMPUTE_PGM_RSRC2:USER_SGPR: 6
; COMPUTE_PGM_RSRC2:TRAP_HANDLER: 0
; COMPUTE_PGM_RSRC2:TGID_X_EN: 1
; COMPUTE_PGM_RSRC2:TGID_Y_EN: 1
; COMPUTE_PGM_RSRC2:TGID_Z_EN: 0
; COMPUTE_PGM_RSRC2:TIDIG_COMP_CNT: 1
	.section	.text._ZN2at6native12_GLOBAL__N_135GammaBetaBackwardCUDAKernelTemplateIffLj32ELj16ELj128ELb0ELb1ELb0EEEvllPKT_S5_PKT0_S8_PS3_S9_,"axG",@progbits,_ZN2at6native12_GLOBAL__N_135GammaBetaBackwardCUDAKernelTemplateIffLj32ELj16ELj128ELb0ELb1ELb0EEEvllPKT_S5_PKT0_S8_PS3_S9_,comdat
	.globl	_ZN2at6native12_GLOBAL__N_135GammaBetaBackwardCUDAKernelTemplateIffLj32ELj16ELj128ELb0ELb1ELb0EEEvllPKT_S5_PKT0_S8_PS3_S9_ ; -- Begin function _ZN2at6native12_GLOBAL__N_135GammaBetaBackwardCUDAKernelTemplateIffLj32ELj16ELj128ELb0ELb1ELb0EEEvllPKT_S5_PKT0_S8_PS3_S9_
	.p2align	8
	.type	_ZN2at6native12_GLOBAL__N_135GammaBetaBackwardCUDAKernelTemplateIffLj32ELj16ELj128ELb0ELb1ELb0EEEvllPKT_S5_PKT0_S8_PS3_S9_,@function
_ZN2at6native12_GLOBAL__N_135GammaBetaBackwardCUDAKernelTemplateIffLj32ELj16ELj128ELb0ELb1ELb0EEEvllPKT_S5_PKT0_S8_PS3_S9_: ; @_ZN2at6native12_GLOBAL__N_135GammaBetaBackwardCUDAKernelTemplateIffLj32ELj16ELj128ELb0ELb1ELb0EEEvllPKT_S5_PKT0_S8_PS3_S9_
; %bb.0:
	s_load_dwordx4 s[20:23], s[4:5], 0x0
	s_lshl_b32 s24, s7, 7
	s_mov_b32 s25, 0
	v_mov_b32_e32 v2, s24
	v_mov_b32_e32 v3, s25
	s_waitcnt lgkmcnt(0)
	v_cmp_gt_i64_e32 vcc, s[20:21], v[2:3]
	s_cbranch_vccnz .LBB66_2
; %bb.1:
	s_mov_b64 s[0:1], 0
	s_branch .LBB66_3
.LBB66_2:
	s_mov_b64 s[0:1], -1
.LBB66_3:
	s_load_dwordx4 s[16:19], s[4:5], 0x30
	v_mov_b32_e32 v18, 0
	s_andn2_b64 vcc, exec, s[0:1]
	v_mbcnt_lo_u32_b32 v8, -1, 0
	v_mov_b32_e32 v3, 0
	s_cbranch_vccnz .LBB66_10
; %bb.4:
	s_load_dword s0, s[4:5], 0x4c
	s_load_dword s2, s[4:5], 0x44
	s_load_dwordx8 s[8:15], s[4:5], 0x10
	v_lshlrev_b32_e32 v4, 3, v1
	v_mbcnt_hi_u32_b32 v6, -1, v8
	v_add_co_u32_e32 v4, vcc, s24, v4
	v_lshlrev_b32_e32 v6, 2, v6
	s_waitcnt lgkmcnt(0)
	s_lshl_b32 s4, s2, 7
	v_addc_co_u32_e64 v17, s[2:3], 0, 0, vcc
	v_and_b32_e32 v9, 0x100, v6
	v_mul_lo_u32 v18, s23, v4
	v_mul_lo_u32 v19, s22, v17
	v_mad_u64_u32 v[6:7], s[2:3], s22, v4, 0
	s_and_b32 s0, s0, 0xffff
	v_mad_u32_u24 v2, v1, s0, v0
	v_and_b32_e32 v5, 63, v2
	v_mov_b32_e32 v3, 0
	v_lshl_add_u32 v2, s6, 5, v0
	v_add_co_u32_e32 v4, vcc, v4, v5
	v_add3_u32 v7, v7, v19, v18
	v_cmp_gt_u32_e64 s[0:1], 8, v5
	v_addc_co_u32_e32 v5, vcc, 0, v17, vcc
	v_lshlrev_b64 v[6:7], 2, v[6:7]
	v_lshlrev_b64 v[17:18], 2, v[2:3]
	s_mul_i32 s2, s23, s4
	v_add_co_u32_e32 v2, vcc, v6, v17
	s_mul_hi_u32 s3, s22, s4
	s_mov_b32 s5, 0
	v_addc_co_u32_e32 v17, vcc, v7, v18, vcc
	v_lshlrev_b64 v[6:7], 2, v[4:5]
	s_add_i32 s3, s3, s2
	s_mul_i32 s2, s22, s4
	v_or_b32_e32 v10, 4, v9
	v_or_b32_e32 v11, 8, v9
	;; [unrolled: 1-line block ×7, first 2 shown]
	s_lshl_b64 s[26:27], s[4:5], 2
	s_lshl_b64 s[28:29], s[2:3], 2
	;; [unrolled: 1-line block ×3, first 2 shown]
	v_mov_b32_e32 v18, v3
	s_branch .LBB66_7
.LBB66_5:                               ;   in Loop: Header=BB66_7 Depth=1
	s_or_b64 exec, exec, s[30:31]
.LBB66_6:                               ;   in Loop: Header=BB66_7 Depth=1
	s_or_b64 exec, exec, s[2:3]
	v_mov_b32_e32 v22, s9
	v_add_co_u32_e32 v21, vcc, s8, v2
	v_addc_co_u32_e32 v22, vcc, v22, v17, vcc
	v_mov_b32_e32 v24, s11
	v_add_co_u32_e32 v23, vcc, s10, v2
	v_addc_co_u32_e32 v24, vcc, v24, v17, vcc
	global_load_dword v28, v[23:24], off
	global_load_dword v29, v[21:22], off
	v_mov_b32_e32 v27, s23
	v_add_co_u32_e32 v25, vcc, s22, v23
	v_addc_co_u32_e32 v26, vcc, v24, v27, vcc
	v_add_co_u32_e32 v23, vcc, s22, v21
	s_waitcnt vmcnt(3)
	ds_bpermute_b32 v21, v9, v20
	v_addc_co_u32_e32 v24, vcc, v22, v27, vcc
	s_waitcnt vmcnt(2)
	ds_bpermute_b32 v22, v9, v19
	global_load_dword v30, v[23:24], off
	s_add_u32 s24, s24, s4
	s_addc_u32 s25, s25, 0
	v_add_co_u32_e64 v2, s[2:3], s28, v2
	s_waitcnt vmcnt(2) lgkmcnt(1)
	v_sub_f32_e32 v21, v28, v21
	global_load_dword v28, v[25:26], off
	s_waitcnt vmcnt(2)
	v_mul_f32_e32 v21, v29, v21
	s_waitcnt lgkmcnt(0)
	v_fmac_f32_e32 v3, v21, v22
	v_add_co_u32_e32 v21, vcc, s22, v25
	v_addc_co_u32_e32 v22, vcc, v26, v27, vcc
	v_add_co_u32_e32 v25, vcc, s22, v23
	ds_bpermute_b32 v23, v10, v20
	v_addc_co_u32_e32 v26, vcc, v24, v27, vcc
	ds_bpermute_b32 v24, v10, v19
	global_load_dword v31, v[25:26], off
	v_add_f32_e32 v18, v18, v29
	s_waitcnt vmcnt(2)
	v_add_f32_e32 v18, v18, v30
	s_waitcnt vmcnt(1) lgkmcnt(1)
	v_sub_f32_e32 v23, v28, v23
	global_load_dword v28, v[21:22], off
	v_mul_f32_e32 v23, v30, v23
	s_waitcnt lgkmcnt(0)
	v_fmac_f32_e32 v3, v23, v24
	v_add_co_u32_e32 v23, vcc, s22, v21
	v_addc_co_u32_e32 v24, vcc, v22, v27, vcc
	v_add_co_u32_e32 v21, vcc, s22, v25
	ds_bpermute_b32 v25, v11, v20
	v_addc_co_u32_e32 v22, vcc, v26, v27, vcc
	ds_bpermute_b32 v26, v11, v19
	global_load_dword v32, v[21:22], off
	s_waitcnt vmcnt(2)
	v_add_f32_e32 v18, v18, v31
	s_waitcnt vmcnt(1) lgkmcnt(1)
	v_sub_f32_e32 v25, v28, v25
	global_load_dword v28, v[23:24], off
	v_mul_f32_e32 v25, v31, v25
	s_waitcnt lgkmcnt(0)
	v_fmac_f32_e32 v3, v25, v26
	v_add_co_u32_e32 v25, vcc, s22, v23
	v_addc_co_u32_e32 v26, vcc, v24, v27, vcc
	v_add_co_u32_e32 v23, vcc, s22, v21
	ds_bpermute_b32 v21, v12, v20
	v_addc_co_u32_e32 v24, vcc, v22, v27, vcc
	ds_bpermute_b32 v22, v12, v19
	global_load_dword v33, v[23:24], off
	s_waitcnt vmcnt(2)
	v_add_f32_e32 v18, v18, v32
	s_waitcnt vmcnt(1) lgkmcnt(1)
	v_sub_f32_e32 v21, v28, v21
	global_load_dword v28, v[25:26], off
	v_mul_f32_e32 v21, v32, v21
	s_waitcnt lgkmcnt(0)
	v_fmac_f32_e32 v3, v21, v22
	v_add_co_u32_e32 v21, vcc, s22, v25
	v_addc_co_u32_e32 v22, vcc, v26, v27, vcc
	v_add_co_u32_e32 v25, vcc, s22, v23
	ds_bpermute_b32 v23, v13, v20
	v_addc_co_u32_e32 v26, vcc, v24, v27, vcc
	global_load_dword v34, v[25:26], off
	ds_bpermute_b32 v24, v13, v19
	s_waitcnt vmcnt(2)
	v_add_f32_e32 v18, v18, v33
	s_waitcnt vmcnt(1) lgkmcnt(1)
	v_sub_f32_e32 v23, v28, v23
	global_load_dword v28, v[21:22], off
	v_mul_f32_e32 v23, v33, v23
	s_waitcnt lgkmcnt(0)
	v_fmac_f32_e32 v3, v23, v24
	v_add_co_u32_e32 v23, vcc, s22, v21
	v_addc_co_u32_e32 v24, vcc, v22, v27, vcc
	v_add_co_u32_e32 v21, vcc, s22, v25
	ds_bpermute_b32 v25, v14, v20
	v_addc_co_u32_e32 v22, vcc, v26, v27, vcc
	ds_bpermute_b32 v26, v14, v19
	s_waitcnt vmcnt(1)
	v_add_f32_e32 v18, v18, v34
	s_waitcnt vmcnt(0) lgkmcnt(1)
	v_sub_f32_e32 v25, v28, v25
	v_mul_f32_e32 v25, v34, v25
	s_waitcnt lgkmcnt(0)
	v_fmac_f32_e32 v3, v25, v26
	v_add_co_u32_e32 v25, vcc, s22, v23
	v_addc_co_u32_e32 v26, vcc, v24, v27, vcc
	global_load_dword v28, v[23:24], off
	v_add_co_u32_e32 v23, vcc, s22, v21
	global_load_dword v21, v[21:22], off
	v_addc_co_u32_e32 v24, vcc, v22, v27, vcc
	ds_bpermute_b32 v22, v15, v20
	ds_bpermute_b32 v27, v15, v19
	;; [unrolled: 1-line block ×4, first 2 shown]
	v_add_co_u32_e32 v6, vcc, s26, v6
	s_waitcnt vmcnt(1) lgkmcnt(3)
	v_sub_f32_e32 v22, v28, v22
	s_waitcnt vmcnt(0)
	v_mul_f32_e32 v22, v21, v22
	s_waitcnt lgkmcnt(2)
	v_fmac_f32_e32 v3, v22, v27
	global_load_dword v22, v[25:26], off
	global_load_dword v27, v[23:24], off
	v_add_f32_e32 v18, v18, v21
	v_mov_b32_e32 v21, s29
	v_addc_co_u32_e64 v17, s[2:3], v17, v21, s[2:3]
	s_waitcnt vmcnt(1) lgkmcnt(1)
	v_sub_f32_e32 v20, v22, v20
	s_waitcnt vmcnt(0)
	v_mul_f32_e32 v20, v27, v20
	s_waitcnt lgkmcnt(0)
	v_fmac_f32_e32 v3, v20, v19
	v_mov_b32_e32 v19, s27
	v_addc_co_u32_e32 v7, vcc, v7, v19, vcc
	v_add_co_u32_e32 v4, vcc, s4, v4
	v_mov_b32_e32 v19, s20
	v_addc_co_u32_e32 v5, vcc, 0, v5, vcc
	v_mov_b32_e32 v20, s21
	v_cmp_lt_i64_e32 vcc, s[24:25], v[19:20]
	v_add_f32_e32 v18, v18, v27
	s_cbranch_vccz .LBB66_10
.LBB66_7:                               ; =>This Inner Loop Header: Depth=1
	v_mov_b32_e32 v19, 0
	v_mov_b32_e32 v20, 0
	s_and_saveexec_b64 s[2:3], s[0:1]
	s_cbranch_execz .LBB66_6
; %bb.8:                                ;   in Loop: Header=BB66_7 Depth=1
	v_cmp_gt_i64_e32 vcc, s[20:21], v[4:5]
	v_mov_b32_e32 v20, 0
	v_mov_b32_e32 v19, 0
	s_and_saveexec_b64 s[30:31], vcc
	s_cbranch_execz .LBB66_5
; %bb.9:                                ;   in Loop: Header=BB66_7 Depth=1
	v_mov_b32_e32 v19, s15
	v_add_co_u32_e32 v21, vcc, s14, v6
	v_addc_co_u32_e32 v22, vcc, v19, v7, vcc
	v_mov_b32_e32 v19, s13
	v_add_co_u32_e32 v23, vcc, s12, v6
	v_addc_co_u32_e32 v24, vcc, v19, v7, vcc
	global_load_dword v20, v[23:24], off
	global_load_dword v19, v[21:22], off
	s_branch .LBB66_5
.LBB66_10:
	v_mad_u32_u24 v2, v1, 33, v0
	v_lshl_add_u32 v4, v2, 2, 0
	ds_write_b32 v4, v3
	ds_write_b32 v4, v18 offset:2112
	v_sub_u32_e32 v4, v2, v1
	s_movk_i32 s0, 0x800
	v_cmp_gt_u32_e32 vcc, s0, v4
	s_waitcnt lgkmcnt(0)
	s_barrier
	s_and_saveexec_b64 s[0:1], vcc
	s_cbranch_execz .LBB66_42
; %bb.11:
	v_and_b32_e32 v1, 63, v4
	v_lshrrev_b32_e32 v2, 6, v4
	v_cmp_gt_u32_e64 s[0:1], 16, v1
	v_mul_u32_u24_e32 v3, 33, v1
                                        ; implicit-def: $vgpr1
                                        ; implicit-def: $vgpr6
	s_and_saveexec_b64 s[2:3], s[0:1]
	s_cbranch_execz .LBB66_13
; %bb.12:
	v_add_u32_e32 v1, v2, v3
	v_lshl_add_u32 v1, v1, 2, 0
	ds_read_b32 v6, v1
	ds_read_b32 v1, v1 offset:2112
.LBB66_13:
	s_or_b64 exec, exec, s[2:3]
	v_mbcnt_hi_u32_b32 v8, -1, v8
	v_and_b32_e32 v5, 64, v8
	v_add_u32_e32 v9, 64, v5
	v_xor_b32_e32 v5, 8, v8
	v_cmp_lt_i32_e32 vcc, v5, v9
	v_cndmask_b32_e32 v5, v8, v5, vcc
	v_lshlrev_b32_e32 v5, 2, v5
	s_waitcnt lgkmcnt(1)
	ds_bpermute_b32 v7, v5, v6
	s_waitcnt lgkmcnt(1)
	ds_bpermute_b32 v10, v5, v1
	v_cmp_eq_u32_e64 s[2:3], 0, v0
	s_mov_b32 s7, 0
	s_lshl_b64 s[4:5], s[6:7], 5
	s_waitcnt lgkmcnt(1)
	v_add_f32_e32 v7, v6, v7
	v_xor_b32_e32 v6, 4, v8
	v_cmp_lt_i32_e32 vcc, v6, v9
	v_cndmask_b32_e32 v6, v8, v6, vcc
	v_lshlrev_b32_e32 v6, 2, v6
	s_waitcnt lgkmcnt(0)
	v_add_f32_e32 v1, v1, v10
	ds_bpermute_b32 v10, v6, v7
	ds_bpermute_b32 v11, v6, v1
	s_cmp_lg_u64 s[16:17], 0
	s_cselect_b64 s[8:9], -1, 0
	s_cmp_lg_u64 s[18:19], 0
	s_waitcnt lgkmcnt(1)
	v_add_f32_e32 v10, v7, v10
	v_xor_b32_e32 v7, 2, v8
	v_cmp_lt_i32_e32 vcc, v7, v9
	v_cndmask_b32_e32 v7, v8, v7, vcc
	v_lshlrev_b32_e32 v7, 2, v7
	s_waitcnt lgkmcnt(0)
	v_add_f32_e32 v1, v1, v11
	ds_bpermute_b32 v11, v7, v10
	ds_bpermute_b32 v12, v7, v1
	s_cselect_b64 s[6:7], -1, 0
	s_waitcnt lgkmcnt(1)
	v_add_f32_e32 v0, v10, v11
	v_xor_b32_e32 v10, 1, v8
	v_cmp_lt_i32_e32 vcc, v10, v9
	v_cndmask_b32_e32 v8, v8, v10, vcc
	s_waitcnt lgkmcnt(0)
	v_add_f32_e32 v1, v1, v12
	v_lshlrev_b32_e32 v8, 2, v8
	ds_bpermute_b32 v9, v8, v0
	ds_bpermute_b32 v10, v8, v1
	s_waitcnt lgkmcnt(1)
	v_add_f32_e32 v9, v0, v9
	s_waitcnt lgkmcnt(0)
	v_add_f32_e32 v10, v1, v10
	s_and_saveexec_b64 s[10:11], s[2:3]
	s_cbranch_execz .LBB66_18
; %bb.14:
	v_mov_b32_e32 v1, s5
	v_or_b32_e32 v0, s4, v2
	v_lshlrev_b64 v[0:1], 2, v[0:1]
	s_andn2_b64 vcc, exec, s[8:9]
	s_cbranch_vccnz .LBB66_16
; %bb.15:
	v_mov_b32_e32 v12, s17
	v_add_co_u32_e32 v11, vcc, s16, v0
	v_addc_co_u32_e32 v12, vcc, v12, v1, vcc
	global_store_dword v[11:12], v9, off
.LBB66_16:
	s_andn2_b64 vcc, exec, s[6:7]
	s_cbranch_vccnz .LBB66_18
; %bb.17:
	v_mov_b32_e32 v11, s19
	v_add_co_u32_e32 v0, vcc, s18, v0
	v_addc_co_u32_e32 v1, vcc, v11, v1, vcc
	global_store_dword v[0:1], v10, off
.LBB66_18:
	s_or_b64 exec, exec, s[10:11]
	s_movk_i32 s10, 0x600
	v_cmp_gt_u32_e32 vcc, s10, v4
	s_and_b64 exec, exec, vcc
	s_cbranch_execz .LBB66_42
; %bb.19:
	s_and_saveexec_b64 s[10:11], s[0:1]
	s_cbranch_execz .LBB66_21
; %bb.20:
	v_add_u32_e32 v0, v2, v3
	v_lshl_add_u32 v0, v0, 2, 0
	ds_read_b32 v9, v0 offset:32
	ds_read_b32 v10, v0 offset:2144
.LBB66_21:
	s_or_b64 exec, exec, s[10:11]
	s_waitcnt lgkmcnt(1)
	ds_bpermute_b32 v0, v5, v9
	s_waitcnt lgkmcnt(1)
	ds_bpermute_b32 v1, v5, v10
	s_waitcnt lgkmcnt(1)
	v_add_f32_e32 v0, v9, v0
	s_waitcnt lgkmcnt(0)
	v_add_f32_e32 v1, v10, v1
	ds_bpermute_b32 v9, v6, v0
	ds_bpermute_b32 v10, v6, v1
	s_waitcnt lgkmcnt(1)
	v_add_f32_e32 v0, v0, v9
	s_waitcnt lgkmcnt(0)
	v_add_f32_e32 v1, v1, v10
	ds_bpermute_b32 v9, v7, v0
	;; [unrolled: 6-line block ×3, first 2 shown]
	ds_bpermute_b32 v10, v8, v1
	s_waitcnt lgkmcnt(1)
	v_add_f32_e32 v0, v0, v9
	s_waitcnt lgkmcnt(0)
	v_add_f32_e32 v1, v1, v10
	s_and_saveexec_b64 s[10:11], s[2:3]
	s_cbranch_execz .LBB66_26
; %bb.22:
	s_andn2_b64 vcc, exec, s[8:9]
	s_cbranch_vccnz .LBB66_24
; %bb.23:
	v_mov_b32_e32 v10, s5
	v_add_co_u32_e32 v9, vcc, s4, v2
	v_addc_co_u32_e32 v10, vcc, 0, v10, vcc
	v_lshlrev_b64 v[9:10], 2, v[9:10]
	v_mov_b32_e32 v11, s17
	v_add_co_u32_e32 v9, vcc, s16, v9
	v_addc_co_u32_e32 v10, vcc, v11, v10, vcc
	global_store_dword v[9:10], v0, off offset:32
.LBB66_24:
	s_andn2_b64 vcc, exec, s[6:7]
	s_cbranch_vccnz .LBB66_26
; %bb.25:
	v_mov_b32_e32 v10, s5
	v_add_co_u32_e32 v9, vcc, s4, v2
	v_addc_co_u32_e32 v10, vcc, 0, v10, vcc
	v_lshlrev_b64 v[9:10], 2, v[9:10]
	v_mov_b32_e32 v11, s19
	v_add_co_u32_e32 v9, vcc, s18, v9
	v_addc_co_u32_e32 v10, vcc, v11, v10, vcc
	global_store_dword v[9:10], v1, off offset:32
.LBB66_26:
	s_or_b64 exec, exec, s[10:11]
	s_movk_i32 s10, 0x400
	v_cmp_gt_u32_e32 vcc, s10, v4
	s_and_b64 exec, exec, vcc
	s_cbranch_execz .LBB66_42
; %bb.27:
	s_and_saveexec_b64 s[10:11], s[0:1]
	s_cbranch_execz .LBB66_29
; %bb.28:
	v_add_u32_e32 v0, v2, v3
	v_lshl_add_u32 v1, v0, 2, 0
	ds_read_b32 v0, v1 offset:64
	ds_read_b32 v1, v1 offset:2176
.LBB66_29:
	s_or_b64 exec, exec, s[10:11]
	s_waitcnt lgkmcnt(1)
	ds_bpermute_b32 v9, v5, v0
	s_waitcnt lgkmcnt(1)
	ds_bpermute_b32 v10, v5, v1
	s_waitcnt lgkmcnt(1)
	v_add_f32_e32 v0, v0, v9
	s_waitcnt lgkmcnt(0)
	v_add_f32_e32 v1, v1, v10
	ds_bpermute_b32 v9, v6, v0
	ds_bpermute_b32 v10, v6, v1
	s_waitcnt lgkmcnt(1)
	v_add_f32_e32 v0, v0, v9
	s_waitcnt lgkmcnt(0)
	v_add_f32_e32 v1, v1, v10
	ds_bpermute_b32 v9, v7, v0
	;; [unrolled: 6-line block ×3, first 2 shown]
	ds_bpermute_b32 v10, v8, v1
	s_waitcnt lgkmcnt(1)
	v_add_f32_e32 v0, v0, v9
	s_waitcnt lgkmcnt(0)
	v_add_f32_e32 v1, v1, v10
	s_and_saveexec_b64 s[10:11], s[2:3]
	s_cbranch_execz .LBB66_34
; %bb.30:
	s_andn2_b64 vcc, exec, s[8:9]
	s_cbranch_vccnz .LBB66_32
; %bb.31:
	v_mov_b32_e32 v10, s5
	v_add_co_u32_e32 v9, vcc, s4, v2
	v_addc_co_u32_e32 v10, vcc, 0, v10, vcc
	v_lshlrev_b64 v[9:10], 2, v[9:10]
	v_mov_b32_e32 v11, s17
	v_add_co_u32_e32 v9, vcc, s16, v9
	v_addc_co_u32_e32 v10, vcc, v11, v10, vcc
	global_store_dword v[9:10], v0, off offset:64
.LBB66_32:
	s_andn2_b64 vcc, exec, s[6:7]
	s_cbranch_vccnz .LBB66_34
; %bb.33:
	v_mov_b32_e32 v10, s5
	v_add_co_u32_e32 v9, vcc, s4, v2
	v_addc_co_u32_e32 v10, vcc, 0, v10, vcc
	v_lshlrev_b64 v[9:10], 2, v[9:10]
	v_mov_b32_e32 v11, s19
	v_add_co_u32_e32 v9, vcc, s18, v9
	v_addc_co_u32_e32 v10, vcc, v11, v10, vcc
	global_store_dword v[9:10], v1, off offset:64
.LBB66_34:
	s_or_b64 exec, exec, s[10:11]
	s_movk_i32 s10, 0x200
	v_cmp_gt_u32_e32 vcc, s10, v4
	s_and_b64 exec, exec, vcc
	s_cbranch_execz .LBB66_42
; %bb.35:
	s_and_saveexec_b64 s[10:11], s[0:1]
	s_cbranch_execz .LBB66_37
; %bb.36:
	v_add_u32_e32 v0, v2, v3
	v_lshl_add_u32 v1, v0, 2, 0
	ds_read_b32 v0, v1 offset:96
	ds_read_b32 v1, v1 offset:2208
.LBB66_37:
	s_or_b64 exec, exec, s[10:11]
	s_waitcnt lgkmcnt(1)
	ds_bpermute_b32 v3, v5, v0
	s_waitcnt lgkmcnt(1)
	ds_bpermute_b32 v4, v5, v1
	s_waitcnt lgkmcnt(1)
	v_add_f32_e32 v0, v0, v3
	s_waitcnt lgkmcnt(0)
	v_add_f32_e32 v1, v1, v4
	ds_bpermute_b32 v3, v6, v0
	ds_bpermute_b32 v4, v6, v1
	s_waitcnt lgkmcnt(1)
	v_add_f32_e32 v0, v0, v3
	s_waitcnt lgkmcnt(0)
	v_add_f32_e32 v1, v1, v4
	ds_bpermute_b32 v3, v7, v0
	;; [unrolled: 6-line block ×3, first 2 shown]
	ds_bpermute_b32 v1, v8, v0
	s_and_b64 exec, exec, s[2:3]
	s_cbranch_execz .LBB66_42
; %bb.38:
	s_andn2_b64 vcc, exec, s[8:9]
	s_cbranch_vccnz .LBB66_40
; %bb.39:
	s_waitcnt lgkmcnt(1)
	v_add_f32_e32 v5, v3, v4
	v_mov_b32_e32 v4, s5
	v_add_co_u32_e32 v3, vcc, s4, v2
	v_addc_co_u32_e32 v4, vcc, 0, v4, vcc
	v_lshlrev_b64 v[3:4], 2, v[3:4]
	v_mov_b32_e32 v6, s17
	v_add_co_u32_e32 v3, vcc, s16, v3
	v_addc_co_u32_e32 v4, vcc, v6, v4, vcc
	global_store_dword v[3:4], v5, off offset:96
.LBB66_40:
	s_andn2_b64 vcc, exec, s[6:7]
	s_cbranch_vccnz .LBB66_42
; %bb.41:
	s_waitcnt lgkmcnt(0)
	v_add_f32_e32 v3, v0, v1
	v_mov_b32_e32 v1, s5
	v_add_co_u32_e32 v0, vcc, s4, v2
	v_addc_co_u32_e32 v1, vcc, 0, v1, vcc
	v_lshlrev_b64 v[0:1], 2, v[0:1]
	v_mov_b32_e32 v2, s19
	v_add_co_u32_e32 v0, vcc, s18, v0
	v_addc_co_u32_e32 v1, vcc, v2, v1, vcc
	global_store_dword v[0:1], v3, off offset:96
.LBB66_42:
	s_endpgm
	.section	.rodata,"a",@progbits
	.p2align	6, 0x0
	.amdhsa_kernel _ZN2at6native12_GLOBAL__N_135GammaBetaBackwardCUDAKernelTemplateIffLj32ELj16ELj128ELb0ELb1ELb0EEEvllPKT_S5_PKT0_S8_PS3_S9_
		.amdhsa_group_segment_fixed_size 0
		.amdhsa_private_segment_fixed_size 0
		.amdhsa_kernarg_size 320
		.amdhsa_user_sgpr_count 6
		.amdhsa_user_sgpr_private_segment_buffer 1
		.amdhsa_user_sgpr_dispatch_ptr 0
		.amdhsa_user_sgpr_queue_ptr 0
		.amdhsa_user_sgpr_kernarg_segment_ptr 1
		.amdhsa_user_sgpr_dispatch_id 0
		.amdhsa_user_sgpr_flat_scratch_init 0
		.amdhsa_user_sgpr_private_segment_size 0
		.amdhsa_uses_dynamic_stack 0
		.amdhsa_system_sgpr_private_segment_wavefront_offset 0
		.amdhsa_system_sgpr_workgroup_id_x 1
		.amdhsa_system_sgpr_workgroup_id_y 1
		.amdhsa_system_sgpr_workgroup_id_z 0
		.amdhsa_system_sgpr_workgroup_info 0
		.amdhsa_system_vgpr_workitem_id 1
		.amdhsa_next_free_vgpr 35
		.amdhsa_next_free_sgpr 32
		.amdhsa_reserve_vcc 1
		.amdhsa_reserve_flat_scratch 0
		.amdhsa_float_round_mode_32 0
		.amdhsa_float_round_mode_16_64 0
		.amdhsa_float_denorm_mode_32 3
		.amdhsa_float_denorm_mode_16_64 3
		.amdhsa_dx10_clamp 1
		.amdhsa_ieee_mode 1
		.amdhsa_fp16_overflow 0
		.amdhsa_exception_fp_ieee_invalid_op 0
		.amdhsa_exception_fp_denorm_src 0
		.amdhsa_exception_fp_ieee_div_zero 0
		.amdhsa_exception_fp_ieee_overflow 0
		.amdhsa_exception_fp_ieee_underflow 0
		.amdhsa_exception_fp_ieee_inexact 0
		.amdhsa_exception_int_div_zero 0
	.end_amdhsa_kernel
	.section	.text._ZN2at6native12_GLOBAL__N_135GammaBetaBackwardCUDAKernelTemplateIffLj32ELj16ELj128ELb0ELb1ELb0EEEvllPKT_S5_PKT0_S8_PS3_S9_,"axG",@progbits,_ZN2at6native12_GLOBAL__N_135GammaBetaBackwardCUDAKernelTemplateIffLj32ELj16ELj128ELb0ELb1ELb0EEEvllPKT_S5_PKT0_S8_PS3_S9_,comdat
.Lfunc_end66:
	.size	_ZN2at6native12_GLOBAL__N_135GammaBetaBackwardCUDAKernelTemplateIffLj32ELj16ELj128ELb0ELb1ELb0EEEvllPKT_S5_PKT0_S8_PS3_S9_, .Lfunc_end66-_ZN2at6native12_GLOBAL__N_135GammaBetaBackwardCUDAKernelTemplateIffLj32ELj16ELj128ELb0ELb1ELb0EEEvllPKT_S5_PKT0_S8_PS3_S9_
                                        ; -- End function
	.set _ZN2at6native12_GLOBAL__N_135GammaBetaBackwardCUDAKernelTemplateIffLj32ELj16ELj128ELb0ELb1ELb0EEEvllPKT_S5_PKT0_S8_PS3_S9_.num_vgpr, 35
	.set _ZN2at6native12_GLOBAL__N_135GammaBetaBackwardCUDAKernelTemplateIffLj32ELj16ELj128ELb0ELb1ELb0EEEvllPKT_S5_PKT0_S8_PS3_S9_.num_agpr, 0
	.set _ZN2at6native12_GLOBAL__N_135GammaBetaBackwardCUDAKernelTemplateIffLj32ELj16ELj128ELb0ELb1ELb0EEEvllPKT_S5_PKT0_S8_PS3_S9_.numbered_sgpr, 32
	.set _ZN2at6native12_GLOBAL__N_135GammaBetaBackwardCUDAKernelTemplateIffLj32ELj16ELj128ELb0ELb1ELb0EEEvllPKT_S5_PKT0_S8_PS3_S9_.num_named_barrier, 0
	.set _ZN2at6native12_GLOBAL__N_135GammaBetaBackwardCUDAKernelTemplateIffLj32ELj16ELj128ELb0ELb1ELb0EEEvllPKT_S5_PKT0_S8_PS3_S9_.private_seg_size, 0
	.set _ZN2at6native12_GLOBAL__N_135GammaBetaBackwardCUDAKernelTemplateIffLj32ELj16ELj128ELb0ELb1ELb0EEEvllPKT_S5_PKT0_S8_PS3_S9_.uses_vcc, 1
	.set _ZN2at6native12_GLOBAL__N_135GammaBetaBackwardCUDAKernelTemplateIffLj32ELj16ELj128ELb0ELb1ELb0EEEvllPKT_S5_PKT0_S8_PS3_S9_.uses_flat_scratch, 0
	.set _ZN2at6native12_GLOBAL__N_135GammaBetaBackwardCUDAKernelTemplateIffLj32ELj16ELj128ELb0ELb1ELb0EEEvllPKT_S5_PKT0_S8_PS3_S9_.has_dyn_sized_stack, 0
	.set _ZN2at6native12_GLOBAL__N_135GammaBetaBackwardCUDAKernelTemplateIffLj32ELj16ELj128ELb0ELb1ELb0EEEvllPKT_S5_PKT0_S8_PS3_S9_.has_recursion, 0
	.set _ZN2at6native12_GLOBAL__N_135GammaBetaBackwardCUDAKernelTemplateIffLj32ELj16ELj128ELb0ELb1ELb0EEEvllPKT_S5_PKT0_S8_PS3_S9_.has_indirect_call, 0
	.section	.AMDGPU.csdata,"",@progbits
; Kernel info:
; codeLenInByte = 2460
; TotalNumSgprs: 36
; NumVgprs: 35
; ScratchSize: 0
; MemoryBound: 0
; FloatMode: 240
; IeeeMode: 1
; LDSByteSize: 0 bytes/workgroup (compile time only)
; SGPRBlocks: 4
; VGPRBlocks: 8
; NumSGPRsForWavesPerEU: 36
; NumVGPRsForWavesPerEU: 35
; Occupancy: 7
; WaveLimiterHint : 0
; COMPUTE_PGM_RSRC2:SCRATCH_EN: 0
; COMPUTE_PGM_RSRC2:USER_SGPR: 6
; COMPUTE_PGM_RSRC2:TRAP_HANDLER: 0
; COMPUTE_PGM_RSRC2:TGID_X_EN: 1
; COMPUTE_PGM_RSRC2:TGID_Y_EN: 1
; COMPUTE_PGM_RSRC2:TGID_Z_EN: 0
; COMPUTE_PGM_RSRC2:TIDIG_COMP_CNT: 1
	.section	.text._ZN2at6native12_GLOBAL__N_135GammaBetaBackwardCUDAKernelTemplateIffLj32ELj16ELj128ELb0ELb0ELb0EEEvllPKT_S5_PKT0_S8_PS3_S9_,"axG",@progbits,_ZN2at6native12_GLOBAL__N_135GammaBetaBackwardCUDAKernelTemplateIffLj32ELj16ELj128ELb0ELb0ELb0EEEvllPKT_S5_PKT0_S8_PS3_S9_,comdat
	.globl	_ZN2at6native12_GLOBAL__N_135GammaBetaBackwardCUDAKernelTemplateIffLj32ELj16ELj128ELb0ELb0ELb0EEEvllPKT_S5_PKT0_S8_PS3_S9_ ; -- Begin function _ZN2at6native12_GLOBAL__N_135GammaBetaBackwardCUDAKernelTemplateIffLj32ELj16ELj128ELb0ELb0ELb0EEEvllPKT_S5_PKT0_S8_PS3_S9_
	.p2align	8
	.type	_ZN2at6native12_GLOBAL__N_135GammaBetaBackwardCUDAKernelTemplateIffLj32ELj16ELj128ELb0ELb0ELb0EEEvllPKT_S5_PKT0_S8_PS3_S9_,@function
_ZN2at6native12_GLOBAL__N_135GammaBetaBackwardCUDAKernelTemplateIffLj32ELj16ELj128ELb0ELb0ELb0EEEvllPKT_S5_PKT0_S8_PS3_S9_: ; @_ZN2at6native12_GLOBAL__N_135GammaBetaBackwardCUDAKernelTemplateIffLj32ELj16ELj128ELb0ELb0ELb0EEEvllPKT_S5_PKT0_S8_PS3_S9_
; %bb.0:
	s_load_dwordx8 s[12:19], s[4:5], 0x0
	s_load_dwordx4 s[20:23], s[4:5], 0x20
	s_lshl_b32 s10, s7, 7
	s_lshl_b32 s33, s6, 5
	s_mov_b32 s11, 0
	v_mov_b32_e32 v2, s10
	s_or_b32 s0, s33, 31
	v_mov_b32_e32 v3, s11
	v_mov_b32_e32 v18, s0
	;; [unrolled: 1-line block ×3, first 2 shown]
	s_waitcnt lgkmcnt(0)
	v_cmp_gt_i64_e64 s[0:1], s[12:13], v[2:3]
	v_cmp_le_i64_e32 vcc, s[14:15], v[18:19]
	v_cndmask_b32_e64 v2, 0, 1, s[0:1]
	v_cmp_ne_u32_e64 s[0:1], 1, v2
	s_cbranch_vccz .LBB67_49
; %bb.1:
	s_and_b64 vcc, exec, s[0:1]
	v_mov_b32_e32 v55, 0
	s_cbranch_vccnz .LBB67_50
; %bb.2:
	v_lshlrev_b32_e32 v22, 3, v1
	v_add_co_u32_e32 v9, vcc, s10, v22
	v_addc_co_u32_e64 v10, s[2:3], 0, 0, vcc
	v_mul_lo_u32 v7, s15, v9
	v_mul_lo_u32 v8, s14, v10
	v_mad_u64_u32 v[5:6], s[2:3], s14, v9, 0
	v_mov_b32_e32 v2, 0
	s_load_dword s7, s[4:5], 0x44
	v_add_u32_e32 v3, s33, v0
	v_mov_b32_e32 v4, v2
	v_add3_u32 v6, v6, v8, v7
	v_cmp_gt_i64_e64 s[2:3], s[14:15], v[3:4]
	v_lshlrev_b64 v[20:21], 2, v[3:4]
	v_lshlrev_b64 v[3:4], 2, v[5:6]
	s_add_u32 s24, s4, 64
	v_mov_b32_e32 v7, s17
	v_add_co_u32_e32 v23, vcc, s16, v3
	s_addc_u32 s25, s5, 0
	s_waitcnt lgkmcnt(0)
	s_lshl_b32 s7, s7, 7
	v_addc_co_u32_e32 v24, vcc, v7, v4, vcc
	s_mul_i32 s8, s15, s7
	s_mul_hi_u32 s9, s14, s7
	v_add_co_u32_e32 v7, vcc, 7, v9
	s_add_i32 s9, s9, s8
	s_mul_i32 s8, s14, s7
	v_addc_co_u32_e32 v8, vcc, 0, v10, vcc
	s_lshl_b64 s[26:27], s[8:9], 2
	v_mul_lo_u32 v12, s15, v7
	v_mul_lo_u32 v13, s14, v8
	v_mad_u64_u32 v[7:8], s[8:9], s14, v7, 0
	v_mov_b32_e32 v11, s19
	v_add_co_u32_e32 v25, vcc, s18, v3
	v_add3_u32 v8, v8, v13, v12
	v_addc_co_u32_e32 v26, vcc, v11, v4, vcc
	v_lshlrev_b64 v[3:4], 2, v[7:8]
	v_mov_b32_e32 v7, s17
	v_add_co_u32_e32 v27, vcc, s16, v3
	v_addc_co_u32_e32 v28, vcc, v7, v4, vcc
	v_add_co_u32_e32 v7, vcc, 6, v9
	v_addc_co_u32_e32 v8, vcc, 0, v10, vcc
	v_mul_lo_u32 v12, s15, v7
	v_mul_lo_u32 v13, s14, v8
	v_mad_u64_u32 v[7:8], s[8:9], s14, v7, 0
	v_add_co_u32_e32 v29, vcc, s18, v3
	v_add3_u32 v8, v8, v13, v12
	v_addc_co_u32_e32 v30, vcc, v11, v4, vcc
	v_lshlrev_b64 v[3:4], 2, v[7:8]
	v_mov_b32_e32 v7, s17
	v_add_co_u32_e32 v31, vcc, s16, v3
	v_addc_co_u32_e32 v32, vcc, v7, v4, vcc
	v_add_co_u32_e32 v7, vcc, 5, v9
	v_addc_co_u32_e32 v8, vcc, 0, v10, vcc
	v_mul_lo_u32 v12, s15, v7
	v_mul_lo_u32 v13, s14, v8
	v_mad_u64_u32 v[7:8], s[8:9], s14, v7, 0
	;; [unrolled: 12-line block ×5, first 2 shown]
	v_add_co_u32_e32 v45, vcc, s18, v3
	v_add3_u32 v8, v8, v10, v9
	v_addc_co_u32_e32 v46, vcc, v11, v4, vcc
	v_lshlrev_b64 v[3:4], 2, v[7:8]
	v_mov_b32_e32 v7, s17
	v_add_co_u32_e32 v47, vcc, s16, v3
	v_addc_co_u32_e32 v48, vcc, v7, v4, vcc
	v_mov_b32_e32 v7, s19
	v_add_co_u32_e32 v49, vcc, s18, v3
	v_addc_co_u32_e32 v50, vcc, v7, v4, vcc
	;; [unrolled: 3-line block ×3, first 2 shown]
	v_lshlrev_b64 v[3:4], 2, v[3:4]
	v_mov_b32_e32 v5, s17
	v_add_co_u32_e32 v51, vcc, s16, v3
	v_addc_co_u32_e32 v52, vcc, v5, v4, vcc
	v_add_co_u32_e32 v53, vcc, s18, v3
	v_mbcnt_lo_u32_b32 v3, -1, 0
	v_mbcnt_hi_u32_b32 v3, -1, v3
	v_mov_b32_e32 v5, s19
	s_add_u32 s28, s10, 0x7f
	v_lshlrev_b32_e32 v3, 2, v3
	v_addc_co_u32_e32 v54, vcc, v5, v4, vcc
	s_addc_u32 s29, 0, 0
	v_and_b32_e32 v56, 0x100, v3
	v_mov_b32_e32 v57, 0
	v_mov_b32_e32 v19, 0
	s_mov_b64 s[30:31], s[10:11]
.LBB67_3:                               ; =>This Inner Loop Header: Depth=1
	v_mov_b32_e32 v3, s12
	v_mov_b32_e32 v4, s13
	v_cmp_ge_i64_e32 vcc, s[28:29], v[3:4]
	v_mov_b32_e32 v3, s29
	v_add_co_u32_e64 v58, s[8:9], s28, v22
	v_addc_co_u32_e64 v59, s[8:9], 0, v3, s[8:9]
	s_mov_b64 s[8:9], -1
	s_and_b64 vcc, exec, vcc
                                        ; implicit-def: $vgpr3_vgpr4_vgpr5_vgpr6_vgpr7_vgpr8_vgpr9_vgpr10
                                        ; implicit-def: $vgpr62
                                        ; implicit-def: $vgpr11_vgpr12_vgpr13_vgpr14_vgpr15_vgpr16_vgpr17_vgpr18
                                        ; implicit-def: $vgpr3
                                        ; implicit-def: $vgpr4
                                        ; implicit-def: $vgpr55
	s_cbranch_vccz .LBB67_25
; %bb.4:                                ;   in Loop: Header=BB67_3 Depth=1
	s_load_dword s8, s[24:25], 0xc
	v_mov_b32_e32 v60, 0
	v_mov_b32_e32 v61, 0
	s_waitcnt lgkmcnt(0)
	s_and_b32 s8, s8, 0xffff
	v_mad_u32_u24 v3, v1, s8, v0
	v_and_b32_e32 v3, 63, v3
	v_cmp_gt_u32_e32 vcc, 8, v3
	s_and_saveexec_b64 s[8:9], vcc
	s_cbranch_execz .LBB67_8
; %bb.5:                                ;   in Loop: Header=BB67_3 Depth=1
	v_add_co_u32_e32 v3, vcc, v58, v3
	v_addc_co_u32_e32 v4, vcc, 0, v59, vcc
	v_add_co_u32_e32 v3, vcc, 0xffffff81, v3
	v_addc_co_u32_e32 v4, vcc, -1, v4, vcc
	v_cmp_gt_i64_e32 vcc, s[12:13], v[3:4]
	v_mov_b32_e32 v61, 0
	v_mov_b32_e32 v60, 0
	s_and_saveexec_b64 s[34:35], vcc
	s_cbranch_execz .LBB67_7
; %bb.6:                                ;   in Loop: Header=BB67_3 Depth=1
	v_lshlrev_b64 v[3:4], 2, v[3:4]
	v_mov_b32_e32 v6, s23
	v_add_co_u32_e32 v5, vcc, s22, v3
	v_addc_co_u32_e32 v6, vcc, v6, v4, vcc
	v_mov_b32_e32 v7, s21
	v_add_co_u32_e32 v3, vcc, s20, v3
	v_addc_co_u32_e32 v4, vcc, v7, v4, vcc
	global_load_dword v61, v[3:4], off
	global_load_dword v60, v[5:6], off
.LBB67_7:                               ;   in Loop: Header=BB67_3 Depth=1
	s_or_b64 exec, exec, s[34:35]
.LBB67_8:                               ;   in Loop: Header=BB67_3 Depth=1
	s_or_b64 exec, exec, s[8:9]
	v_add_co_u32_e32 v3, vcc, 0xffffff81, v58
	v_addc_co_u32_e32 v4, vcc, -1, v59, vcc
	v_mov_b32_e32 v9, v2
	v_cmp_gt_i64_e32 vcc, s[12:13], v[3:4]
	v_mov_b32_e32 v3, v2
	v_mov_b32_e32 v4, v2
	;; [unrolled: 1-line block ×15, first 2 shown]
	s_and_b64 s[34:35], s[2:3], vcc
	v_mov_b32_e32 v9, v8
	v_mov_b32_e32 v8, v7
	;; [unrolled: 1-line block ×7, first 2 shown]
	s_and_saveexec_b64 s[8:9], s[34:35]
	s_cbranch_execz .LBB67_10
; %bb.9:                                ;   in Loop: Header=BB67_3 Depth=1
	v_add_co_u32_e32 v3, vcc, v23, v20
	v_addc_co_u32_e32 v4, vcc, v24, v21, vcc
	global_load_dword v3, v[3:4], off
	v_add_co_u32_e32 v4, vcc, v25, v20
	v_addc_co_u32_e32 v5, vcc, v26, v21, vcc
	global_load_dword v11, v[4:5], off
	v_mov_b32_e32 v4, v2
	v_mov_b32_e32 v5, v2
	;; [unrolled: 1-line block ×14, first 2 shown]
.LBB67_10:                              ;   in Loop: Header=BB67_3 Depth=1
	s_or_b64 exec, exec, s[8:9]
	v_add_co_u32_e32 v62, vcc, 0xffffff82, v58
	v_addc_co_u32_e32 v63, vcc, -1, v59, vcc
	v_cmp_gt_i64_e32 vcc, s[12:13], v[62:63]
	s_and_b64 s[34:35], s[2:3], vcc
	s_and_saveexec_b64 s[8:9], s[34:35]
	s_cbranch_execz .LBB67_12
; %bb.11:                               ;   in Loop: Header=BB67_3 Depth=1
	v_add_co_u32_e32 v62, vcc, v51, v20
	v_addc_co_u32_e32 v63, vcc, v52, v21, vcc
	global_load_dword v4, v[62:63], off
	v_add_co_u32_e32 v62, vcc, v53, v20
	v_addc_co_u32_e32 v63, vcc, v54, v21, vcc
	global_load_dword v12, v[62:63], off
.LBB67_12:                              ;   in Loop: Header=BB67_3 Depth=1
	s_or_b64 exec, exec, s[8:9]
	v_add_co_u32_e32 v62, vcc, 0xffffff83, v58
	v_addc_co_u32_e32 v63, vcc, -1, v59, vcc
	v_cmp_gt_i64_e32 vcc, s[12:13], v[62:63]
	s_and_b64 s[34:35], s[2:3], vcc
	s_and_saveexec_b64 s[8:9], s[34:35]
	s_cbranch_execz .LBB67_14
; %bb.13:                               ;   in Loop: Header=BB67_3 Depth=1
	v_add_co_u32_e32 v62, vcc, v47, v20
	v_addc_co_u32_e32 v63, vcc, v48, v21, vcc
	global_load_dword v5, v[62:63], off
	v_add_co_u32_e32 v62, vcc, v49, v20
	v_addc_co_u32_e32 v63, vcc, v50, v21, vcc
	global_load_dword v13, v[62:63], off
.LBB67_14:                              ;   in Loop: Header=BB67_3 Depth=1
	s_or_b64 exec, exec, s[8:9]
	v_add_co_u32_e32 v62, vcc, 0xffffff84, v58
	v_addc_co_u32_e32 v63, vcc, -1, v59, vcc
	v_cmp_gt_i64_e32 vcc, s[12:13], v[62:63]
	s_and_b64 s[34:35], s[2:3], vcc
	s_and_saveexec_b64 s[8:9], s[34:35]
	s_cbranch_execz .LBB67_16
; %bb.15:                               ;   in Loop: Header=BB67_3 Depth=1
	v_add_co_u32_e32 v62, vcc, v43, v20
	v_addc_co_u32_e32 v63, vcc, v44, v21, vcc
	global_load_dword v6, v[62:63], off
	v_add_co_u32_e32 v62, vcc, v45, v20
	v_addc_co_u32_e32 v63, vcc, v46, v21, vcc
	global_load_dword v14, v[62:63], off
.LBB67_16:                              ;   in Loop: Header=BB67_3 Depth=1
	s_or_b64 exec, exec, s[8:9]
	v_add_co_u32_e32 v62, vcc, 0xffffff85, v58
	v_addc_co_u32_e32 v63, vcc, -1, v59, vcc
	v_cmp_gt_i64_e32 vcc, s[12:13], v[62:63]
	s_and_b64 s[34:35], s[2:3], vcc
	s_and_saveexec_b64 s[8:9], s[34:35]
	s_cbranch_execz .LBB67_18
; %bb.17:                               ;   in Loop: Header=BB67_3 Depth=1
	v_add_co_u32_e32 v62, vcc, v39, v20
	v_addc_co_u32_e32 v63, vcc, v40, v21, vcc
	global_load_dword v7, v[62:63], off
	v_add_co_u32_e32 v62, vcc, v41, v20
	v_addc_co_u32_e32 v63, vcc, v42, v21, vcc
	global_load_dword v15, v[62:63], off
.LBB67_18:                              ;   in Loop: Header=BB67_3 Depth=1
	s_or_b64 exec, exec, s[8:9]
	v_add_co_u32_e32 v62, vcc, 0xffffff86, v58
	v_addc_co_u32_e32 v63, vcc, -1, v59, vcc
	v_cmp_gt_i64_e32 vcc, s[12:13], v[62:63]
	s_and_b64 s[34:35], s[2:3], vcc
	s_and_saveexec_b64 s[8:9], s[34:35]
	s_cbranch_execz .LBB67_20
; %bb.19:                               ;   in Loop: Header=BB67_3 Depth=1
	v_add_co_u32_e32 v62, vcc, v35, v20
	v_addc_co_u32_e32 v63, vcc, v36, v21, vcc
	global_load_dword v8, v[62:63], off
	v_add_co_u32_e32 v62, vcc, v37, v20
	v_addc_co_u32_e32 v63, vcc, v38, v21, vcc
	global_load_dword v16, v[62:63], off
.LBB67_20:                              ;   in Loop: Header=BB67_3 Depth=1
	s_or_b64 exec, exec, s[8:9]
	v_add_co_u32_e32 v62, vcc, 0xffffff87, v58
	v_addc_co_u32_e32 v63, vcc, -1, v59, vcc
	v_cmp_gt_i64_e32 vcc, s[12:13], v[62:63]
	s_and_b64 s[34:35], s[2:3], vcc
	s_and_saveexec_b64 s[8:9], s[34:35]
	s_cbranch_execz .LBB67_22
; %bb.21:                               ;   in Loop: Header=BB67_3 Depth=1
	v_add_co_u32_e32 v62, vcc, v31, v20
	v_addc_co_u32_e32 v63, vcc, v32, v21, vcc
	global_load_dword v9, v[62:63], off
	v_add_co_u32_e32 v62, vcc, v33, v20
	v_addc_co_u32_e32 v63, vcc, v34, v21, vcc
	global_load_dword v17, v[62:63], off
.LBB67_22:                              ;   in Loop: Header=BB67_3 Depth=1
	s_or_b64 exec, exec, s[8:9]
	v_add_co_u32_e32 v62, vcc, 0xffffff88, v58
	v_addc_co_u32_e32 v63, vcc, -1, v59, vcc
	v_cmp_gt_i64_e32 vcc, s[12:13], v[62:63]
	s_and_b64 s[34:35], s[2:3], vcc
	s_and_saveexec_b64 s[8:9], s[34:35]
	s_cbranch_execz .LBB67_24
; %bb.23:                               ;   in Loop: Header=BB67_3 Depth=1
	v_add_co_u32_e32 v62, vcc, v27, v20
	v_addc_co_u32_e32 v63, vcc, v28, v21, vcc
	global_load_dword v10, v[62:63], off
	v_add_co_u32_e32 v62, vcc, v29, v20
	v_addc_co_u32_e32 v63, vcc, v30, v21, vcc
	global_load_dword v18, v[62:63], off
.LBB67_24:                              ;   in Loop: Header=BB67_3 Depth=1
	s_or_b64 exec, exec, s[8:9]
	s_waitcnt vmcnt(1)
	ds_bpermute_b32 v55, v56, v61
	s_waitcnt vmcnt(0)
	ds_bpermute_b32 v62, v56, v60
	ds_bpermute_b32 v64, v56, v61 offset:4
	ds_bpermute_b32 v65, v56, v60 offset:4
	v_add_f32_e32 v63, v19, v3
	s_waitcnt lgkmcnt(3)
	v_sub_f32_e32 v11, v11, v55
	v_mul_f32_e32 v3, v3, v11
	s_waitcnt lgkmcnt(2)
	v_fma_f32 v55, v3, v62, v57
	s_waitcnt lgkmcnt(1)
	v_sub_f32_e32 v3, v12, v64
	ds_bpermute_b32 v11, v56, v61 offset:8
	v_mul_f32_e32 v3, v4, v3
	s_waitcnt lgkmcnt(1)
	v_fmac_f32_e32 v55, v3, v65
	ds_bpermute_b32 v3, v56, v60 offset:8
	ds_bpermute_b32 v12, v56, v61 offset:12
	s_waitcnt lgkmcnt(2)
	v_sub_f32_e32 v11, v13, v11
	v_mul_f32_e32 v11, v5, v11
	v_add_f32_e32 v4, v4, v63
	s_waitcnt lgkmcnt(1)
	v_fmac_f32_e32 v55, v11, v3
	ds_bpermute_b32 v3, v56, v60 offset:12
	v_add_f32_e32 v4, v5, v4
	s_waitcnt lgkmcnt(1)
	v_sub_f32_e32 v5, v14, v12
	ds_bpermute_b32 v11, v56, v61 offset:16
	v_mul_f32_e32 v5, v6, v5
	s_waitcnt lgkmcnt(1)
	v_fmac_f32_e32 v55, v5, v3
	ds_bpermute_b32 v3, v56, v60 offset:16
	v_add_f32_e32 v4, v6, v4
	s_waitcnt lgkmcnt(1)
	v_sub_f32_e32 v5, v15, v11
	ds_bpermute_b32 v6, v56, v61 offset:20
	v_mul_f32_e32 v5, v7, v5
	s_waitcnt lgkmcnt(1)
	v_fmac_f32_e32 v55, v5, v3
	ds_bpermute_b32 v3, v56, v60 offset:20
	ds_bpermute_b32 v62, v56, v60 offset:28
	s_waitcnt lgkmcnt(2)
	v_sub_f32_e32 v5, v16, v6
	ds_bpermute_b32 v6, v56, v61 offset:24
	v_mul_f32_e32 v5, v8, v5
	s_waitcnt lgkmcnt(2)
	v_fmac_f32_e32 v55, v5, v3
	ds_bpermute_b32 v5, v56, v60 offset:24
	ds_bpermute_b32 v3, v56, v61 offset:28
	v_add_f32_e32 v4, v7, v4
	s_waitcnt lgkmcnt(2)
	v_sub_f32_e32 v6, v17, v6
	v_add_f32_e32 v4, v8, v4
	v_mul_f32_e32 v6, v9, v6
	s_waitcnt lgkmcnt(1)
	v_fmac_f32_e32 v55, v6, v5
	v_add_f32_e32 v4, v9, v4
	s_mov_b64 s[8:9], 0
.LBB67_25:                              ;   in Loop: Header=BB67_3 Depth=1
	s_and_b64 vcc, exec, s[8:9]
	s_cbranch_vccz .LBB67_40
; %bb.26:                               ;   in Loop: Header=BB67_3 Depth=1
	s_load_dword s8, s[24:25], 0x0
	v_mov_b32_e32 v55, 0
	v_mov_b32_e32 v60, 0
	s_waitcnt lgkmcnt(0)
	s_cmp_lt_u32 s6, s8
	s_cselect_b32 s8, 12, 18
	s_add_u32 s8, s24, s8
	s_addc_u32 s9, s25, 0
	global_load_ushort v3, v2, s[8:9]
	s_waitcnt vmcnt(0)
	v_mad_u32_u24 v3, v1, v3, v0
	v_and_b32_e32 v3, 63, v3
	v_cmp_gt_u32_e32 vcc, 8, v3
	s_and_saveexec_b64 s[8:9], vcc
	s_cbranch_execz .LBB67_30
; %bb.27:                               ;   in Loop: Header=BB67_3 Depth=1
	v_add_co_u32_e32 v3, vcc, v58, v3
	v_addc_co_u32_e32 v4, vcc, 0, v59, vcc
	v_add_co_u32_e32 v3, vcc, 0xffffff81, v3
	v_addc_co_u32_e32 v4, vcc, -1, v4, vcc
	v_cmp_gt_i64_e32 vcc, s[12:13], v[3:4]
	v_mov_b32_e32 v60, 0
	v_mov_b32_e32 v55, 0
	s_and_saveexec_b64 s[34:35], vcc
	s_cbranch_execz .LBB67_29
; %bb.28:                               ;   in Loop: Header=BB67_3 Depth=1
	v_lshlrev_b64 v[3:4], 2, v[3:4]
	v_mov_b32_e32 v6, s23
	v_add_co_u32_e32 v5, vcc, s22, v3
	v_addc_co_u32_e32 v6, vcc, v6, v4, vcc
	v_mov_b32_e32 v7, s21
	v_add_co_u32_e32 v3, vcc, s20, v3
	v_addc_co_u32_e32 v4, vcc, v7, v4, vcc
	global_load_dword v60, v[3:4], off
	global_load_dword v55, v[5:6], off
.LBB67_29:                              ;   in Loop: Header=BB67_3 Depth=1
	s_or_b64 exec, exec, s[34:35]
.LBB67_30:                              ;   in Loop: Header=BB67_3 Depth=1
	s_or_b64 exec, exec, s[8:9]
	v_mov_b32_e32 v9, v2
	v_mov_b32_e32 v3, v2
	;; [unrolled: 1-line block ×23, first 2 shown]
	s_and_saveexec_b64 s[8:9], s[2:3]
	s_cbranch_execnz .LBB67_42
; %bb.31:                               ;   in Loop: Header=BB67_3 Depth=1
	s_or_b64 exec, exec, s[8:9]
	s_and_saveexec_b64 s[8:9], s[2:3]
	s_cbranch_execnz .LBB67_43
.LBB67_32:                              ;   in Loop: Header=BB67_3 Depth=1
	s_or_b64 exec, exec, s[8:9]
	s_and_saveexec_b64 s[8:9], s[2:3]
	s_cbranch_execnz .LBB67_44
.LBB67_33:                              ;   in Loop: Header=BB67_3 Depth=1
	s_or_b64 exec, exec, s[8:9]
	s_and_saveexec_b64 s[8:9], s[2:3]
	s_cbranch_execnz .LBB67_45
.LBB67_34:                              ;   in Loop: Header=BB67_3 Depth=1
	s_or_b64 exec, exec, s[8:9]
	s_and_saveexec_b64 s[8:9], s[2:3]
	s_cbranch_execnz .LBB67_46
.LBB67_35:                              ;   in Loop: Header=BB67_3 Depth=1
	s_or_b64 exec, exec, s[8:9]
	s_and_saveexec_b64 s[8:9], s[2:3]
	s_cbranch_execnz .LBB67_47
.LBB67_36:                              ;   in Loop: Header=BB67_3 Depth=1
	s_or_b64 exec, exec, s[8:9]
	s_and_saveexec_b64 s[8:9], s[2:3]
	s_cbranch_execnz .LBB67_48
.LBB67_37:                              ;   in Loop: Header=BB67_3 Depth=1
	s_or_b64 exec, exec, s[8:9]
	s_and_saveexec_b64 s[8:9], s[2:3]
	s_cbranch_execz .LBB67_39
.LBB67_38:                              ;   in Loop: Header=BB67_3 Depth=1
	v_add_co_u32_e32 v58, vcc, v27, v20
	v_addc_co_u32_e32 v59, vcc, v28, v21, vcc
	global_load_dword v10, v[58:59], off
	v_add_co_u32_e32 v58, vcc, v29, v20
	v_addc_co_u32_e32 v59, vcc, v30, v21, vcc
	global_load_dword v18, v[58:59], off
.LBB67_39:                              ;   in Loop: Header=BB67_3 Depth=1
	s_or_b64 exec, exec, s[8:9]
	s_waitcnt vmcnt(1)
	ds_bpermute_b32 v58, v56, v60
	s_waitcnt vmcnt(0)
	ds_bpermute_b32 v59, v56, v55
	ds_bpermute_b32 v61, v56, v60 offset:4
	ds_bpermute_b32 v62, v56, v55 offset:4
	v_add_f32_e32 v19, v19, v3
	s_waitcnt lgkmcnt(3)
	v_sub_f32_e32 v11, v11, v58
	v_mul_f32_e32 v3, v3, v11
	s_waitcnt lgkmcnt(2)
	v_fmac_f32_e32 v57, v3, v59
	s_waitcnt lgkmcnt(1)
	v_sub_f32_e32 v3, v12, v61
	ds_bpermute_b32 v11, v56, v60 offset:8
	v_mul_f32_e32 v3, v4, v3
	s_waitcnt lgkmcnt(1)
	v_fmac_f32_e32 v57, v3, v62
	ds_bpermute_b32 v3, v56, v55 offset:8
	ds_bpermute_b32 v12, v56, v60 offset:12
	s_waitcnt lgkmcnt(2)
	v_sub_f32_e32 v11, v13, v11
	v_mul_f32_e32 v11, v5, v11
	v_add_f32_e32 v4, v4, v19
	s_waitcnt lgkmcnt(1)
	v_fmac_f32_e32 v57, v11, v3
	ds_bpermute_b32 v3, v56, v55 offset:12
	v_add_f32_e32 v4, v5, v4
	s_waitcnt lgkmcnt(1)
	v_sub_f32_e32 v5, v14, v12
	ds_bpermute_b32 v11, v56, v60 offset:16
	v_mul_f32_e32 v5, v6, v5
	s_waitcnt lgkmcnt(1)
	v_fmac_f32_e32 v57, v5, v3
	ds_bpermute_b32 v3, v56, v55 offset:16
	v_add_f32_e32 v4, v6, v4
	s_waitcnt lgkmcnt(1)
	v_sub_f32_e32 v5, v15, v11
	ds_bpermute_b32 v6, v56, v60 offset:20
	v_mul_f32_e32 v5, v7, v5
	s_waitcnt lgkmcnt(1)
	v_fmac_f32_e32 v57, v5, v3
	ds_bpermute_b32 v3, v56, v55 offset:20
	ds_bpermute_b32 v62, v56, v55 offset:28
	s_waitcnt lgkmcnt(2)
	v_sub_f32_e32 v5, v16, v6
	ds_bpermute_b32 v6, v56, v60 offset:24
	v_mul_f32_e32 v5, v8, v5
	s_waitcnt lgkmcnt(2)
	v_fmac_f32_e32 v57, v5, v3
	ds_bpermute_b32 v5, v56, v55 offset:24
	ds_bpermute_b32 v3, v56, v60 offset:28
	s_waitcnt lgkmcnt(2)
	v_sub_f32_e32 v6, v17, v6
	v_add_f32_e32 v4, v7, v4
	v_mul_f32_e32 v6, v9, v6
	v_add_f32_e32 v4, v8, v4
	s_waitcnt lgkmcnt(1)
	v_fmac_f32_e32 v57, v6, v5
	v_add_f32_e32 v4, v9, v4
	v_mov_b32_e32 v55, v57
.LBB67_40:                              ;   in Loop: Header=BB67_3 Depth=1
	s_waitcnt lgkmcnt(0)
	v_sub_f32_e32 v3, v18, v3
	v_mul_f32_e32 v3, v10, v3
	v_fmac_f32_e32 v55, v3, v62
	v_mov_b32_e32 v3, s27
	v_add_co_u32_e32 v23, vcc, s26, v23
	v_addc_co_u32_e32 v24, vcc, v24, v3, vcc
	v_add_co_u32_e32 v25, vcc, s26, v25
	v_addc_co_u32_e32 v26, vcc, v26, v3, vcc
	;; [unrolled: 2-line block ×15, first 2 shown]
	v_add_co_u32_e32 v53, vcc, s26, v53
	v_add_f32_e32 v19, v4, v10
	s_add_u32 s30, s30, s7
	v_addc_co_u32_e32 v54, vcc, v54, v3, vcc
	v_mov_b32_e32 v3, s12
	s_addc_u32 s31, s31, 0
	v_mov_b32_e32 v4, s13
	v_cmp_lt_i64_e32 vcc, s[30:31], v[3:4]
	s_add_u32 s28, s28, s7
	s_addc_u32 s29, s29, 0
	s_cbranch_vccz .LBB67_50
; %bb.41:                               ;   in Loop: Header=BB67_3 Depth=1
	v_mov_b32_e32 v57, v55
	s_branch .LBB67_3
.LBB67_42:                              ;   in Loop: Header=BB67_3 Depth=1
	v_add_co_u32_e32 v3, vcc, v23, v20
	v_addc_co_u32_e32 v4, vcc, v24, v21, vcc
	global_load_dword v3, v[3:4], off
	v_add_co_u32_e32 v4, vcc, v25, v20
	v_addc_co_u32_e32 v5, vcc, v26, v21, vcc
	global_load_dword v11, v[4:5], off
	v_mov_b32_e32 v4, v2
	v_mov_b32_e32 v5, v2
	;; [unrolled: 1-line block ×14, first 2 shown]
	s_or_b64 exec, exec, s[8:9]
	s_and_saveexec_b64 s[8:9], s[2:3]
	s_cbranch_execz .LBB67_32
.LBB67_43:                              ;   in Loop: Header=BB67_3 Depth=1
	v_add_co_u32_e32 v58, vcc, v51, v20
	v_addc_co_u32_e32 v59, vcc, v52, v21, vcc
	global_load_dword v4, v[58:59], off
	v_add_co_u32_e32 v58, vcc, v53, v20
	v_addc_co_u32_e32 v59, vcc, v54, v21, vcc
	global_load_dword v12, v[58:59], off
	s_or_b64 exec, exec, s[8:9]
	s_and_saveexec_b64 s[8:9], s[2:3]
	s_cbranch_execz .LBB67_33
.LBB67_44:                              ;   in Loop: Header=BB67_3 Depth=1
	v_add_co_u32_e32 v58, vcc, v47, v20
	v_addc_co_u32_e32 v59, vcc, v48, v21, vcc
	global_load_dword v5, v[58:59], off
	v_add_co_u32_e32 v58, vcc, v49, v20
	v_addc_co_u32_e32 v59, vcc, v50, v21, vcc
	global_load_dword v13, v[58:59], off
	s_or_b64 exec, exec, s[8:9]
	s_and_saveexec_b64 s[8:9], s[2:3]
	s_cbranch_execz .LBB67_34
.LBB67_45:                              ;   in Loop: Header=BB67_3 Depth=1
	v_add_co_u32_e32 v58, vcc, v43, v20
	v_addc_co_u32_e32 v59, vcc, v44, v21, vcc
	global_load_dword v6, v[58:59], off
	v_add_co_u32_e32 v58, vcc, v45, v20
	v_addc_co_u32_e32 v59, vcc, v46, v21, vcc
	global_load_dword v14, v[58:59], off
	s_or_b64 exec, exec, s[8:9]
	s_and_saveexec_b64 s[8:9], s[2:3]
	s_cbranch_execz .LBB67_35
.LBB67_46:                              ;   in Loop: Header=BB67_3 Depth=1
	v_add_co_u32_e32 v58, vcc, v39, v20
	v_addc_co_u32_e32 v59, vcc, v40, v21, vcc
	global_load_dword v7, v[58:59], off
	v_add_co_u32_e32 v58, vcc, v41, v20
	v_addc_co_u32_e32 v59, vcc, v42, v21, vcc
	global_load_dword v15, v[58:59], off
	s_or_b64 exec, exec, s[8:9]
	s_and_saveexec_b64 s[8:9], s[2:3]
	s_cbranch_execz .LBB67_36
.LBB67_47:                              ;   in Loop: Header=BB67_3 Depth=1
	v_add_co_u32_e32 v58, vcc, v35, v20
	v_addc_co_u32_e32 v59, vcc, v36, v21, vcc
	global_load_dword v8, v[58:59], off
	v_add_co_u32_e32 v58, vcc, v37, v20
	v_addc_co_u32_e32 v59, vcc, v38, v21, vcc
	global_load_dword v16, v[58:59], off
	s_or_b64 exec, exec, s[8:9]
	s_and_saveexec_b64 s[8:9], s[2:3]
	s_cbranch_execz .LBB67_37
.LBB67_48:                              ;   in Loop: Header=BB67_3 Depth=1
	v_add_co_u32_e32 v58, vcc, v31, v20
	v_addc_co_u32_e32 v59, vcc, v32, v21, vcc
	global_load_dword v9, v[58:59], off
	v_add_co_u32_e32 v58, vcc, v33, v20
	v_addc_co_u32_e32 v59, vcc, v34, v21, vcc
	global_load_dword v17, v[58:59], off
	s_or_b64 exec, exec, s[8:9]
	s_and_saveexec_b64 s[8:9], s[2:3]
	s_cbranch_execnz .LBB67_38
	s_branch .LBB67_39
.LBB67_49:
                                        ; implicit-def: $vgpr19
                                        ; implicit-def: $vgpr55
	s_branch .LBB67_51
.LBB67_50:
	s_cbranch_execnz .LBB67_82
.LBB67_51:
	v_mov_b32_e32 v19, 0
	s_and_b64 vcc, exec, s[0:1]
	v_mov_b32_e32 v55, 0
	s_cbranch_vccnz .LBB67_82
; %bb.52:
	v_lshlrev_b32_e32 v50, 3, v1
	v_add_co_u32_e32 v6, vcc, s10, v50
	v_addc_co_u32_e64 v7, s[0:1], 0, 0, vcc
	s_load_dword s7, s[4:5], 0x44
	v_mul_lo_u32 v2, s15, v6
	v_mul_lo_u32 v3, s14, v7
	v_mad_u64_u32 v[4:5], s[0:1], s14, v6, 0
	s_add_u32 s2, s4, 64
	s_addc_u32 s3, s5, 0
	v_add3_u32 v5, v5, v3, v2
	s_waitcnt lgkmcnt(0)
	s_lshl_b32 s7, s7, 7
	v_lshlrev_b64 v[2:3], 2, v[4:5]
	s_mul_i32 s0, s15, s7
	s_mul_hi_u32 s1, s14, s7
	v_mov_b32_e32 v8, s17
	v_add_co_u32_e32 v51, vcc, s16, v2
	s_add_i32 s1, s1, s0
	s_mul_i32 s0, s14, s7
	v_addc_co_u32_e32 v52, vcc, v8, v3, vcc
	s_lshl_b64 s[8:9], s[0:1], 2
	v_mov_b32_e32 v8, s19
	v_add_co_u32_e32 v53, vcc, s18, v2
	s_add_u32 s24, s10, 0x7f
	v_addc_co_u32_e32 v54, vcc, v8, v3, vcc
	s_addc_u32 s25, 0, 0
	v_lshlrev_b32_e32 v2, 5, v1
	s_lshl_b64 s[0:1], s[10:11], 2
	v_mov_b32_e32 v3, s1
	v_add_co_u32_e32 v8, vcc, s0, v2
	v_addc_co_u32_e32 v9, vcc, 0, v3, vcc
	v_add_co_u32_e32 v12, vcc, 4, v8
	v_addc_co_u32_e32 v10, vcc, 0, v9, vcc
	v_mov_b32_e32 v2, s16
	v_mul_lo_u32 v14, s14, v10
	v_mov_b32_e32 v10, s18
	v_mov_b32_e32 v3, s17
	;; [unrolled: 1-line block ×3, first 2 shown]
	v_mad_u64_u32 v[20:21], s[0:1], s14, v12, v[2:3]
	v_mul_lo_u32 v15, s15, v12
	v_mad_u64_u32 v[22:23], s[0:1], s14, v12, v[10:11]
	v_add_co_u32_e32 v12, vcc, 8, v8
	v_addc_co_u32_e32 v16, vcc, 0, v9, vcc
	v_mov_b32_e32 v13, s15
	v_add_co_u32_e32 v4, vcc, s14, v4
	v_addc_co_u32_e32 v5, vcc, v5, v13, vcc
	v_mul_lo_u32 v17, s15, v12
	v_mad_u64_u32 v[24:25], s[0:1], s14, v12, v[2:3]
	v_mad_u64_u32 v[26:27], s[0:1], s14, v12, v[10:11]
	v_add_co_u32_e32 v12, vcc, 12, v8
	v_addc_co_u32_e32 v13, vcc, 0, v9, vcc
	v_add3_u32 v21, v15, v21, v14
	v_add3_u32 v23, v15, v23, v14
	v_mul_lo_u32 v13, s14, v13
	v_mul_lo_u32 v14, s15, v12
	v_mad_u64_u32 v[28:29], s[0:1], s14, v12, v[2:3]
	v_mad_u64_u32 v[30:31], s[0:1], s14, v12, v[10:11]
	v_add_co_u32_e32 v12, vcc, 16, v8
	v_mul_lo_u32 v16, s14, v16
	v_addc_co_u32_e32 v15, vcc, 0, v9, vcc
	v_mul_lo_u32 v18, s15, v12
	v_mad_u64_u32 v[32:33], s[0:1], s14, v12, v[2:3]
	v_mad_u64_u32 v[34:35], s[0:1], s14, v12, v[10:11]
	v_add_co_u32_e32 v12, vcc, 20, v8
	v_add3_u32 v29, v14, v29, v13
	v_add3_u32 v31, v14, v31, v13
	v_addc_co_u32_e32 v13, vcc, 0, v9, vcc
	v_mul_lo_u32 v14, s15, v12
	v_mad_u64_u32 v[36:37], s[0:1], s14, v12, v[2:3]
	v_mad_u64_u32 v[38:39], s[0:1], s14, v12, v[10:11]
	v_add_co_u32_e32 v12, vcc, 24, v8
	v_add3_u32 v25, v17, v25, v16
	v_add3_u32 v27, v17, v27, v16
	v_addc_co_u32_e32 v16, vcc, 0, v9, vcc
	v_add_co_u32_e32 v8, vcc, 28, v8
	v_addc_co_u32_e32 v9, vcc, 0, v9, vcc
	v_mad_u64_u32 v[40:41], s[0:1], s14, v12, v[2:3]
	v_mad_u64_u32 v[44:45], s[0:1], s14, v8, v[2:3]
	v_add_co_u32_e32 v2, vcc, 7, v6
	v_addc_co_u32_e32 v3, vcc, 0, v7, vcc
	v_mad_u64_u32 v[42:43], s[0:1], s14, v12, v[10:11]
	v_mad_u64_u32 v[46:47], s[0:1], s14, v8, v[10:11]
	v_mul_lo_u32 v10, s14, v3
	v_mul_lo_u32 v11, s15, v2
	v_mad_u64_u32 v[2:3], s[0:1], s14, v2, 0
	v_mul_lo_u32 v9, s14, v9
	v_mul_lo_u32 v8, s15, v8
	v_add3_u32 v3, v3, v10, v11
	v_lshlrev_b64 v[2:3], 2, v[2:3]
	v_mul_lo_u32 v17, s15, v12
	v_add3_u32 v45, v8, v45, v9
	v_add3_u32 v47, v8, v47, v9
	v_mov_b32_e32 v8, s17
	v_add_co_u32_e32 v56, vcc, s16, v2
	v_addc_co_u32_e32 v57, vcc, v8, v3, vcc
	v_add_co_u32_e32 v8, vcc, 6, v6
	v_addc_co_u32_e32 v9, vcc, 0, v7, vcc
	v_mul_lo_u32 v11, s14, v9
	v_mul_lo_u32 v12, s15, v8
	v_mad_u64_u32 v[8:9], s[0:1], s14, v8, 0
	v_mov_b32_e32 v10, s19
	v_add_co_u32_e32 v58, vcc, s18, v2
	v_add3_u32 v9, v9, v11, v12
	v_addc_co_u32_e32 v59, vcc, v10, v3, vcc
	v_lshlrev_b64 v[2:3], 2, v[8:9]
	v_mov_b32_e32 v8, s17
	v_add_co_u32_e32 v60, vcc, s16, v2
	v_addc_co_u32_e32 v61, vcc, v8, v3, vcc
	v_add_co_u32_e32 v8, vcc, 5, v6
	v_addc_co_u32_e32 v9, vcc, 0, v7, vcc
	v_mul_lo_u32 v11, s14, v9
	v_mul_lo_u32 v12, s15, v8
	v_mad_u64_u32 v[8:9], s[0:1], s14, v8, 0
	v_add_co_u32_e32 v62, vcc, s18, v2
	v_add3_u32 v9, v9, v11, v12
	v_addc_co_u32_e32 v63, vcc, v10, v3, vcc
	v_lshlrev_b64 v[2:3], 2, v[8:9]
	v_mov_b32_e32 v8, s17
	v_add_co_u32_e32 v64, vcc, s16, v2
	v_addc_co_u32_e32 v65, vcc, v8, v3, vcc
	v_add_co_u32_e32 v8, vcc, 4, v6
	v_addc_co_u32_e32 v9, vcc, 0, v7, vcc
	v_mul_lo_u32 v11, s14, v9
	v_mul_lo_u32 v12, s15, v8
	v_mad_u64_u32 v[8:9], s[0:1], s14, v8, 0
	;; [unrolled: 12-line block ×4, first 2 shown]
	v_mov_b32_e32 v8, s19
	v_add_co_u32_e32 v74, vcc, s18, v2
	v_add3_u32 v7, v7, v9, v10
	v_addc_co_u32_e32 v75, vcc, v8, v3, vcc
	v_lshlrev_b64 v[2:3], 2, v[6:7]
	v_mov_b32_e32 v6, s17
	v_add_co_u32_e32 v76, vcc, s16, v2
	v_addc_co_u32_e32 v77, vcc, v6, v3, vcc
	v_mov_b32_e32 v6, s19
	v_add_co_u32_e32 v78, vcc, s18, v2
	v_addc_co_u32_e32 v79, vcc, v6, v3, vcc
	v_lshlrev_b64 v[2:3], 2, v[4:5]
	v_mov_b32_e32 v4, s17
	v_add_co_u32_e32 v80, vcc, s16, v2
	v_addc_co_u32_e32 v81, vcc, v4, v3, vcc
	v_mov_b32_e32 v4, s19
	v_add_co_u32_e32 v82, vcc, s18, v2
	v_mov_b32_e32 v2, 0
	v_mul_lo_u32 v15, s14, v15
	v_mul_lo_u32 v13, s14, v13
	;; [unrolled: 1-line block ×3, first 2 shown]
	v_addc_co_u32_e32 v83, vcc, v4, v3, vcc
	v_add_u32_e32 v3, s33, v0
	v_mov_b32_e32 v4, v2
	v_lshlrev_b64 v[48:49], 2, v[3:4]
	v_mbcnt_lo_u32_b32 v3, -1, 0
	v_mbcnt_hi_u32_b32 v3, -1, v3
	v_lshlrev_b32_e32 v3, 2, v3
	v_add3_u32 v33, v18, v33, v15
	v_add3_u32 v35, v18, v35, v15
	;; [unrolled: 1-line block ×6, first 2 shown]
	v_and_b32_e32 v84, 0x100, v3
	v_mov_b32_e32 v55, 0
	v_mov_b32_e32 v19, 0
	s_branch .LBB67_56
.LBB67_53:                              ;   in Loop: Header=BB67_56 Depth=1
	s_or_b64 exec, exec, s[16:17]
.LBB67_54:                              ;   in Loop: Header=BB67_56 Depth=1
	s_or_b64 exec, exec, s[0:1]
	v_add_co_u32_e32 v3, vcc, v51, v48
	v_addc_co_u32_e32 v4, vcc, v52, v49, vcc
	global_load_dword v9, v[3:4], off
	v_add_co_u32_e32 v3, vcc, v53, v48
	v_addc_co_u32_e32 v4, vcc, v54, v49, vcc
	global_load_dword v11, v[3:4], off
	;; [unrolled: 3-line block ×14, first 2 shown]
	v_add_co_u32_e32 v3, vcc, v44, v48
	v_addc_co_u32_e32 v4, vcc, v45, v49, vcc
	v_add_co_u32_e32 v7, vcc, v46, v48
	v_addc_co_u32_e32 v8, vcc, v47, v49, vcc
	global_load_dword v7, v[7:8], off
	s_nop 0
	global_load_dword v10, v[3:4], off
	s_waitcnt vmcnt(17)
	ds_bpermute_b32 v3, v84, v6
	s_waitcnt vmcnt(16)
	ds_bpermute_b32 v4, v84, v5
	ds_bpermute_b32 v8, v84, v6 offset:4
	s_waitcnt vmcnt(14) lgkmcnt(2)
	v_sub_f32_e32 v3, v11, v3
	v_mul_f32_e32 v3, v9, v3
	s_waitcnt lgkmcnt(1)
	v_fmac_f32_e32 v55, v3, v4
	ds_bpermute_b32 v3, v84, v5 offset:4
	v_add_f32_e32 v4, v19, v9
	ds_bpermute_b32 v9, v84, v6 offset:8
	s_waitcnt vmcnt(13)
	v_add_f32_e32 v4, v4, v12
	s_waitcnt vmcnt(12) lgkmcnt(2)
	v_sub_f32_e32 v8, v13, v8
	v_mul_f32_e32 v8, v12, v8
	s_waitcnt lgkmcnt(1)
	v_fmac_f32_e32 v55, v8, v3
	ds_bpermute_b32 v3, v84, v5 offset:8
	s_waitcnt vmcnt(11)
	v_add_f32_e32 v4, v4, v14
	s_waitcnt vmcnt(10) lgkmcnt(1)
	v_sub_f32_e32 v8, v15, v9
	ds_bpermute_b32 v9, v84, v6 offset:12
	v_mul_f32_e32 v8, v14, v8
	s_waitcnt lgkmcnt(1)
	v_fmac_f32_e32 v55, v8, v3
	ds_bpermute_b32 v3, v84, v5 offset:12
	s_waitcnt vmcnt(9)
	v_add_f32_e32 v4, v4, v16
	s_waitcnt vmcnt(8) lgkmcnt(1)
	v_sub_f32_e32 v8, v17, v9
	ds_bpermute_b32 v9, v84, v6 offset:16
	;; [unrolled: 9-line block ×3, first 2 shown]
	v_mul_f32_e32 v8, v18, v8
	s_waitcnt lgkmcnt(1)
	v_fmac_f32_e32 v55, v8, v3
	ds_bpermute_b32 v3, v84, v5 offset:20
	s_waitcnt vmcnt(4) lgkmcnt(1)
	v_sub_f32_e32 v8, v87, v9
	ds_bpermute_b32 v9, v84, v6 offset:24
	v_mul_f32_e32 v8, v86, v8
	s_waitcnt lgkmcnt(1)
	v_fmac_f32_e32 v55, v8, v3
	v_add_f32_e32 v3, v4, v86
	ds_bpermute_b32 v4, v84, v5 offset:24
	ds_bpermute_b32 v6, v84, v6 offset:28
	;; [unrolled: 1-line block ×3, first 2 shown]
	s_waitcnt vmcnt(2) lgkmcnt(3)
	v_sub_f32_e32 v8, v89, v9
	v_mul_f32_e32 v8, v88, v8
	s_waitcnt lgkmcnt(2)
	v_fmac_f32_e32 v55, v8, v4
	v_add_f32_e32 v4, v3, v88
	s_waitcnt vmcnt(1) lgkmcnt(1)
	v_sub_f32_e32 v3, v7, v6
	s_waitcnt vmcnt(0)
	v_mul_f32_e32 v3, v10, v3
	s_waitcnt lgkmcnt(0)
	v_mul_f32_e32 v5, v3, v5
	v_mov_b32_e32 v3, v55
.LBB67_55:                              ;   in Loop: Header=BB67_56 Depth=1
	v_add_f32_e32 v55, v3, v5
	v_mov_b32_e32 v5, s9
	v_add_co_u32_e32 v51, vcc, s8, v51
	v_addc_co_u32_e32 v52, vcc, v52, v5, vcc
	v_add_co_u32_e32 v53, vcc, s8, v53
	v_addc_co_u32_e32 v54, vcc, v54, v5, vcc
	;; [unrolled: 2-line block ×28, first 2 shown]
	v_add_f32_e32 v19, v4, v10
	s_add_u32 s10, s10, s7
	v_add_co_u32_e32 v80, vcc, s8, v80
	v_mov_b32_e32 v3, s12
	s_addc_u32 s11, s11, 0
	v_addc_co_u32_e32 v81, vcc, v81, v5, vcc
	v_mov_b32_e32 v4, s13
	v_cmp_ge_i64_e32 vcc, s[10:11], v[3:4]
	s_add_u32 s24, s24, s7
	v_add_co_u32_e64 v82, s[0:1], s8, v82
	s_addc_u32 s25, s25, 0
	v_addc_co_u32_e64 v83, s[0:1], v83, v5, s[0:1]
	s_cbranch_vccnz .LBB67_82
.LBB67_56:                              ; =>This Inner Loop Header: Depth=1
	v_mov_b32_e32 v3, s12
	v_mov_b32_e32 v4, s13
	v_cmp_ge_i64_e32 vcc, s[24:25], v[3:4]
	v_mov_b32_e32 v3, s25
	v_add_co_u32_e64 v85, s[0:1], s24, v50
	v_addc_co_u32_e64 v86, s[0:1], 0, v3, s[0:1]
	s_mov_b64 s[0:1], -1
	s_and_b64 vcc, exec, vcc
                                        ; implicit-def: $vgpr10
                                        ; implicit-def: $vgpr5
                                        ; implicit-def: $vgpr4
                                        ; implicit-def: $vgpr3
	s_cbranch_vccz .LBB67_78
; %bb.57:                               ;   in Loop: Header=BB67_56 Depth=1
	s_load_dword s0, s[2:3], 0xc
	v_mov_b32_e32 v87, 0
	v_mov_b32_e32 v88, 0
	s_waitcnt lgkmcnt(0)
	s_and_b32 s0, s0, 0xffff
	v_mad_u32_u24 v3, v1, s0, v0
	v_and_b32_e32 v3, 63, v3
	v_cmp_gt_u32_e32 vcc, 8, v3
	s_and_saveexec_b64 s[0:1], vcc
	s_cbranch_execz .LBB67_61
; %bb.58:                               ;   in Loop: Header=BB67_56 Depth=1
	v_add_co_u32_e32 v3, vcc, v85, v3
	v_addc_co_u32_e32 v4, vcc, 0, v86, vcc
	v_add_co_u32_e32 v3, vcc, 0xffffff81, v3
	v_addc_co_u32_e32 v4, vcc, -1, v4, vcc
	v_cmp_gt_i64_e32 vcc, s[12:13], v[3:4]
	v_mov_b32_e32 v88, 0
	v_mov_b32_e32 v87, 0
	s_and_saveexec_b64 s[16:17], vcc
	s_cbranch_execz .LBB67_60
; %bb.59:                               ;   in Loop: Header=BB67_56 Depth=1
	v_lshlrev_b64 v[3:4], 2, v[3:4]
	v_mov_b32_e32 v6, s23
	v_add_co_u32_e32 v5, vcc, s22, v3
	v_addc_co_u32_e32 v6, vcc, v6, v4, vcc
	v_mov_b32_e32 v7, s21
	v_add_co_u32_e32 v3, vcc, s20, v3
	v_addc_co_u32_e32 v4, vcc, v7, v4, vcc
	global_load_dword v88, v[3:4], off
	global_load_dword v87, v[5:6], off
.LBB67_60:                              ;   in Loop: Header=BB67_56 Depth=1
	s_or_b64 exec, exec, s[16:17]
.LBB67_61:                              ;   in Loop: Header=BB67_56 Depth=1
	s_or_b64 exec, exec, s[0:1]
	v_add_co_u32_e32 v3, vcc, 0xffffff81, v85
	v_addc_co_u32_e32 v4, vcc, -1, v86, vcc
	v_mov_b32_e32 v9, v2
	v_cmp_gt_i64_e32 vcc, s[12:13], v[3:4]
	v_mov_b32_e32 v3, v2
	v_mov_b32_e32 v4, v2
	v_mov_b32_e32 v5, v2
	v_mov_b32_e32 v6, v2
	v_mov_b32_e32 v7, v2
	v_mov_b32_e32 v8, v2
	v_mov_b32_e32 v18, v9
	v_mov_b32_e32 v17, v8
	v_mov_b32_e32 v16, v7
	v_mov_b32_e32 v15, v6
	v_mov_b32_e32 v14, v5
	v_mov_b32_e32 v13, v4
	v_mov_b32_e32 v12, v3
	v_mov_b32_e32 v11, v2
	v_mov_b32_e32 v10, v9
	v_mov_b32_e32 v9, v8
	v_mov_b32_e32 v8, v7
	v_mov_b32_e32 v7, v6
	v_mov_b32_e32 v6, v5
	v_mov_b32_e32 v5, v4
	v_mov_b32_e32 v4, v3
	v_mov_b32_e32 v3, v2
	s_and_saveexec_b64 s[0:1], vcc
	s_cbranch_execz .LBB67_63
; %bb.62:                               ;   in Loop: Header=BB67_56 Depth=1
	v_add_co_u32_e32 v3, vcc, v51, v48
	v_addc_co_u32_e32 v4, vcc, v52, v49, vcc
	global_load_dword v3, v[3:4], off
	v_add_co_u32_e32 v4, vcc, v53, v48
	v_addc_co_u32_e32 v5, vcc, v54, v49, vcc
	global_load_dword v11, v[4:5], off
	v_mov_b32_e32 v4, v2
	v_mov_b32_e32 v5, v2
	;; [unrolled: 1-line block ×14, first 2 shown]
.LBB67_63:                              ;   in Loop: Header=BB67_56 Depth=1
	s_or_b64 exec, exec, s[0:1]
	v_add_co_u32_e32 v89, vcc, 0xffffff82, v85
	v_addc_co_u32_e32 v90, vcc, -1, v86, vcc
	v_cmp_gt_i64_e32 vcc, s[12:13], v[89:90]
	s_and_saveexec_b64 s[0:1], vcc
	s_cbranch_execz .LBB67_65
; %bb.64:                               ;   in Loop: Header=BB67_56 Depth=1
	v_add_co_u32_e32 v89, vcc, v80, v48
	v_addc_co_u32_e32 v90, vcc, v81, v49, vcc
	global_load_dword v4, v[89:90], off
	v_add_co_u32_e32 v89, vcc, v82, v48
	v_addc_co_u32_e32 v90, vcc, v83, v49, vcc
	global_load_dword v12, v[89:90], off
.LBB67_65:                              ;   in Loop: Header=BB67_56 Depth=1
	s_or_b64 exec, exec, s[0:1]
	v_add_co_u32_e32 v89, vcc, 0xffffff83, v85
	v_addc_co_u32_e32 v90, vcc, -1, v86, vcc
	v_cmp_gt_i64_e32 vcc, s[12:13], v[89:90]
	s_and_saveexec_b64 s[0:1], vcc
	s_cbranch_execz .LBB67_67
; %bb.66:                               ;   in Loop: Header=BB67_56 Depth=1
	v_add_co_u32_e32 v89, vcc, v76, v48
	v_addc_co_u32_e32 v90, vcc, v77, v49, vcc
	global_load_dword v5, v[89:90], off
	v_add_co_u32_e32 v89, vcc, v78, v48
	v_addc_co_u32_e32 v90, vcc, v79, v49, vcc
	global_load_dword v13, v[89:90], off
.LBB67_67:                              ;   in Loop: Header=BB67_56 Depth=1
	;; [unrolled: 14-line block ×7, first 2 shown]
	s_or_b64 exec, exec, s[0:1]
	s_waitcnt vmcnt(1)
	ds_bpermute_b32 v89, v84, v88
	ds_bpermute_b32 v92, v84, v88 offset:4
	s_waitcnt vmcnt(0)
	ds_bpermute_b32 v90, v84, v87
	ds_bpermute_b32 v93, v84, v87 offset:4
	v_add_f32_e32 v91, v19, v3
	s_waitcnt lgkmcnt(3)
	v_sub_f32_e32 v11, v11, v89
	v_mul_f32_e32 v3, v3, v11
	s_waitcnt lgkmcnt(2)
	v_sub_f32_e32 v11, v12, v92
	ds_bpermute_b32 v12, v84, v88 offset:8
	s_waitcnt lgkmcnt(2)
	v_fma_f32 v3, v3, v90, v55
	v_mul_f32_e32 v11, v4, v11
	s_waitcnt lgkmcnt(1)
	v_fmac_f32_e32 v3, v11, v93
	ds_bpermute_b32 v11, v84, v87 offset:8
	s_waitcnt lgkmcnt(1)
	v_sub_f32_e32 v12, v13, v12
	ds_bpermute_b32 v13, v84, v88 offset:12
	v_mul_f32_e32 v12, v5, v12
	v_add_f32_e32 v4, v4, v91
	s_waitcnt lgkmcnt(1)
	v_fmac_f32_e32 v3, v12, v11
	ds_bpermute_b32 v11, v84, v87 offset:12
	v_add_f32_e32 v4, v5, v4
	s_waitcnt lgkmcnt(1)
	v_sub_f32_e32 v5, v14, v13
	ds_bpermute_b32 v12, v84, v88 offset:16
	v_mul_f32_e32 v5, v6, v5
	s_waitcnt lgkmcnt(1)
	v_fmac_f32_e32 v3, v5, v11
	ds_bpermute_b32 v5, v84, v87 offset:16
	v_add_f32_e32 v4, v6, v4
	s_waitcnt lgkmcnt(1)
	v_sub_f32_e32 v6, v15, v12
	ds_bpermute_b32 v11, v84, v88 offset:20
	v_mul_f32_e32 v6, v7, v6
	s_waitcnt lgkmcnt(1)
	v_fmac_f32_e32 v3, v6, v5
	ds_bpermute_b32 v5, v84, v87 offset:20
	v_add_f32_e32 v4, v7, v4
	ds_bpermute_b32 v7, v84, v88 offset:24
	s_waitcnt lgkmcnt(2)
	v_sub_f32_e32 v6, v16, v11
	v_mul_f32_e32 v6, v8, v6
	s_waitcnt lgkmcnt(1)
	v_fmac_f32_e32 v3, v6, v5
	ds_bpermute_b32 v5, v84, v87 offset:24
	s_waitcnt lgkmcnt(1)
	v_sub_f32_e32 v6, v17, v7
	ds_bpermute_b32 v7, v84, v88 offset:28
	v_add_f32_e32 v4, v8, v4
	ds_bpermute_b32 v8, v84, v87 offset:28
	v_mul_f32_e32 v6, v9, v6
	s_waitcnt lgkmcnt(2)
	v_fmac_f32_e32 v3, v6, v5
	s_waitcnt lgkmcnt(1)
	v_sub_f32_e32 v5, v18, v7
	v_mul_f32_e32 v5, v10, v5
	v_add_f32_e32 v4, v9, v4
	s_waitcnt lgkmcnt(0)
	v_mul_f32_e32 v5, v5, v8
	s_mov_b64 s[0:1], 0
.LBB67_78:                              ;   in Loop: Header=BB67_56 Depth=1
	s_and_b64 vcc, exec, s[0:1]
	s_cbranch_vccz .LBB67_55
; %bb.79:                               ;   in Loop: Header=BB67_56 Depth=1
	s_load_dword s0, s[2:3], 0x0
	v_mov_b32_e32 v5, 0
	v_mov_b32_e32 v6, 0
	s_waitcnt lgkmcnt(0)
	s_cmp_lt_u32 s6, s0
	s_cselect_b32 s0, 12, 18
	s_add_u32 s0, s2, s0
	s_addc_u32 s1, s3, 0
	global_load_ushort v3, v2, s[0:1]
	s_waitcnt vmcnt(0)
	v_mad_u32_u24 v3, v1, v3, v0
	v_and_b32_e32 v3, 63, v3
	v_cmp_gt_u32_e32 vcc, 8, v3
	s_and_saveexec_b64 s[0:1], vcc
	s_cbranch_execz .LBB67_54
; %bb.80:                               ;   in Loop: Header=BB67_56 Depth=1
	v_add_co_u32_e32 v3, vcc, v85, v3
	v_addc_co_u32_e32 v4, vcc, 0, v86, vcc
	v_add_co_u32_e32 v3, vcc, 0xffffff81, v3
	v_addc_co_u32_e32 v4, vcc, -1, v4, vcc
	v_cmp_gt_i64_e32 vcc, s[12:13], v[3:4]
	v_mov_b32_e32 v6, 0
	v_mov_b32_e32 v5, 0
	s_and_saveexec_b64 s[16:17], vcc
	s_cbranch_execz .LBB67_53
; %bb.81:                               ;   in Loop: Header=BB67_56 Depth=1
	v_lshlrev_b64 v[3:4], 2, v[3:4]
	v_mov_b32_e32 v5, s23
	v_add_co_u32_e32 v7, vcc, s22, v3
	v_addc_co_u32_e32 v8, vcc, v5, v4, vcc
	v_mov_b32_e32 v5, s21
	v_add_co_u32_e32 v3, vcc, s20, v3
	v_addc_co_u32_e32 v4, vcc, v5, v4, vcc
	global_load_dword v6, v[3:4], off
	global_load_dword v5, v[7:8], off
	s_branch .LBB67_53
.LBB67_82:
	v_mad_u32_u24 v2, v1, 33, v0
	v_lshl_add_u32 v3, v2, 2, 0
	ds_write_b32 v3, v55
	ds_write_b32 v3, v19 offset:2112
	v_sub_u32_e32 v3, v2, v1
	s_movk_i32 s0, 0x800
	v_cmp_gt_u32_e32 vcc, s0, v3
	s_waitcnt lgkmcnt(0)
	s_barrier
	s_and_saveexec_b64 s[0:1], vcc
	s_cbranch_execz .LBB67_114
; %bb.83:
	s_load_dwordx4 s[8:11], s[4:5], 0x30
	v_and_b32_e32 v1, 63, v3
	v_lshrrev_b32_e32 v2, 6, v3
	v_cmp_gt_u32_e64 s[0:1], 16, v1
	v_mul_u32_u24_e32 v4, 33, v1
                                        ; implicit-def: $vgpr1
                                        ; implicit-def: $vgpr6
	s_and_saveexec_b64 s[2:3], s[0:1]
	s_cbranch_execz .LBB67_85
; %bb.84:
	v_add_u32_e32 v1, v2, v4
	v_lshl_add_u32 v1, v1, 2, 0
	ds_read_b32 v6, v1
	ds_read_b32 v1, v1 offset:2112
.LBB67_85:
	s_or_b64 exec, exec, s[2:3]
	v_mbcnt_lo_u32_b32 v5, -1, 0
	v_mbcnt_hi_u32_b32 v8, -1, v5
	v_and_b32_e32 v5, 64, v8
	v_add_u32_e32 v9, 64, v5
	v_xor_b32_e32 v5, 8, v8
	v_cmp_lt_i32_e32 vcc, v5, v9
	v_cndmask_b32_e32 v5, v8, v5, vcc
	v_lshlrev_b32_e32 v5, 2, v5
	s_waitcnt lgkmcnt(0)
	ds_bpermute_b32 v7, v5, v6
	v_xor_b32_e32 v10, 4, v8
	v_cmp_lt_i32_e32 vcc, v10, v9
	ds_bpermute_b32 v11, v5, v1
	v_cmp_eq_u32_e64 s[2:3], 0, v0
	s_waitcnt lgkmcnt(1)
	v_add_f32_e32 v7, v6, v7
	v_cndmask_b32_e32 v6, v8, v10, vcc
	v_lshlrev_b32_e32 v6, 2, v6
	ds_bpermute_b32 v10, v6, v7
	s_waitcnt lgkmcnt(1)
	v_add_f32_e32 v1, v1, v11
	ds_bpermute_b32 v11, v6, v1
	s_mov_b32 s7, 0
	s_lshl_b64 s[4:5], s[6:7], 5
	s_waitcnt lgkmcnt(1)
	v_add_f32_e32 v10, v7, v10
	v_xor_b32_e32 v7, 2, v8
	v_cmp_lt_i32_e32 vcc, v7, v9
	v_cndmask_b32_e32 v7, v8, v7, vcc
	v_lshlrev_b32_e32 v7, 2, v7
	ds_bpermute_b32 v12, v7, v10
	s_waitcnt lgkmcnt(1)
	v_add_f32_e32 v0, v1, v11
	v_xor_b32_e32 v11, 1, v8
	v_cmp_lt_i32_e32 vcc, v11, v9
	v_cndmask_b32_e32 v8, v8, v11, vcc
	s_waitcnt lgkmcnt(0)
	v_add_f32_e32 v1, v10, v12
	ds_bpermute_b32 v10, v7, v0
	v_lshlrev_b32_e32 v8, 2, v8
	ds_bpermute_b32 v9, v8, v1
	s_cmp_lg_u64 s[8:9], 0
	s_cselect_b64 s[12:13], -1, 0
	s_waitcnt lgkmcnt(1)
	v_add_f32_e32 v10, v0, v10
	ds_bpermute_b32 v11, v8, v10
	s_waitcnt lgkmcnt(1)
	v_add_f32_e32 v9, v1, v9
	v_or_b32_e32 v0, s4, v2
	v_mov_b32_e32 v1, s5
	v_cmp_gt_i64_e32 vcc, s[14:15], v[0:1]
	s_cmp_lg_u64 s[10:11], 0
	s_cselect_b64 s[6:7], -1, 0
	s_waitcnt lgkmcnt(0)
	v_add_f32_e32 v10, v10, v11
	s_and_b64 s[18:19], s[2:3], vcc
	s_and_saveexec_b64 s[16:17], s[18:19]
	s_cbranch_execz .LBB67_90
; %bb.86:
	v_lshlrev_b64 v[0:1], 2, v[0:1]
	s_andn2_b64 vcc, exec, s[12:13]
	s_cbranch_vccnz .LBB67_88
; %bb.87:
	v_mov_b32_e32 v12, s9
	v_add_co_u32_e32 v11, vcc, s8, v0
	v_addc_co_u32_e32 v12, vcc, v12, v1, vcc
	global_store_dword v[11:12], v9, off
.LBB67_88:
	s_andn2_b64 vcc, exec, s[6:7]
	s_cbranch_vccnz .LBB67_90
; %bb.89:
	v_mov_b32_e32 v11, s11
	v_add_co_u32_e32 v0, vcc, s10, v0
	v_addc_co_u32_e32 v1, vcc, v11, v1, vcc
	global_store_dword v[0:1], v10, off
.LBB67_90:
	s_or_b64 exec, exec, s[16:17]
	s_movk_i32 s16, 0x600
	v_cmp_gt_u32_e32 vcc, s16, v3
	s_and_b64 exec, exec, vcc
	s_cbranch_execz .LBB67_114
; %bb.91:
	s_and_saveexec_b64 s[16:17], s[0:1]
	s_cbranch_execz .LBB67_93
; %bb.92:
	v_add_u32_e32 v0, v2, v4
	v_lshl_add_u32 v0, v0, 2, 0
	ds_read_b32 v9, v0 offset:32
	ds_read_b32 v10, v0 offset:2144
.LBB67_93:
	s_or_b64 exec, exec, s[16:17]
	s_waitcnt lgkmcnt(1)
	ds_bpermute_b32 v0, v5, v9
	s_waitcnt lgkmcnt(1)
	ds_bpermute_b32 v1, v5, v10
	v_add_u32_e32 v11, 8, v2
	v_mov_b32_e32 v12, s5
	s_waitcnt lgkmcnt(1)
	v_add_f32_e32 v0, v9, v0
	s_waitcnt lgkmcnt(0)
	v_add_f32_e32 v1, v10, v1
	ds_bpermute_b32 v9, v6, v0
	ds_bpermute_b32 v10, v6, v1
	s_waitcnt lgkmcnt(1)
	v_add_f32_e32 v0, v0, v9
	s_waitcnt lgkmcnt(0)
	v_add_f32_e32 v1, v1, v10
	ds_bpermute_b32 v9, v7, v0
	ds_bpermute_b32 v10, v7, v1
	;; [unrolled: 6-line block ×3, first 2 shown]
	v_add_co_u32_e32 v0, vcc, s4, v11
	v_addc_co_u32_e32 v1, vcc, 0, v12, vcc
	v_cmp_gt_i64_e32 vcc, s[14:15], v[0:1]
	s_waitcnt lgkmcnt(1)
	v_add_f32_e32 v0, v9, v13
	s_waitcnt lgkmcnt(0)
	v_add_f32_e32 v1, v10, v14
	s_and_b64 s[18:19], s[2:3], vcc
	s_and_saveexec_b64 s[16:17], s[18:19]
	s_cbranch_execz .LBB67_98
; %bb.94:
	s_andn2_b64 vcc, exec, s[12:13]
	s_cbranch_vccnz .LBB67_96
; %bb.95:
	v_mov_b32_e32 v10, s5
	v_add_co_u32_e32 v9, vcc, s4, v2
	v_addc_co_u32_e32 v10, vcc, 0, v10, vcc
	v_lshlrev_b64 v[9:10], 2, v[9:10]
	v_mov_b32_e32 v11, s9
	v_add_co_u32_e32 v9, vcc, s8, v9
	v_addc_co_u32_e32 v10, vcc, v11, v10, vcc
	global_store_dword v[9:10], v0, off offset:32
.LBB67_96:
	s_andn2_b64 vcc, exec, s[6:7]
	s_cbranch_vccnz .LBB67_98
; %bb.97:
	v_mov_b32_e32 v10, s5
	v_add_co_u32_e32 v9, vcc, s4, v2
	v_addc_co_u32_e32 v10, vcc, 0, v10, vcc
	v_lshlrev_b64 v[9:10], 2, v[9:10]
	v_mov_b32_e32 v11, s11
	v_add_co_u32_e32 v9, vcc, s10, v9
	v_addc_co_u32_e32 v10, vcc, v11, v10, vcc
	global_store_dword v[9:10], v1, off offset:32
.LBB67_98:
	s_or_b64 exec, exec, s[16:17]
	s_movk_i32 s16, 0x400
	v_cmp_gt_u32_e32 vcc, s16, v3
	s_and_b64 exec, exec, vcc
	s_cbranch_execz .LBB67_114
; %bb.99:
	s_and_saveexec_b64 s[16:17], s[0:1]
	s_cbranch_execz .LBB67_101
; %bb.100:
	v_add_u32_e32 v0, v2, v4
	v_lshl_add_u32 v1, v0, 2, 0
	ds_read_b32 v0, v1 offset:64
	ds_read_b32 v1, v1 offset:2176
.LBB67_101:
	s_or_b64 exec, exec, s[16:17]
	s_waitcnt lgkmcnt(1)
	ds_bpermute_b32 v9, v5, v0
	s_waitcnt lgkmcnt(1)
	ds_bpermute_b32 v10, v5, v1
	v_add_u32_e32 v11, 16, v2
	s_waitcnt lgkmcnt(1)
	v_add_f32_e32 v0, v0, v9
	s_waitcnt lgkmcnt(0)
	v_add_f32_e32 v1, v1, v10
	ds_bpermute_b32 v9, v6, v0
	ds_bpermute_b32 v10, v6, v1
	s_waitcnt lgkmcnt(1)
	v_add_f32_e32 v0, v0, v9
	s_waitcnt lgkmcnt(0)
	v_add_f32_e32 v1, v1, v10
	ds_bpermute_b32 v9, v7, v0
	ds_bpermute_b32 v10, v7, v1
	;; [unrolled: 6-line block ×3, first 2 shown]
	v_mov_b32_e32 v1, s5
	v_or_b32_e32 v0, s4, v11
	v_cmp_gt_i64_e32 vcc, s[14:15], v[0:1]
	s_waitcnt lgkmcnt(1)
	v_add_f32_e32 v0, v9, v12
	s_waitcnt lgkmcnt(0)
	v_add_f32_e32 v1, v10, v13
	s_and_b64 s[18:19], s[2:3], vcc
	s_and_saveexec_b64 s[16:17], s[18:19]
	s_cbranch_execz .LBB67_106
; %bb.102:
	s_andn2_b64 vcc, exec, s[12:13]
	s_cbranch_vccnz .LBB67_104
; %bb.103:
	v_mov_b32_e32 v10, s5
	v_add_co_u32_e32 v9, vcc, s4, v2
	v_addc_co_u32_e32 v10, vcc, 0, v10, vcc
	v_lshlrev_b64 v[9:10], 2, v[9:10]
	v_mov_b32_e32 v11, s9
	v_add_co_u32_e32 v9, vcc, s8, v9
	v_addc_co_u32_e32 v10, vcc, v11, v10, vcc
	global_store_dword v[9:10], v0, off offset:64
.LBB67_104:
	s_andn2_b64 vcc, exec, s[6:7]
	s_cbranch_vccnz .LBB67_106
; %bb.105:
	v_mov_b32_e32 v10, s5
	v_add_co_u32_e32 v9, vcc, s4, v2
	v_addc_co_u32_e32 v10, vcc, 0, v10, vcc
	v_lshlrev_b64 v[9:10], 2, v[9:10]
	v_mov_b32_e32 v11, s11
	v_add_co_u32_e32 v9, vcc, s10, v9
	v_addc_co_u32_e32 v10, vcc, v11, v10, vcc
	global_store_dword v[9:10], v1, off offset:64
.LBB67_106:
	s_or_b64 exec, exec, s[16:17]
	s_movk_i32 s16, 0x200
	v_cmp_gt_u32_e32 vcc, s16, v3
	s_and_b64 exec, exec, vcc
	s_cbranch_execz .LBB67_114
; %bb.107:
	s_and_saveexec_b64 s[16:17], s[0:1]
	s_cbranch_execz .LBB67_109
; %bb.108:
	v_add_u32_e32 v0, v2, v4
	v_lshl_add_u32 v1, v0, 2, 0
	ds_read_b32 v0, v1 offset:96
	ds_read_b32 v1, v1 offset:2208
.LBB67_109:
	s_or_b64 exec, exec, s[16:17]
	s_waitcnt lgkmcnt(1)
	ds_bpermute_b32 v3, v5, v0
	s_waitcnt lgkmcnt(1)
	ds_bpermute_b32 v4, v5, v1
	v_add_u32_e32 v5, 24, v2
	v_or_b32_e32 v5, s4, v5
	s_waitcnt lgkmcnt(1)
	v_add_f32_e32 v0, v0, v3
	s_waitcnt lgkmcnt(0)
	v_add_f32_e32 v1, v1, v4
	ds_bpermute_b32 v3, v6, v0
	ds_bpermute_b32 v4, v6, v1
	v_mov_b32_e32 v6, s5
	v_cmp_gt_i64_e32 vcc, s[14:15], v[5:6]
	s_waitcnt lgkmcnt(1)
	v_add_f32_e32 v0, v0, v3
	s_waitcnt lgkmcnt(0)
	v_add_f32_e32 v1, v1, v4
	ds_bpermute_b32 v3, v7, v0
	ds_bpermute_b32 v4, v7, v1
	s_and_b64 s[0:1], s[2:3], vcc
	s_waitcnt lgkmcnt(1)
	v_add_f32_e32 v3, v0, v3
	s_waitcnt lgkmcnt(0)
	v_add_f32_e32 v0, v1, v4
	ds_bpermute_b32 v4, v8, v3
	ds_bpermute_b32 v1, v8, v0
	s_and_b64 exec, exec, s[0:1]
	s_cbranch_execz .LBB67_114
; %bb.110:
	s_andn2_b64 vcc, exec, s[12:13]
	s_cbranch_vccnz .LBB67_112
; %bb.111:
	s_waitcnt lgkmcnt(1)
	v_add_f32_e32 v5, v3, v4
	v_mov_b32_e32 v4, s5
	v_add_co_u32_e32 v3, vcc, s4, v2
	v_addc_co_u32_e32 v4, vcc, 0, v4, vcc
	v_lshlrev_b64 v[3:4], 2, v[3:4]
	v_mov_b32_e32 v6, s9
	v_add_co_u32_e32 v3, vcc, s8, v3
	v_addc_co_u32_e32 v4, vcc, v6, v4, vcc
	global_store_dword v[3:4], v5, off offset:96
.LBB67_112:
	s_andn2_b64 vcc, exec, s[6:7]
	s_cbranch_vccnz .LBB67_114
; %bb.113:
	s_waitcnt lgkmcnt(0)
	v_add_f32_e32 v3, v0, v1
	v_mov_b32_e32 v1, s5
	v_add_co_u32_e32 v0, vcc, s4, v2
	v_addc_co_u32_e32 v1, vcc, 0, v1, vcc
	v_lshlrev_b64 v[0:1], 2, v[0:1]
	v_mov_b32_e32 v2, s11
	v_add_co_u32_e32 v0, vcc, s10, v0
	v_addc_co_u32_e32 v1, vcc, v2, v1, vcc
	global_store_dword v[0:1], v3, off offset:96
.LBB67_114:
	s_endpgm
	.section	.rodata,"a",@progbits
	.p2align	6, 0x0
	.amdhsa_kernel _ZN2at6native12_GLOBAL__N_135GammaBetaBackwardCUDAKernelTemplateIffLj32ELj16ELj128ELb0ELb0ELb0EEEvllPKT_S5_PKT0_S8_PS3_S9_
		.amdhsa_group_segment_fixed_size 0
		.amdhsa_private_segment_fixed_size 0
		.amdhsa_kernarg_size 320
		.amdhsa_user_sgpr_count 6
		.amdhsa_user_sgpr_private_segment_buffer 1
		.amdhsa_user_sgpr_dispatch_ptr 0
		.amdhsa_user_sgpr_queue_ptr 0
		.amdhsa_user_sgpr_kernarg_segment_ptr 1
		.amdhsa_user_sgpr_dispatch_id 0
		.amdhsa_user_sgpr_flat_scratch_init 0
		.amdhsa_user_sgpr_private_segment_size 0
		.amdhsa_uses_dynamic_stack 0
		.amdhsa_system_sgpr_private_segment_wavefront_offset 0
		.amdhsa_system_sgpr_workgroup_id_x 1
		.amdhsa_system_sgpr_workgroup_id_y 1
		.amdhsa_system_sgpr_workgroup_id_z 0
		.amdhsa_system_sgpr_workgroup_info 0
		.amdhsa_system_vgpr_workitem_id 1
		.amdhsa_next_free_vgpr 94
		.amdhsa_next_free_sgpr 36
		.amdhsa_reserve_vcc 1
		.amdhsa_reserve_flat_scratch 0
		.amdhsa_float_round_mode_32 0
		.amdhsa_float_round_mode_16_64 0
		.amdhsa_float_denorm_mode_32 3
		.amdhsa_float_denorm_mode_16_64 3
		.amdhsa_dx10_clamp 1
		.amdhsa_ieee_mode 1
		.amdhsa_fp16_overflow 0
		.amdhsa_exception_fp_ieee_invalid_op 0
		.amdhsa_exception_fp_denorm_src 0
		.amdhsa_exception_fp_ieee_div_zero 0
		.amdhsa_exception_fp_ieee_overflow 0
		.amdhsa_exception_fp_ieee_underflow 0
		.amdhsa_exception_fp_ieee_inexact 0
		.amdhsa_exception_int_div_zero 0
	.end_amdhsa_kernel
	.section	.text._ZN2at6native12_GLOBAL__N_135GammaBetaBackwardCUDAKernelTemplateIffLj32ELj16ELj128ELb0ELb0ELb0EEEvllPKT_S5_PKT0_S8_PS3_S9_,"axG",@progbits,_ZN2at6native12_GLOBAL__N_135GammaBetaBackwardCUDAKernelTemplateIffLj32ELj16ELj128ELb0ELb0ELb0EEEvllPKT_S5_PKT0_S8_PS3_S9_,comdat
.Lfunc_end67:
	.size	_ZN2at6native12_GLOBAL__N_135GammaBetaBackwardCUDAKernelTemplateIffLj32ELj16ELj128ELb0ELb0ELb0EEEvllPKT_S5_PKT0_S8_PS3_S9_, .Lfunc_end67-_ZN2at6native12_GLOBAL__N_135GammaBetaBackwardCUDAKernelTemplateIffLj32ELj16ELj128ELb0ELb0ELb0EEEvllPKT_S5_PKT0_S8_PS3_S9_
                                        ; -- End function
	.set _ZN2at6native12_GLOBAL__N_135GammaBetaBackwardCUDAKernelTemplateIffLj32ELj16ELj128ELb0ELb0ELb0EEEvllPKT_S5_PKT0_S8_PS3_S9_.num_vgpr, 94
	.set _ZN2at6native12_GLOBAL__N_135GammaBetaBackwardCUDAKernelTemplateIffLj32ELj16ELj128ELb0ELb0ELb0EEEvllPKT_S5_PKT0_S8_PS3_S9_.num_agpr, 0
	.set _ZN2at6native12_GLOBAL__N_135GammaBetaBackwardCUDAKernelTemplateIffLj32ELj16ELj128ELb0ELb0ELb0EEEvllPKT_S5_PKT0_S8_PS3_S9_.numbered_sgpr, 36
	.set _ZN2at6native12_GLOBAL__N_135GammaBetaBackwardCUDAKernelTemplateIffLj32ELj16ELj128ELb0ELb0ELb0EEEvllPKT_S5_PKT0_S8_PS3_S9_.num_named_barrier, 0
	.set _ZN2at6native12_GLOBAL__N_135GammaBetaBackwardCUDAKernelTemplateIffLj32ELj16ELj128ELb0ELb0ELb0EEEvllPKT_S5_PKT0_S8_PS3_S9_.private_seg_size, 0
	.set _ZN2at6native12_GLOBAL__N_135GammaBetaBackwardCUDAKernelTemplateIffLj32ELj16ELj128ELb0ELb0ELb0EEEvllPKT_S5_PKT0_S8_PS3_S9_.uses_vcc, 1
	.set _ZN2at6native12_GLOBAL__N_135GammaBetaBackwardCUDAKernelTemplateIffLj32ELj16ELj128ELb0ELb0ELb0EEEvllPKT_S5_PKT0_S8_PS3_S9_.uses_flat_scratch, 0
	.set _ZN2at6native12_GLOBAL__N_135GammaBetaBackwardCUDAKernelTemplateIffLj32ELj16ELj128ELb0ELb0ELb0EEEvllPKT_S5_PKT0_S8_PS3_S9_.has_dyn_sized_stack, 0
	.set _ZN2at6native12_GLOBAL__N_135GammaBetaBackwardCUDAKernelTemplateIffLj32ELj16ELj128ELb0ELb0ELb0EEEvllPKT_S5_PKT0_S8_PS3_S9_.has_recursion, 0
	.set _ZN2at6native12_GLOBAL__N_135GammaBetaBackwardCUDAKernelTemplateIffLj32ELj16ELj128ELb0ELb0ELb0EEEvllPKT_S5_PKT0_S8_PS3_S9_.has_indirect_call, 0
	.section	.AMDGPU.csdata,"",@progbits
; Kernel info:
; codeLenInByte = 7964
; TotalNumSgprs: 40
; NumVgprs: 94
; ScratchSize: 0
; MemoryBound: 0
; FloatMode: 240
; IeeeMode: 1
; LDSByteSize: 0 bytes/workgroup (compile time only)
; SGPRBlocks: 4
; VGPRBlocks: 23
; NumSGPRsForWavesPerEU: 40
; NumVGPRsForWavesPerEU: 94
; Occupancy: 2
; WaveLimiterHint : 0
; COMPUTE_PGM_RSRC2:SCRATCH_EN: 0
; COMPUTE_PGM_RSRC2:USER_SGPR: 6
; COMPUTE_PGM_RSRC2:TRAP_HANDLER: 0
; COMPUTE_PGM_RSRC2:TGID_X_EN: 1
; COMPUTE_PGM_RSRC2:TGID_Y_EN: 1
; COMPUTE_PGM_RSRC2:TGID_Z_EN: 0
; COMPUTE_PGM_RSRC2:TIDIG_COMP_CNT: 1
	.section	.text._ZN2at6native12_GLOBAL__N_135GammaBetaBackwardCUDAKernelTemplateIffLj32ELj32ELj256ELb0ELb1ELb0EEEvllPKT_S5_PKT0_S8_PS3_S9_,"axG",@progbits,_ZN2at6native12_GLOBAL__N_135GammaBetaBackwardCUDAKernelTemplateIffLj32ELj32ELj256ELb0ELb1ELb0EEEvllPKT_S5_PKT0_S8_PS3_S9_,comdat
	.globl	_ZN2at6native12_GLOBAL__N_135GammaBetaBackwardCUDAKernelTemplateIffLj32ELj32ELj256ELb0ELb1ELb0EEEvllPKT_S5_PKT0_S8_PS3_S9_ ; -- Begin function _ZN2at6native12_GLOBAL__N_135GammaBetaBackwardCUDAKernelTemplateIffLj32ELj32ELj256ELb0ELb1ELb0EEEvllPKT_S5_PKT0_S8_PS3_S9_
	.p2align	8
	.type	_ZN2at6native12_GLOBAL__N_135GammaBetaBackwardCUDAKernelTemplateIffLj32ELj32ELj256ELb0ELb1ELb0EEEvllPKT_S5_PKT0_S8_PS3_S9_,@function
_ZN2at6native12_GLOBAL__N_135GammaBetaBackwardCUDAKernelTemplateIffLj32ELj32ELj256ELb0ELb1ELb0EEEvllPKT_S5_PKT0_S8_PS3_S9_: ; @_ZN2at6native12_GLOBAL__N_135GammaBetaBackwardCUDAKernelTemplateIffLj32ELj32ELj256ELb0ELb1ELb0EEEvllPKT_S5_PKT0_S8_PS3_S9_
; %bb.0:
	s_load_dwordx4 s[20:23], s[4:5], 0x0
	s_lshl_b32 s24, s7, 8
	s_mov_b32 s25, 0
	v_mov_b32_e32 v2, s24
	v_mov_b32_e32 v3, s25
	s_waitcnt lgkmcnt(0)
	v_cmp_gt_i64_e32 vcc, s[20:21], v[2:3]
	s_cbranch_vccnz .LBB68_2
; %bb.1:
	s_mov_b64 s[0:1], 0
	s_branch .LBB68_3
.LBB68_2:
	s_mov_b64 s[0:1], -1
.LBB68_3:
	s_load_dwordx4 s[16:19], s[4:5], 0x30
	v_mov_b32_e32 v18, 0
	s_andn2_b64 vcc, exec, s[0:1]
	v_mbcnt_lo_u32_b32 v8, -1, 0
	v_mov_b32_e32 v3, 0
	s_cbranch_vccnz .LBB68_10
; %bb.4:
	s_load_dword s0, s[4:5], 0x4c
	s_load_dword s2, s[4:5], 0x44
	s_load_dwordx8 s[8:15], s[4:5], 0x10
	v_lshlrev_b32_e32 v4, 3, v1
	v_mbcnt_hi_u32_b32 v6, -1, v8
	v_add_co_u32_e32 v4, vcc, s24, v4
	v_lshlrev_b32_e32 v6, 2, v6
	s_waitcnt lgkmcnt(0)
	s_lshl_b32 s4, s2, 8
	v_addc_co_u32_e64 v17, s[2:3], 0, 0, vcc
	v_and_b32_e32 v9, 0x100, v6
	v_mul_lo_u32 v18, s23, v4
	v_mul_lo_u32 v19, s22, v17
	v_mad_u64_u32 v[6:7], s[2:3], s22, v4, 0
	s_and_b32 s0, s0, 0xffff
	v_mad_u32_u24 v2, v1, s0, v0
	v_and_b32_e32 v5, 63, v2
	v_mov_b32_e32 v3, 0
	v_lshl_add_u32 v2, s6, 5, v0
	v_add_co_u32_e32 v4, vcc, v4, v5
	v_add3_u32 v7, v7, v19, v18
	v_cmp_gt_u32_e64 s[0:1], 8, v5
	v_addc_co_u32_e32 v5, vcc, 0, v17, vcc
	v_lshlrev_b64 v[6:7], 2, v[6:7]
	v_lshlrev_b64 v[17:18], 2, v[2:3]
	s_mul_i32 s2, s23, s4
	v_add_co_u32_e32 v2, vcc, v6, v17
	s_mul_hi_u32 s3, s22, s4
	s_mov_b32 s5, 0
	v_addc_co_u32_e32 v17, vcc, v7, v18, vcc
	v_lshlrev_b64 v[6:7], 2, v[4:5]
	s_add_i32 s3, s3, s2
	s_mul_i32 s2, s22, s4
	v_or_b32_e32 v10, 4, v9
	v_or_b32_e32 v11, 8, v9
	;; [unrolled: 1-line block ×7, first 2 shown]
	s_lshl_b64 s[26:27], s[4:5], 2
	s_lshl_b64 s[28:29], s[2:3], 2
	s_lshl_b64 s[22:23], s[22:23], 2
	v_mov_b32_e32 v18, v3
	s_branch .LBB68_7
.LBB68_5:                               ;   in Loop: Header=BB68_7 Depth=1
	s_or_b64 exec, exec, s[30:31]
.LBB68_6:                               ;   in Loop: Header=BB68_7 Depth=1
	s_or_b64 exec, exec, s[2:3]
	v_mov_b32_e32 v21, s9
	v_add_co_u32_e32 v23, vcc, s8, v2
	v_addc_co_u32_e32 v24, vcc, v21, v17, vcc
	v_mov_b32_e32 v21, s11
	v_add_co_u32_e32 v25, vcc, s10, v2
	v_addc_co_u32_e32 v26, vcc, v21, v17, vcc
	global_load_dword v29, v[25:26], off
	global_load_dword v21, v[23:24], off
	v_mov_b32_e32 v22, s23
	v_add_co_u32_e32 v27, vcc, s22, v25
	v_addc_co_u32_e32 v28, vcc, v26, v22, vcc
	v_add_co_u32_e32 v25, vcc, s22, v23
	s_waitcnt vmcnt(3)
	ds_bpermute_b32 v23, v9, v20
	v_addc_co_u32_e32 v26, vcc, v24, v22, vcc
	s_waitcnt vmcnt(2)
	ds_bpermute_b32 v24, v9, v19
	s_add_u32 s24, s24, s4
	s_addc_u32 s25, s25, 0
	v_add_co_u32_e64 v2, s[2:3], s28, v2
	s_waitcnt vmcnt(1) lgkmcnt(1)
	v_sub_f32_e32 v23, v29, v23
	s_waitcnt vmcnt(0)
	v_mul_f32_e32 v23, v21, v23
	s_waitcnt lgkmcnt(0)
	v_fmac_f32_e32 v3, v23, v24
	global_load_dword v24, v[27:28], off
	global_load_dword v23, v[25:26], off
	v_add_co_u32_e32 v29, vcc, s22, v27
	v_addc_co_u32_e32 v30, vcc, v28, v22, vcc
	global_load_dword v31, v[29:30], off
	v_add_co_u32_e32 v27, vcc, s22, v25
	ds_bpermute_b32 v25, v10, v20
	v_addc_co_u32_e32 v28, vcc, v26, v22, vcc
	v_add_f32_e32 v18, v18, v21
	v_mov_b32_e32 v21, s29
	v_addc_co_u32_e64 v17, s[2:3], v17, v21, s[2:3]
	s_waitcnt vmcnt(2) lgkmcnt(0)
	v_sub_f32_e32 v24, v24, v25
	ds_bpermute_b32 v25, v10, v19
	s_waitcnt vmcnt(1)
	v_mul_f32_e32 v24, v23, v24
	v_add_f32_e32 v18, v18, v23
	s_waitcnt lgkmcnt(0)
	v_fmac_f32_e32 v3, v24, v25
	v_add_co_u32_e32 v25, vcc, s22, v29
	v_addc_co_u32_e32 v26, vcc, v30, v22, vcc
	global_load_dword v24, v[27:28], off
	v_add_co_u32_e32 v29, vcc, s22, v27
	v_addc_co_u32_e32 v30, vcc, v28, v22, vcc
	global_load_dword v32, v[29:30], off
	ds_bpermute_b32 v27, v11, v20
	ds_bpermute_b32 v28, v11, v19
	s_waitcnt vmcnt(2) lgkmcnt(1)
	v_sub_f32_e32 v27, v31, v27
	global_load_dword v31, v[25:26], off
	s_waitcnt vmcnt(2)
	v_mul_f32_e32 v27, v24, v27
	s_waitcnt lgkmcnt(0)
	v_fmac_f32_e32 v3, v27, v28
	v_add_co_u32_e32 v27, vcc, s22, v25
	v_addc_co_u32_e32 v28, vcc, v26, v22, vcc
	v_add_co_u32_e32 v25, vcc, s22, v29
	ds_bpermute_b32 v29, v12, v20
	v_addc_co_u32_e32 v26, vcc, v30, v22, vcc
	ds_bpermute_b32 v30, v12, v19
	global_load_dword v33, v[25:26], off
	s_waitcnt vmcnt(1) lgkmcnt(1)
	v_sub_f32_e32 v29, v31, v29
	global_load_dword v31, v[27:28], off
	v_mul_f32_e32 v29, v32, v29
	s_waitcnt lgkmcnt(0)
	v_fmac_f32_e32 v3, v29, v30
	v_add_co_u32_e32 v29, vcc, s22, v27
	v_addc_co_u32_e32 v30, vcc, v28, v22, vcc
	v_add_co_u32_e32 v27, vcc, s22, v25
	ds_bpermute_b32 v25, v13, v20
	v_addc_co_u32_e32 v28, vcc, v26, v22, vcc
	global_load_dword v34, v[27:28], off
	ds_bpermute_b32 v26, v13, v19
	v_add_f32_e32 v18, v18, v24
	v_add_f32_e32 v18, v18, v32
	s_waitcnt vmcnt(2)
	v_add_f32_e32 v18, v18, v33
	s_waitcnt vmcnt(1) lgkmcnt(1)
	v_sub_f32_e32 v25, v31, v25
	global_load_dword v31, v[29:30], off
	v_mul_f32_e32 v25, v33, v25
	s_waitcnt lgkmcnt(0)
	v_fmac_f32_e32 v3, v25, v26
	v_add_co_u32_e32 v25, vcc, s22, v29
	v_addc_co_u32_e32 v26, vcc, v30, v22, vcc
	v_add_co_u32_e32 v29, vcc, s22, v27
	ds_bpermute_b32 v27, v14, v20
	v_addc_co_u32_e32 v30, vcc, v28, v22, vcc
	ds_bpermute_b32 v28, v14, v19
	s_waitcnt vmcnt(1)
	v_add_f32_e32 v18, v18, v34
	s_waitcnt vmcnt(0) lgkmcnt(1)
	v_sub_f32_e32 v27, v31, v27
	v_mul_f32_e32 v27, v34, v27
	s_waitcnt lgkmcnt(0)
	v_fmac_f32_e32 v3, v27, v28
	v_add_co_u32_e32 v27, vcc, s22, v25
	v_addc_co_u32_e32 v28, vcc, v26, v22, vcc
	global_load_dword v31, v[25:26], off
	v_add_co_u32_e32 v25, vcc, s22, v29
	v_addc_co_u32_e32 v26, vcc, v30, v22, vcc
	global_load_dword v22, v[29:30], off
	s_nop 0
	global_load_dword v27, v[27:28], off
	s_nop 0
	global_load_dword v25, v[25:26], off
	ds_bpermute_b32 v29, v15, v20
	ds_bpermute_b32 v20, v16, v20
	;; [unrolled: 1-line block ×4, first 2 shown]
	v_add_co_u32_e32 v6, vcc, s26, v6
	s_waitcnt vmcnt(3) lgkmcnt(3)
	v_sub_f32_e32 v29, v31, v29
	s_waitcnt vmcnt(2)
	v_mul_f32_e32 v29, v22, v29
	s_waitcnt vmcnt(1) lgkmcnt(2)
	v_sub_f32_e32 v20, v27, v20
	s_waitcnt lgkmcnt(1)
	v_fmac_f32_e32 v3, v29, v30
	s_waitcnt vmcnt(0)
	v_mul_f32_e32 v20, v25, v20
	s_waitcnt lgkmcnt(0)
	v_fmac_f32_e32 v3, v20, v19
	v_mov_b32_e32 v19, s27
	v_addc_co_u32_e32 v7, vcc, v7, v19, vcc
	v_add_co_u32_e32 v4, vcc, s4, v4
	v_mov_b32_e32 v19, s20
	v_addc_co_u32_e32 v5, vcc, 0, v5, vcc
	v_mov_b32_e32 v20, s21
	v_cmp_lt_i64_e32 vcc, s[24:25], v[19:20]
	v_add_f32_e32 v18, v18, v22
	v_add_f32_e32 v18, v18, v25
	s_cbranch_vccz .LBB68_10
.LBB68_7:                               ; =>This Inner Loop Header: Depth=1
	v_mov_b32_e32 v19, 0
	v_mov_b32_e32 v20, 0
	s_and_saveexec_b64 s[2:3], s[0:1]
	s_cbranch_execz .LBB68_6
; %bb.8:                                ;   in Loop: Header=BB68_7 Depth=1
	v_cmp_gt_i64_e32 vcc, s[20:21], v[4:5]
	v_mov_b32_e32 v20, 0
	v_mov_b32_e32 v19, 0
	s_and_saveexec_b64 s[30:31], vcc
	s_cbranch_execz .LBB68_5
; %bb.9:                                ;   in Loop: Header=BB68_7 Depth=1
	v_mov_b32_e32 v19, s15
	v_add_co_u32_e32 v21, vcc, s14, v6
	v_addc_co_u32_e32 v22, vcc, v19, v7, vcc
	v_mov_b32_e32 v19, s13
	v_add_co_u32_e32 v23, vcc, s12, v6
	v_addc_co_u32_e32 v24, vcc, v19, v7, vcc
	global_load_dword v20, v[23:24], off
	global_load_dword v19, v[21:22], off
	s_branch .LBB68_5
.LBB68_10:
	v_mad_u32_u24 v2, v1, 33, v0
	v_lshl_add_u32 v4, v2, 2, 0
	ds_write_b32 v4, v3
	ds_write_b32 v4, v18 offset:4224
	v_sub_u32_e32 v4, v2, v1
	s_movk_i32 s0, 0x800
	v_cmp_gt_u32_e32 vcc, s0, v4
	s_waitcnt lgkmcnt(0)
	s_barrier
	s_and_saveexec_b64 s[0:1], vcc
	s_cbranch_execz .LBB68_26
; %bb.11:
	v_and_b32_e32 v1, 63, v4
	v_lshrrev_b32_e32 v2, 6, v4
	v_cmp_gt_u32_e64 s[0:1], 32, v1
	v_mul_u32_u24_e32 v3, 33, v1
                                        ; implicit-def: $vgpr1
                                        ; implicit-def: $vgpr6
	s_and_saveexec_b64 s[2:3], s[0:1]
	s_cbranch_execz .LBB68_13
; %bb.12:
	v_add_u32_e32 v1, v2, v3
	v_lshl_add_u32 v1, v1, 2, 0
	ds_read_b32 v6, v1
	ds_read_b32 v1, v1 offset:4224
.LBB68_13:
	s_or_b64 exec, exec, s[2:3]
	v_mbcnt_hi_u32_b32 v9, -1, v8
	v_and_b32_e32 v5, 64, v9
	v_add_u32_e32 v10, 64, v5
	v_xor_b32_e32 v5, 16, v9
	v_cmp_lt_i32_e32 vcc, v5, v10
	v_cndmask_b32_e32 v5, v9, v5, vcc
	v_lshlrev_b32_e32 v5, 2, v5
	s_waitcnt lgkmcnt(1)
	ds_bpermute_b32 v7, v5, v6
	s_waitcnt lgkmcnt(1)
	ds_bpermute_b32 v8, v5, v1
	v_cmp_eq_u32_e64 s[2:3], 0, v0
	s_mov_b32 s7, 0
	s_lshl_b64 s[4:5], s[6:7], 5
	s_waitcnt lgkmcnt(1)
	v_add_f32_e32 v7, v6, v7
	v_xor_b32_e32 v6, 8, v9
	v_cmp_lt_i32_e32 vcc, v6, v10
	v_cndmask_b32_e32 v6, v9, v6, vcc
	v_lshlrev_b32_e32 v6, 2, v6
	s_waitcnt lgkmcnt(0)
	v_add_f32_e32 v1, v1, v8
	ds_bpermute_b32 v8, v6, v7
	ds_bpermute_b32 v11, v6, v1
	s_cmp_lg_u64 s[16:17], 0
	s_cselect_b64 s[8:9], -1, 0
	s_cmp_lg_u64 s[18:19], 0
	s_waitcnt lgkmcnt(1)
	v_add_f32_e32 v8, v7, v8
	v_xor_b32_e32 v7, 4, v9
	v_cmp_lt_i32_e32 vcc, v7, v10
	v_cndmask_b32_e32 v7, v9, v7, vcc
	v_lshlrev_b32_e32 v7, 2, v7
	s_waitcnt lgkmcnt(0)
	v_add_f32_e32 v1, v1, v11
	ds_bpermute_b32 v11, v7, v8
	ds_bpermute_b32 v12, v7, v1
	s_cselect_b64 s[6:7], -1, 0
	s_waitcnt lgkmcnt(1)
	v_add_f32_e32 v11, v8, v11
	v_xor_b32_e32 v8, 2, v9
	v_cmp_lt_i32_e32 vcc, v8, v10
	v_cndmask_b32_e32 v8, v9, v8, vcc
	v_lshlrev_b32_e32 v8, 2, v8
	s_waitcnt lgkmcnt(0)
	v_add_f32_e32 v1, v1, v12
	ds_bpermute_b32 v12, v8, v11
	ds_bpermute_b32 v13, v8, v1
	s_waitcnt lgkmcnt(1)
	v_add_f32_e32 v0, v11, v12
	v_xor_b32_e32 v11, 1, v9
	v_cmp_lt_i32_e32 vcc, v11, v10
	v_cndmask_b32_e32 v9, v9, v11, vcc
	s_waitcnt lgkmcnt(0)
	v_add_f32_e32 v1, v1, v13
	v_lshlrev_b32_e32 v9, 2, v9
	ds_bpermute_b32 v10, v9, v0
	ds_bpermute_b32 v11, v9, v1
	s_waitcnt lgkmcnt(1)
	v_add_f32_e32 v10, v0, v10
	s_waitcnt lgkmcnt(0)
	v_add_f32_e32 v11, v1, v11
	s_and_saveexec_b64 s[10:11], s[2:3]
	s_cbranch_execz .LBB68_18
; %bb.14:
	v_mov_b32_e32 v1, s5
	v_or_b32_e32 v0, s4, v2
	v_lshlrev_b64 v[0:1], 2, v[0:1]
	s_andn2_b64 vcc, exec, s[8:9]
	s_cbranch_vccnz .LBB68_16
; %bb.15:
	v_mov_b32_e32 v13, s17
	v_add_co_u32_e32 v12, vcc, s16, v0
	v_addc_co_u32_e32 v13, vcc, v13, v1, vcc
	global_store_dword v[12:13], v10, off
.LBB68_16:
	s_andn2_b64 vcc, exec, s[6:7]
	s_cbranch_vccnz .LBB68_18
; %bb.17:
	v_mov_b32_e32 v12, s19
	v_add_co_u32_e32 v0, vcc, s18, v0
	v_addc_co_u32_e32 v1, vcc, v12, v1, vcc
	global_store_dword v[0:1], v11, off
.LBB68_18:
	s_or_b64 exec, exec, s[10:11]
	s_movk_i32 s10, 0x400
	v_cmp_gt_u32_e32 vcc, s10, v4
	s_and_b64 exec, exec, vcc
	s_cbranch_execz .LBB68_26
; %bb.19:
	s_and_saveexec_b64 s[10:11], s[0:1]
	s_cbranch_execz .LBB68_21
; %bb.20:
	v_add_u32_e32 v0, v2, v3
	v_lshl_add_u32 v0, v0, 2, 0
	ds_read_b32 v10, v0 offset:64
	ds_read_b32 v11, v0 offset:4288
.LBB68_21:
	s_or_b64 exec, exec, s[10:11]
	s_waitcnt lgkmcnt(1)
	ds_bpermute_b32 v0, v5, v10
	s_waitcnt lgkmcnt(1)
	ds_bpermute_b32 v1, v5, v11
	s_waitcnt lgkmcnt(1)
	v_add_f32_e32 v0, v10, v0
	s_waitcnt lgkmcnt(0)
	v_add_f32_e32 v1, v11, v1
	ds_bpermute_b32 v3, v6, v0
	ds_bpermute_b32 v4, v6, v1
	s_waitcnt lgkmcnt(1)
	v_add_f32_e32 v0, v0, v3
	s_waitcnt lgkmcnt(0)
	v_add_f32_e32 v1, v1, v4
	ds_bpermute_b32 v3, v7, v0
	;; [unrolled: 6-line block ×4, first 2 shown]
	ds_bpermute_b32 v1, v9, v0
	s_and_b64 exec, exec, s[2:3]
	s_cbranch_execz .LBB68_26
; %bb.22:
	s_andn2_b64 vcc, exec, s[8:9]
	s_cbranch_vccnz .LBB68_24
; %bb.23:
	s_waitcnt lgkmcnt(1)
	v_add_f32_e32 v5, v3, v4
	v_mov_b32_e32 v4, s5
	v_add_co_u32_e32 v3, vcc, s4, v2
	v_addc_co_u32_e32 v4, vcc, 0, v4, vcc
	v_lshlrev_b64 v[3:4], 2, v[3:4]
	v_mov_b32_e32 v6, s17
	v_add_co_u32_e32 v3, vcc, s16, v3
	v_addc_co_u32_e32 v4, vcc, v6, v4, vcc
	global_store_dword v[3:4], v5, off offset:64
.LBB68_24:
	s_andn2_b64 vcc, exec, s[6:7]
	s_cbranch_vccnz .LBB68_26
; %bb.25:
	s_waitcnt lgkmcnt(0)
	v_add_f32_e32 v3, v0, v1
	v_mov_b32_e32 v1, s5
	v_add_co_u32_e32 v0, vcc, s4, v2
	v_addc_co_u32_e32 v1, vcc, 0, v1, vcc
	v_lshlrev_b64 v[0:1], 2, v[0:1]
	v_mov_b32_e32 v2, s19
	v_add_co_u32_e32 v0, vcc, s18, v0
	v_addc_co_u32_e32 v1, vcc, v2, v1, vcc
	global_store_dword v[0:1], v3, off offset:64
.LBB68_26:
	s_endpgm
	.section	.rodata,"a",@progbits
	.p2align	6, 0x0
	.amdhsa_kernel _ZN2at6native12_GLOBAL__N_135GammaBetaBackwardCUDAKernelTemplateIffLj32ELj32ELj256ELb0ELb1ELb0EEEvllPKT_S5_PKT0_S8_PS3_S9_
		.amdhsa_group_segment_fixed_size 0
		.amdhsa_private_segment_fixed_size 0
		.amdhsa_kernarg_size 320
		.amdhsa_user_sgpr_count 6
		.amdhsa_user_sgpr_private_segment_buffer 1
		.amdhsa_user_sgpr_dispatch_ptr 0
		.amdhsa_user_sgpr_queue_ptr 0
		.amdhsa_user_sgpr_kernarg_segment_ptr 1
		.amdhsa_user_sgpr_dispatch_id 0
		.amdhsa_user_sgpr_flat_scratch_init 0
		.amdhsa_user_sgpr_private_segment_size 0
		.amdhsa_uses_dynamic_stack 0
		.amdhsa_system_sgpr_private_segment_wavefront_offset 0
		.amdhsa_system_sgpr_workgroup_id_x 1
		.amdhsa_system_sgpr_workgroup_id_y 1
		.amdhsa_system_sgpr_workgroup_id_z 0
		.amdhsa_system_sgpr_workgroup_info 0
		.amdhsa_system_vgpr_workitem_id 1
		.amdhsa_next_free_vgpr 35
		.amdhsa_next_free_sgpr 32
		.amdhsa_reserve_vcc 1
		.amdhsa_reserve_flat_scratch 0
		.amdhsa_float_round_mode_32 0
		.amdhsa_float_round_mode_16_64 0
		.amdhsa_float_denorm_mode_32 3
		.amdhsa_float_denorm_mode_16_64 3
		.amdhsa_dx10_clamp 1
		.amdhsa_ieee_mode 1
		.amdhsa_fp16_overflow 0
		.amdhsa_exception_fp_ieee_invalid_op 0
		.amdhsa_exception_fp_denorm_src 0
		.amdhsa_exception_fp_ieee_div_zero 0
		.amdhsa_exception_fp_ieee_overflow 0
		.amdhsa_exception_fp_ieee_underflow 0
		.amdhsa_exception_fp_ieee_inexact 0
		.amdhsa_exception_int_div_zero 0
	.end_amdhsa_kernel
	.section	.text._ZN2at6native12_GLOBAL__N_135GammaBetaBackwardCUDAKernelTemplateIffLj32ELj32ELj256ELb0ELb1ELb0EEEvllPKT_S5_PKT0_S8_PS3_S9_,"axG",@progbits,_ZN2at6native12_GLOBAL__N_135GammaBetaBackwardCUDAKernelTemplateIffLj32ELj32ELj256ELb0ELb1ELb0EEEvllPKT_S5_PKT0_S8_PS3_S9_,comdat
.Lfunc_end68:
	.size	_ZN2at6native12_GLOBAL__N_135GammaBetaBackwardCUDAKernelTemplateIffLj32ELj32ELj256ELb0ELb1ELb0EEEvllPKT_S5_PKT0_S8_PS3_S9_, .Lfunc_end68-_ZN2at6native12_GLOBAL__N_135GammaBetaBackwardCUDAKernelTemplateIffLj32ELj32ELj256ELb0ELb1ELb0EEEvllPKT_S5_PKT0_S8_PS3_S9_
                                        ; -- End function
	.set _ZN2at6native12_GLOBAL__N_135GammaBetaBackwardCUDAKernelTemplateIffLj32ELj32ELj256ELb0ELb1ELb0EEEvllPKT_S5_PKT0_S8_PS3_S9_.num_vgpr, 35
	.set _ZN2at6native12_GLOBAL__N_135GammaBetaBackwardCUDAKernelTemplateIffLj32ELj32ELj256ELb0ELb1ELb0EEEvllPKT_S5_PKT0_S8_PS3_S9_.num_agpr, 0
	.set _ZN2at6native12_GLOBAL__N_135GammaBetaBackwardCUDAKernelTemplateIffLj32ELj32ELj256ELb0ELb1ELb0EEEvllPKT_S5_PKT0_S8_PS3_S9_.numbered_sgpr, 32
	.set _ZN2at6native12_GLOBAL__N_135GammaBetaBackwardCUDAKernelTemplateIffLj32ELj32ELj256ELb0ELb1ELb0EEEvllPKT_S5_PKT0_S8_PS3_S9_.num_named_barrier, 0
	.set _ZN2at6native12_GLOBAL__N_135GammaBetaBackwardCUDAKernelTemplateIffLj32ELj32ELj256ELb0ELb1ELb0EEEvllPKT_S5_PKT0_S8_PS3_S9_.private_seg_size, 0
	.set _ZN2at6native12_GLOBAL__N_135GammaBetaBackwardCUDAKernelTemplateIffLj32ELj32ELj256ELb0ELb1ELb0EEEvllPKT_S5_PKT0_S8_PS3_S9_.uses_vcc, 1
	.set _ZN2at6native12_GLOBAL__N_135GammaBetaBackwardCUDAKernelTemplateIffLj32ELj32ELj256ELb0ELb1ELb0EEEvllPKT_S5_PKT0_S8_PS3_S9_.uses_flat_scratch, 0
	.set _ZN2at6native12_GLOBAL__N_135GammaBetaBackwardCUDAKernelTemplateIffLj32ELj32ELj256ELb0ELb1ELb0EEEvllPKT_S5_PKT0_S8_PS3_S9_.has_dyn_sized_stack, 0
	.set _ZN2at6native12_GLOBAL__N_135GammaBetaBackwardCUDAKernelTemplateIffLj32ELj32ELj256ELb0ELb1ELb0EEEvllPKT_S5_PKT0_S8_PS3_S9_.has_recursion, 0
	.set _ZN2at6native12_GLOBAL__N_135GammaBetaBackwardCUDAKernelTemplateIffLj32ELj32ELj256ELb0ELb1ELb0EEEvllPKT_S5_PKT0_S8_PS3_S9_.has_indirect_call, 0
	.section	.AMDGPU.csdata,"",@progbits
; Kernel info:
; codeLenInByte = 1944
; TotalNumSgprs: 36
; NumVgprs: 35
; ScratchSize: 0
; MemoryBound: 0
; FloatMode: 240
; IeeeMode: 1
; LDSByteSize: 0 bytes/workgroup (compile time only)
; SGPRBlocks: 4
; VGPRBlocks: 8
; NumSGPRsForWavesPerEU: 36
; NumVGPRsForWavesPerEU: 35
; Occupancy: 7
; WaveLimiterHint : 0
; COMPUTE_PGM_RSRC2:SCRATCH_EN: 0
; COMPUTE_PGM_RSRC2:USER_SGPR: 6
; COMPUTE_PGM_RSRC2:TRAP_HANDLER: 0
; COMPUTE_PGM_RSRC2:TGID_X_EN: 1
; COMPUTE_PGM_RSRC2:TGID_Y_EN: 1
; COMPUTE_PGM_RSRC2:TGID_Z_EN: 0
; COMPUTE_PGM_RSRC2:TIDIG_COMP_CNT: 1
	.section	.text._ZN2at6native12_GLOBAL__N_135GammaBetaBackwardCUDAKernelTemplateIffLj32ELj32ELj256ELb0ELb0ELb0EEEvllPKT_S5_PKT0_S8_PS3_S9_,"axG",@progbits,_ZN2at6native12_GLOBAL__N_135GammaBetaBackwardCUDAKernelTemplateIffLj32ELj32ELj256ELb0ELb0ELb0EEEvllPKT_S5_PKT0_S8_PS3_S9_,comdat
	.globl	_ZN2at6native12_GLOBAL__N_135GammaBetaBackwardCUDAKernelTemplateIffLj32ELj32ELj256ELb0ELb0ELb0EEEvllPKT_S5_PKT0_S8_PS3_S9_ ; -- Begin function _ZN2at6native12_GLOBAL__N_135GammaBetaBackwardCUDAKernelTemplateIffLj32ELj32ELj256ELb0ELb0ELb0EEEvllPKT_S5_PKT0_S8_PS3_S9_
	.p2align	8
	.type	_ZN2at6native12_GLOBAL__N_135GammaBetaBackwardCUDAKernelTemplateIffLj32ELj32ELj256ELb0ELb0ELb0EEEvllPKT_S5_PKT0_S8_PS3_S9_,@function
_ZN2at6native12_GLOBAL__N_135GammaBetaBackwardCUDAKernelTemplateIffLj32ELj32ELj256ELb0ELb0ELb0EEEvllPKT_S5_PKT0_S8_PS3_S9_: ; @_ZN2at6native12_GLOBAL__N_135GammaBetaBackwardCUDAKernelTemplateIffLj32ELj32ELj256ELb0ELb0ELb0EEEvllPKT_S5_PKT0_S8_PS3_S9_
; %bb.0:
	s_mov_b64 s[38:39], s[2:3]
	s_mov_b64 s[36:37], s[0:1]
	s_add_u32 s36, s36, s8
	s_load_dwordx8 s[12:19], s[4:5], 0x0
	s_load_dwordx4 s[20:23], s[4:5], 0x20
	s_addc_u32 s37, s37, 0
	s_lshl_b32 s33, s6, 5
	v_mov_b32_e32 v4, 0
	s_or_b32 s0, s33, 31
	v_mov_b32_e32 v2, v4
	v_mov_b32_e32 v3, s0
	buffer_store_dword v1, off, s[36:39], 0 ; 4-byte Folded Spill
	s_nop 0
	buffer_store_dword v2, off, s[36:39], 0 offset:4 ; 4-byte Folded Spill
	s_lshl_b32 s10, s7, 8
	s_mov_b32 s11, 0
	s_waitcnt lgkmcnt(0)
	v_cmp_le_i64_e32 vcc, s[14:15], v[3:4]
	v_mov_b32_e32 v2, s10
	v_mov_b32_e32 v3, s11
	v_cmp_gt_i64_e64 s[0:1], s[12:13], v[2:3]
	v_mov_b32_e32 v61, v0
	v_cndmask_b32_e64 v0, 0, 1, s[0:1]
	v_cmp_ne_u32_e64 s[0:1], 1, v0
	s_cbranch_vccz .LBB69_49
; %bb.1:
	s_and_b64 vcc, exec, s[0:1]
	v_mov_b32_e32 v55, 0
	s_cbranch_vccnz .LBB69_50
; %bb.2:
	v_lshlrev_b32_e32 v0, 3, v1
	v_add_co_u32_e32 v5, vcc, s10, v0
	v_addc_co_u32_e64 v6, s[2:3], 0, 0, vcc
	v_mul_lo_u32 v10, s15, v5
	v_mul_lo_u32 v9, s14, v6
	v_mad_u64_u32 v[3:4], s[2:3], s14, v5, 0
	v_mov_b32_e32 v2, 0
	s_load_dword s7, s[4:5], 0x44
	v_add_u32_e32 v7, s33, v61
	v_mov_b32_e32 v8, v2
	v_add3_u32 v4, v4, v9, v10
	v_cmp_gt_i64_e64 s[2:3], s[14:15], v[7:8]
	v_lshlrev_b64 v[20:21], 2, v[7:8]
	v_lshlrev_b64 v[7:8], 2, v[3:4]
	s_add_u32 s24, s4, 64
	v_mov_b32_e32 v9, s17
	v_add_co_u32_e32 v62, vcc, s16, v7
	s_addc_u32 s25, s5, 0
	s_waitcnt lgkmcnt(0)
	s_lshl_b32 s7, s7, 8
	v_addc_co_u32_e32 v19, vcc, v9, v8, vcc
	s_mul_i32 s8, s15, s7
	s_mul_hi_u32 s9, s14, s7
	v_add_co_u32_e32 v9, vcc, 7, v5
	s_add_i32 s9, s9, s8
	s_mul_i32 s8, s14, s7
	v_addc_co_u32_e32 v10, vcc, 0, v6, vcc
	s_lshl_b64 s[26:27], s[8:9], 2
	v_mul_lo_u32 v12, s15, v9
	v_mul_lo_u32 v13, s14, v10
	v_mad_u64_u32 v[9:10], s[8:9], s14, v9, 0
	v_mov_b32_e32 v11, s19
	v_add_co_u32_e32 v22, vcc, s18, v7
	v_add3_u32 v10, v10, v13, v12
	v_addc_co_u32_e32 v23, vcc, v11, v8, vcc
	v_lshlrev_b64 v[7:8], 2, v[9:10]
	v_mov_b32_e32 v9, s17
	v_add_co_u32_e32 v24, vcc, s16, v7
	v_addc_co_u32_e32 v25, vcc, v9, v8, vcc
	v_add_co_u32_e32 v9, vcc, 6, v5
	v_addc_co_u32_e32 v10, vcc, 0, v6, vcc
	v_mul_lo_u32 v12, s15, v9
	v_mul_lo_u32 v13, s14, v10
	v_mad_u64_u32 v[9:10], s[8:9], s14, v9, 0
	v_add_co_u32_e32 v26, vcc, s18, v7
	v_add3_u32 v10, v10, v13, v12
	v_addc_co_u32_e32 v27, vcc, v11, v8, vcc
	v_lshlrev_b64 v[7:8], 2, v[9:10]
	v_mov_b32_e32 v9, s17
	v_add_co_u32_e32 v28, vcc, s16, v7
	v_addc_co_u32_e32 v29, vcc, v9, v8, vcc
	v_add_co_u32_e32 v9, vcc, 5, v5
	v_addc_co_u32_e32 v10, vcc, 0, v6, vcc
	v_mul_lo_u32 v12, s15, v9
	v_mul_lo_u32 v13, s14, v10
	v_mad_u64_u32 v[9:10], s[8:9], s14, v9, 0
	v_add_co_u32_e32 v30, vcc, s18, v7
	v_add3_u32 v10, v10, v13, v12
	v_addc_co_u32_e32 v31, vcc, v11, v8, vcc
	v_lshlrev_b64 v[7:8], 2, v[9:10]
	v_mov_b32_e32 v9, s17
	v_add_co_u32_e32 v32, vcc, s16, v7
	v_addc_co_u32_e32 v33, vcc, v9, v8, vcc
	v_add_co_u32_e32 v9, vcc, 4, v5
	v_addc_co_u32_e32 v10, vcc, 0, v6, vcc
	v_mul_lo_u32 v12, s15, v9
	v_mul_lo_u32 v13, s14, v10
	v_mad_u64_u32 v[9:10], s[8:9], s14, v9, 0
	v_add_co_u32_e32 v34, vcc, s18, v7
	v_add3_u32 v10, v10, v13, v12
	v_addc_co_u32_e32 v35, vcc, v11, v8, vcc
	v_lshlrev_b64 v[7:8], 2, v[9:10]
	v_mov_b32_e32 v9, s17
	v_add_co_u32_e32 v36, vcc, s16, v7
	v_addc_co_u32_e32 v37, vcc, v9, v8, vcc
	v_add_co_u32_e32 v9, vcc, 3, v5
	v_addc_co_u32_e32 v10, vcc, 0, v6, vcc
	v_mul_lo_u32 v12, s15, v9
	v_mul_lo_u32 v13, s14, v10
	v_mad_u64_u32 v[9:10], s[8:9], s14, v9, 0
	v_add_co_u32_e32 v38, vcc, s18, v7
	v_add3_u32 v10, v10, v13, v12
	v_addc_co_u32_e32 v39, vcc, v11, v8, vcc
	v_lshlrev_b64 v[7:8], 2, v[9:10]
	v_mov_b32_e32 v9, s17
	v_add_co_u32_e32 v40, vcc, s16, v7
	v_addc_co_u32_e32 v41, vcc, v9, v8, vcc
	v_add_co_u32_e32 v5, vcc, 2, v5
	v_addc_co_u32_e32 v6, vcc, 0, v6, vcc
	v_mul_lo_u32 v10, s15, v5
	v_mul_lo_u32 v11, s14, v6
	v_mad_u64_u32 v[5:6], s[8:9], s14, v5, 0
	v_mov_b32_e32 v9, s19
	v_add_co_u32_e32 v42, vcc, s18, v7
	v_add3_u32 v6, v6, v11, v10
	v_lshlrev_b64 v[5:6], 2, v[5:6]
	v_addc_co_u32_e32 v43, vcc, v9, v8, vcc
	v_mov_b32_e32 v7, s17
	v_add_co_u32_e32 v44, vcc, s16, v5
	v_addc_co_u32_e32 v45, vcc, v7, v6, vcc
	v_mov_b32_e32 v7, s19
	v_add_co_u32_e32 v46, vcc, s18, v5
	;; [unrolled: 3-line block ×3, first 2 shown]
	v_addc_co_u32_e32 v4, vcc, v4, v5, vcc
	v_lshlrev_b64 v[3:4], 2, v[3:4]
	v_mov_b32_e32 v5, s17
	v_add_co_u32_e32 v48, vcc, s16, v3
	v_addc_co_u32_e32 v49, vcc, v5, v4, vcc
	v_add_co_u32_e32 v50, vcc, s18, v3
	v_mbcnt_lo_u32_b32 v3, -1, 0
	v_mbcnt_hi_u32_b32 v3, -1, v3
	v_mov_b32_e32 v5, s19
	s_add_u32 s28, s10, 0xff
	v_lshlrev_b32_e32 v3, 2, v3
	v_addc_co_u32_e32 v51, vcc, v5, v4, vcc
	s_addc_u32 s29, 0, 0
	v_and_b32_e32 v52, 0x100, v3
	v_mov_b32_e32 v53, 0
	v_mov_b32_e32 v3, 0
	s_mov_b64 s[30:31], s[10:11]
	buffer_store_dword v2, off, s[36:39], 0 ; 4-byte Folded Spill
	s_nop 0
	buffer_store_dword v3, off, s[36:39], 0 offset:4 ; 4-byte Folded Spill
.LBB69_3:                               ; =>This Inner Loop Header: Depth=1
	v_mov_b32_e32 v3, s12
	v_mov_b32_e32 v4, s13
	v_cmp_ge_i64_e32 vcc, s[28:29], v[3:4]
	v_mov_b32_e32 v3, s29
	v_add_co_u32_e64 v54, s[8:9], s28, v0
	v_addc_co_u32_e64 v56, s[8:9], 0, v3, s[8:9]
	s_mov_b64 s[8:9], -1
	s_and_b64 vcc, exec, vcc
                                        ; implicit-def: $vgpr3_vgpr4_vgpr5_vgpr6_vgpr7_vgpr8_vgpr9_vgpr10
                                        ; implicit-def: $vgpr59
                                        ; implicit-def: $vgpr11_vgpr12_vgpr13_vgpr14_vgpr15_vgpr16_vgpr17_vgpr18
                                        ; implicit-def: $vgpr4
                                        ; implicit-def: $vgpr3
                                        ; implicit-def: $vgpr55
	s_cbranch_vccz .LBB69_25
; %bb.4:                                ;   in Loop: Header=BB69_3 Depth=1
	s_load_dword s8, s[24:25], 0xc
	v_mov_b32_e32 v57, 0
	v_mov_b32_e32 v58, 0
	s_waitcnt lgkmcnt(0)
	s_and_b32 s8, s8, 0xffff
	v_mad_u32_u24 v3, v1, s8, v61
	v_and_b32_e32 v3, 63, v3
	v_cmp_gt_u32_e32 vcc, 8, v3
	s_and_saveexec_b64 s[8:9], vcc
	s_cbranch_execz .LBB69_8
; %bb.5:                                ;   in Loop: Header=BB69_3 Depth=1
	v_add_co_u32_e32 v3, vcc, v54, v3
	v_addc_co_u32_e32 v4, vcc, 0, v56, vcc
	v_add_co_u32_e32 v3, vcc, 0xffffff01, v3
	v_addc_co_u32_e32 v4, vcc, -1, v4, vcc
	v_cmp_gt_i64_e32 vcc, s[12:13], v[3:4]
	v_mov_b32_e32 v58, 0
	v_mov_b32_e32 v57, 0
	s_and_saveexec_b64 s[34:35], vcc
	s_cbranch_execz .LBB69_7
; %bb.6:                                ;   in Loop: Header=BB69_3 Depth=1
	v_lshlrev_b64 v[3:4], 2, v[3:4]
	v_mov_b32_e32 v6, s23
	v_add_co_u32_e32 v5, vcc, s22, v3
	v_addc_co_u32_e32 v6, vcc, v6, v4, vcc
	v_mov_b32_e32 v7, s21
	v_add_co_u32_e32 v3, vcc, s20, v3
	v_addc_co_u32_e32 v4, vcc, v7, v4, vcc
	global_load_dword v58, v[3:4], off
	global_load_dword v57, v[5:6], off
.LBB69_7:                               ;   in Loop: Header=BB69_3 Depth=1
	s_or_b64 exec, exec, s[34:35]
.LBB69_8:                               ;   in Loop: Header=BB69_3 Depth=1
	s_or_b64 exec, exec, s[8:9]
	v_add_co_u32_e32 v3, vcc, 0xffffff01, v54
	v_addc_co_u32_e32 v4, vcc, -1, v56, vcc
	v_mov_b32_e32 v9, v2
	v_cmp_gt_i64_e32 vcc, s[12:13], v[3:4]
	v_mov_b32_e32 v3, v2
	v_mov_b32_e32 v4, v2
	;; [unrolled: 1-line block ×15, first 2 shown]
	s_and_b64 s[34:35], s[2:3], vcc
	v_mov_b32_e32 v9, v8
	v_mov_b32_e32 v8, v7
	;; [unrolled: 1-line block ×7, first 2 shown]
	s_and_saveexec_b64 s[8:9], s[34:35]
	s_cbranch_execz .LBB69_10
; %bb.9:                                ;   in Loop: Header=BB69_3 Depth=1
	v_add_co_u32_e32 v3, vcc, v62, v20
	v_addc_co_u32_e32 v4, vcc, v19, v21, vcc
	global_load_dword v3, v[3:4], off
	v_add_co_u32_e32 v4, vcc, v22, v20
	v_addc_co_u32_e32 v5, vcc, v23, v21, vcc
	global_load_dword v11, v[4:5], off
	v_mov_b32_e32 v4, v2
	v_mov_b32_e32 v5, v2
	;; [unrolled: 1-line block ×14, first 2 shown]
.LBB69_10:                              ;   in Loop: Header=BB69_3 Depth=1
	s_or_b64 exec, exec, s[8:9]
	v_add_co_u32_e32 v59, vcc, 0xffffff02, v54
	v_addc_co_u32_e32 v60, vcc, -1, v56, vcc
	v_cmp_gt_i64_e32 vcc, s[12:13], v[59:60]
	s_and_b64 s[34:35], s[2:3], vcc
	s_and_saveexec_b64 s[8:9], s[34:35]
	s_cbranch_execz .LBB69_12
; %bb.11:                               ;   in Loop: Header=BB69_3 Depth=1
	v_add_co_u32_e32 v59, vcc, v48, v20
	v_addc_co_u32_e32 v60, vcc, v49, v21, vcc
	global_load_dword v4, v[59:60], off
	v_add_co_u32_e32 v59, vcc, v50, v20
	v_addc_co_u32_e32 v60, vcc, v51, v21, vcc
	global_load_dword v12, v[59:60], off
.LBB69_12:                              ;   in Loop: Header=BB69_3 Depth=1
	s_or_b64 exec, exec, s[8:9]
	v_add_co_u32_e32 v59, vcc, 0xffffff03, v54
	v_addc_co_u32_e32 v60, vcc, -1, v56, vcc
	v_cmp_gt_i64_e32 vcc, s[12:13], v[59:60]
	s_and_b64 s[34:35], s[2:3], vcc
	s_and_saveexec_b64 s[8:9], s[34:35]
	s_cbranch_execz .LBB69_14
; %bb.13:                               ;   in Loop: Header=BB69_3 Depth=1
	v_add_co_u32_e32 v59, vcc, v44, v20
	v_addc_co_u32_e32 v60, vcc, v45, v21, vcc
	global_load_dword v5, v[59:60], off
	v_add_co_u32_e32 v59, vcc, v46, v20
	v_addc_co_u32_e32 v60, vcc, v47, v21, vcc
	global_load_dword v13, v[59:60], off
.LBB69_14:                              ;   in Loop: Header=BB69_3 Depth=1
	;; [unrolled: 15-line block ×7, first 2 shown]
	s_or_b64 exec, exec, s[8:9]
	s_waitcnt vmcnt(1)
	ds_bpermute_b32 v59, v52, v58
	s_waitcnt vmcnt(0)
	ds_bpermute_b32 v55, v52, v57
	s_mov_b64 s[8:9], 0
	s_waitcnt lgkmcnt(1)
	v_sub_f32_e32 v11, v11, v59
	buffer_load_dword v59, off, s[36:39], 0 ; 4-byte Folded Reload
	buffer_load_dword v60, off, s[36:39], 0 offset:4 ; 4-byte Folded Reload
	s_waitcnt vmcnt(1)
	ds_bpermute_b32 v59, v52, v58 offset:4
	v_mul_f32_e32 v11, v3, v11
	s_waitcnt lgkmcnt(1)
	v_fma_f32 v55, v11, v55, v53
	ds_bpermute_b32 v11, v52, v57 offset:4
	s_waitcnt lgkmcnt(1)
	v_sub_f32_e32 v12, v12, v59
	v_mul_f32_e32 v12, v4, v12
	ds_bpermute_b32 v59, v52, v57 offset:28
	s_waitcnt lgkmcnt(1)
	v_fmac_f32_e32 v55, v12, v11
	ds_bpermute_b32 v11, v52, v58 offset:8
	s_waitcnt lgkmcnt(0)
	v_sub_f32_e32 v11, v13, v11
	v_mul_f32_e32 v11, v5, v11
	s_waitcnt vmcnt(0)
	v_add_f32_e32 v3, v60, v3
	v_add_f32_e32 v3, v4, v3
	ds_bpermute_b32 v4, v52, v57 offset:8
	v_add_f32_e32 v3, v5, v3
	ds_bpermute_b32 v5, v52, v58 offset:12
	v_add_f32_e32 v3, v6, v3
	v_add_f32_e32 v3, v7, v3
	s_waitcnt lgkmcnt(1)
	v_fmac_f32_e32 v55, v11, v4
	ds_bpermute_b32 v4, v52, v57 offset:12
	s_waitcnt lgkmcnt(1)
	v_sub_f32_e32 v5, v14, v5
	v_mul_f32_e32 v5, v6, v5
	v_add_f32_e32 v3, v8, v3
	v_add_f32_e32 v3, v9, v3
	s_waitcnt lgkmcnt(0)
	v_fmac_f32_e32 v55, v5, v4
	ds_bpermute_b32 v5, v52, v58 offset:16
	ds_bpermute_b32 v4, v52, v57 offset:16
	s_waitcnt lgkmcnt(1)
	v_sub_f32_e32 v5, v15, v5
	v_mul_f32_e32 v5, v7, v5
	s_waitcnt lgkmcnt(0)
	v_fmac_f32_e32 v55, v5, v4
	ds_bpermute_b32 v5, v52, v58 offset:20
	ds_bpermute_b32 v4, v52, v57 offset:20
	s_waitcnt lgkmcnt(1)
	v_sub_f32_e32 v5, v16, v5
	v_mul_f32_e32 v5, v8, v5
	;; [unrolled: 7-line block ×3, first 2 shown]
	s_waitcnt lgkmcnt(0)
	v_fmac_f32_e32 v55, v5, v4
	ds_bpermute_b32 v4, v52, v58 offset:28
.LBB69_25:                              ;   in Loop: Header=BB69_3 Depth=1
	s_and_b64 vcc, exec, s[8:9]
	s_cbranch_vccz .LBB69_40
; %bb.26:                               ;   in Loop: Header=BB69_3 Depth=1
	s_load_dword s8, s[24:25], 0x0
	v_mov_b32_e32 v55, 0
	v_mov_b32_e32 v57, 0
	s_waitcnt lgkmcnt(0)
	s_cmp_lt_u32 s6, s8
	s_cselect_b32 s8, 12, 18
	s_add_u32 s8, s24, s8
	s_addc_u32 s9, s25, 0
	global_load_ushort v3, v2, s[8:9]
	s_waitcnt vmcnt(0)
	v_mad_u32_u24 v3, v1, v3, v61
	v_and_b32_e32 v3, 63, v3
	v_cmp_gt_u32_e32 vcc, 8, v3
	s_and_saveexec_b64 s[8:9], vcc
	s_cbranch_execz .LBB69_30
; %bb.27:                               ;   in Loop: Header=BB69_3 Depth=1
	v_add_co_u32_e32 v3, vcc, v54, v3
	v_addc_co_u32_e32 v4, vcc, 0, v56, vcc
	v_add_co_u32_e32 v3, vcc, 0xffffff01, v3
	v_addc_co_u32_e32 v4, vcc, -1, v4, vcc
	v_cmp_gt_i64_e32 vcc, s[12:13], v[3:4]
	v_mov_b32_e32 v57, 0
	v_mov_b32_e32 v55, 0
	s_and_saveexec_b64 s[34:35], vcc
	s_cbranch_execz .LBB69_29
; %bb.28:                               ;   in Loop: Header=BB69_3 Depth=1
	v_lshlrev_b64 v[3:4], 2, v[3:4]
	v_mov_b32_e32 v6, s23
	v_add_co_u32_e32 v5, vcc, s22, v3
	v_addc_co_u32_e32 v6, vcc, v6, v4, vcc
	v_mov_b32_e32 v7, s21
	v_add_co_u32_e32 v3, vcc, s20, v3
	v_addc_co_u32_e32 v4, vcc, v7, v4, vcc
	global_load_dword v57, v[3:4], off
	global_load_dword v55, v[5:6], off
.LBB69_29:                              ;   in Loop: Header=BB69_3 Depth=1
	s_or_b64 exec, exec, s[34:35]
.LBB69_30:                              ;   in Loop: Header=BB69_3 Depth=1
	s_or_b64 exec, exec, s[8:9]
	v_mov_b32_e32 v9, v2
	v_mov_b32_e32 v3, v2
	;; [unrolled: 1-line block ×23, first 2 shown]
	s_and_saveexec_b64 s[8:9], s[2:3]
	s_cbranch_execnz .LBB69_42
; %bb.31:                               ;   in Loop: Header=BB69_3 Depth=1
	s_or_b64 exec, exec, s[8:9]
	s_and_saveexec_b64 s[8:9], s[2:3]
	s_cbranch_execnz .LBB69_43
.LBB69_32:                              ;   in Loop: Header=BB69_3 Depth=1
	s_or_b64 exec, exec, s[8:9]
	s_and_saveexec_b64 s[8:9], s[2:3]
	s_cbranch_execnz .LBB69_44
.LBB69_33:                              ;   in Loop: Header=BB69_3 Depth=1
	s_or_b64 exec, exec, s[8:9]
	s_and_saveexec_b64 s[8:9], s[2:3]
	s_cbranch_execnz .LBB69_45
.LBB69_34:                              ;   in Loop: Header=BB69_3 Depth=1
	s_or_b64 exec, exec, s[8:9]
	s_and_saveexec_b64 s[8:9], s[2:3]
	s_cbranch_execnz .LBB69_46
.LBB69_35:                              ;   in Loop: Header=BB69_3 Depth=1
	s_or_b64 exec, exec, s[8:9]
	s_and_saveexec_b64 s[8:9], s[2:3]
	s_cbranch_execnz .LBB69_47
.LBB69_36:                              ;   in Loop: Header=BB69_3 Depth=1
	s_or_b64 exec, exec, s[8:9]
	s_and_saveexec_b64 s[8:9], s[2:3]
	s_cbranch_execnz .LBB69_48
.LBB69_37:                              ;   in Loop: Header=BB69_3 Depth=1
	s_or_b64 exec, exec, s[8:9]
	s_and_saveexec_b64 s[8:9], s[2:3]
	s_cbranch_execz .LBB69_39
.LBB69_38:                              ;   in Loop: Header=BB69_3 Depth=1
	v_add_co_u32_e32 v58, vcc, v24, v20
	v_addc_co_u32_e32 v59, vcc, v25, v21, vcc
	global_load_dword v10, v[58:59], off
	v_add_co_u32_e32 v58, vcc, v26, v20
	v_addc_co_u32_e32 v59, vcc, v27, v21, vcc
	global_load_dword v18, v[58:59], off
.LBB69_39:                              ;   in Loop: Header=BB69_3 Depth=1
	s_or_b64 exec, exec, s[8:9]
	buffer_load_dword v58, off, s[36:39], 0 ; 4-byte Folded Reload
	buffer_load_dword v59, off, s[36:39], 0 offset:4 ; 4-byte Folded Reload
	s_waitcnt vmcnt(3)
	ds_bpermute_b32 v54, v52, v57
	s_waitcnt vmcnt(2)
	ds_bpermute_b32 v56, v52, v55
	ds_bpermute_b32 v60, v52, v55 offset:4
	s_waitcnt lgkmcnt(2)
	v_sub_f32_e32 v11, v11, v54
	s_waitcnt vmcnt(0)
	v_add_f32_e32 v58, v59, v3
	ds_bpermute_b32 v59, v52, v57 offset:4
	v_mul_f32_e32 v3, v3, v11
	s_waitcnt lgkmcnt(2)
	v_fmac_f32_e32 v53, v3, v56
	ds_bpermute_b32 v11, v52, v57 offset:8
	s_waitcnt lgkmcnt(1)
	v_sub_f32_e32 v3, v12, v59
	v_mul_f32_e32 v3, v4, v3
	v_fmac_f32_e32 v53, v3, v60
	ds_bpermute_b32 v3, v52, v55 offset:8
	s_waitcnt lgkmcnt(1)
	v_sub_f32_e32 v11, v13, v11
	ds_bpermute_b32 v12, v52, v57 offset:12
	v_mul_f32_e32 v11, v5, v11
	v_add_f32_e32 v4, v4, v58
	s_waitcnt lgkmcnt(1)
	v_fmac_f32_e32 v53, v11, v3
	ds_bpermute_b32 v3, v52, v55 offset:12
	v_add_f32_e32 v4, v5, v4
	s_waitcnt lgkmcnt(1)
	v_sub_f32_e32 v5, v14, v12
	ds_bpermute_b32 v11, v52, v57 offset:16
	v_mul_f32_e32 v5, v6, v5
	s_waitcnt lgkmcnt(1)
	v_fmac_f32_e32 v53, v5, v3
	ds_bpermute_b32 v3, v52, v55 offset:16
	v_add_f32_e32 v4, v6, v4
	s_waitcnt lgkmcnt(1)
	v_sub_f32_e32 v5, v15, v11
	ds_bpermute_b32 v6, v52, v57 offset:20
	v_mul_f32_e32 v5, v7, v5
	;; [unrolled: 8-line block ×3, first 2 shown]
	s_waitcnt lgkmcnt(1)
	v_fmac_f32_e32 v53, v5, v3
	ds_bpermute_b32 v5, v52, v55 offset:24
	v_add_f32_e32 v3, v8, v4
	ds_bpermute_b32 v59, v52, v55 offset:28
	ds_bpermute_b32 v4, v52, v57 offset:28
	s_waitcnt lgkmcnt(3)
	v_sub_f32_e32 v6, v17, v6
	v_mul_f32_e32 v6, v9, v6
	s_waitcnt lgkmcnt(2)
	v_fmac_f32_e32 v53, v6, v5
	v_add_f32_e32 v3, v9, v3
	v_mov_b32_e32 v55, v53
.LBB69_40:                              ;   in Loop: Header=BB69_3 Depth=1
	v_add_f32_e32 v3, v3, v10
	buffer_store_dword v2, off, s[36:39], 0 ; 4-byte Folded Spill
	s_nop 0
	buffer_store_dword v3, off, s[36:39], 0 offset:4 ; 4-byte Folded Spill
	v_mov_b32_e32 v3, s27
	v_add_co_u32_e32 v62, vcc, s26, v62
	v_addc_co_u32_e32 v19, vcc, v19, v3, vcc
	v_add_co_u32_e32 v22, vcc, s26, v22
	v_addc_co_u32_e32 v23, vcc, v23, v3, vcc
	;; [unrolled: 2-line block ×14, first 2 shown]
	v_add_co_u32_e32 v48, vcc, s26, v48
	s_waitcnt lgkmcnt(0)
	v_sub_f32_e32 v4, v18, v4
	v_addc_co_u32_e32 v49, vcc, v49, v3, vcc
	v_mul_f32_e32 v4, v10, v4
	v_add_co_u32_e32 v50, vcc, s26, v50
	v_fmac_f32_e32 v55, v4, v59
	s_add_u32 s30, s30, s7
	v_addc_co_u32_e32 v51, vcc, v51, v3, vcc
	v_mov_b32_e32 v3, s12
	s_addc_u32 s31, s31, 0
	v_mov_b32_e32 v4, s13
	v_cmp_lt_i64_e32 vcc, s[30:31], v[3:4]
	s_add_u32 s28, s28, s7
	s_addc_u32 s29, s29, 0
	s_cbranch_vccz .LBB69_50
; %bb.41:                               ;   in Loop: Header=BB69_3 Depth=1
	v_mov_b32_e32 v53, v55
	s_branch .LBB69_3
.LBB69_42:                              ;   in Loop: Header=BB69_3 Depth=1
	v_add_co_u32_e32 v3, vcc, v62, v20
	v_addc_co_u32_e32 v4, vcc, v19, v21, vcc
	global_load_dword v3, v[3:4], off
	v_add_co_u32_e32 v4, vcc, v22, v20
	v_addc_co_u32_e32 v5, vcc, v23, v21, vcc
	global_load_dword v11, v[4:5], off
	v_mov_b32_e32 v4, v2
	v_mov_b32_e32 v5, v2
	;; [unrolled: 1-line block ×14, first 2 shown]
	s_or_b64 exec, exec, s[8:9]
	s_and_saveexec_b64 s[8:9], s[2:3]
	s_cbranch_execz .LBB69_32
.LBB69_43:                              ;   in Loop: Header=BB69_3 Depth=1
	v_add_co_u32_e32 v58, vcc, v48, v20
	v_addc_co_u32_e32 v59, vcc, v49, v21, vcc
	global_load_dword v4, v[58:59], off
	v_add_co_u32_e32 v58, vcc, v50, v20
	v_addc_co_u32_e32 v59, vcc, v51, v21, vcc
	global_load_dword v12, v[58:59], off
	s_or_b64 exec, exec, s[8:9]
	s_and_saveexec_b64 s[8:9], s[2:3]
	s_cbranch_execz .LBB69_33
.LBB69_44:                              ;   in Loop: Header=BB69_3 Depth=1
	v_add_co_u32_e32 v58, vcc, v44, v20
	v_addc_co_u32_e32 v59, vcc, v45, v21, vcc
	global_load_dword v5, v[58:59], off
	v_add_co_u32_e32 v58, vcc, v46, v20
	v_addc_co_u32_e32 v59, vcc, v47, v21, vcc
	global_load_dword v13, v[58:59], off
	s_or_b64 exec, exec, s[8:9]
	s_and_saveexec_b64 s[8:9], s[2:3]
	s_cbranch_execz .LBB69_34
.LBB69_45:                              ;   in Loop: Header=BB69_3 Depth=1
	v_add_co_u32_e32 v58, vcc, v40, v20
	v_addc_co_u32_e32 v59, vcc, v41, v21, vcc
	global_load_dword v6, v[58:59], off
	v_add_co_u32_e32 v58, vcc, v42, v20
	v_addc_co_u32_e32 v59, vcc, v43, v21, vcc
	global_load_dword v14, v[58:59], off
	s_or_b64 exec, exec, s[8:9]
	s_and_saveexec_b64 s[8:9], s[2:3]
	s_cbranch_execz .LBB69_35
.LBB69_46:                              ;   in Loop: Header=BB69_3 Depth=1
	v_add_co_u32_e32 v58, vcc, v36, v20
	v_addc_co_u32_e32 v59, vcc, v37, v21, vcc
	global_load_dword v7, v[58:59], off
	v_add_co_u32_e32 v58, vcc, v38, v20
	v_addc_co_u32_e32 v59, vcc, v39, v21, vcc
	global_load_dword v15, v[58:59], off
	s_or_b64 exec, exec, s[8:9]
	s_and_saveexec_b64 s[8:9], s[2:3]
	s_cbranch_execz .LBB69_36
.LBB69_47:                              ;   in Loop: Header=BB69_3 Depth=1
	v_add_co_u32_e32 v58, vcc, v32, v20
	v_addc_co_u32_e32 v59, vcc, v33, v21, vcc
	global_load_dword v8, v[58:59], off
	v_add_co_u32_e32 v58, vcc, v34, v20
	v_addc_co_u32_e32 v59, vcc, v35, v21, vcc
	global_load_dword v16, v[58:59], off
	s_or_b64 exec, exec, s[8:9]
	s_and_saveexec_b64 s[8:9], s[2:3]
	s_cbranch_execz .LBB69_37
.LBB69_48:                              ;   in Loop: Header=BB69_3 Depth=1
	v_add_co_u32_e32 v58, vcc, v28, v20
	v_addc_co_u32_e32 v59, vcc, v29, v21, vcc
	global_load_dword v9, v[58:59], off
	v_add_co_u32_e32 v58, vcc, v30, v20
	v_addc_co_u32_e32 v59, vcc, v31, v21, vcc
	global_load_dword v17, v[58:59], off
	s_or_b64 exec, exec, s[8:9]
	s_and_saveexec_b64 s[8:9], s[2:3]
	s_cbranch_execnz .LBB69_38
	s_branch .LBB69_39
.LBB69_49:
                                        ; implicit-def: $vgpr2
	buffer_store_dword v1, off, s[36:39], 0 ; 4-byte Folded Spill
	s_nop 0
	buffer_store_dword v2, off, s[36:39], 0 offset:4 ; 4-byte Folded Spill
                                        ; implicit-def: $vgpr55
	s_branch .LBB69_51
.LBB69_50:
	s_cbranch_execnz .LBB69_83
.LBB69_51:
	v_mov_b32_e32 v2, 0
	s_and_b64 vcc, exec, s[0:1]
	v_mov_b32_e32 v55, 0
	buffer_store_dword v1, off, s[36:39], 0 ; 4-byte Folded Spill
	s_nop 0
	buffer_store_dword v2, off, s[36:39], 0 offset:4 ; 4-byte Folded Spill
	s_cbranch_vccnz .LBB69_83
; %bb.52:
	v_lshlrev_b32_e32 v0, 3, v1
	buffer_store_dword v0, off, s[36:39], 0 offset:108 ; 4-byte Folded Spill
	v_add_co_u32_e32 v0, vcc, s10, v0
	v_addc_co_u32_e64 v17, s[0:1], 0, 0, vcc
	v_mul_lo_u32 v2, s15, v0
	v_mul_lo_u32 v3, s14, v17
	v_mad_u64_u32 v[4:5], s[0:1], s14, v0, 0
	s_load_dword s7, s[4:5], 0x44
	s_add_u32 s2, s4, 64
	v_add3_u32 v5, v5, v3, v2
	v_lshlrev_b64 v[2:3], 2, v[4:5]
	s_addc_u32 s3, s5, 0
	s_waitcnt lgkmcnt(0)
	s_lshl_b32 s7, s7, 8
	v_mov_b32_e32 v6, s17
	v_add_co_u32_e32 v7, vcc, s16, v2
	s_mul_i32 s0, s15, s7
	s_mul_hi_u32 s1, s14, s7
	v_addc_co_u32_e32 v6, vcc, v6, v3, vcc
	s_add_i32 s1, s1, s0
	s_mul_i32 s0, s14, s7
	buffer_store_dword v6, off, s[36:39], 0 offset:12 ; 4-byte Folded Spill
	s_lshl_b64 s[8:9], s[0:1], 2
	v_mov_b32_e32 v6, s19
	v_add_co_u32_e32 v2, vcc, s18, v2
	buffer_store_dword v2, off, s[36:39], 0 offset:16 ; 4-byte Folded Spill
	v_addc_co_u32_e32 v2, vcc, v6, v3, vcc
	s_add_u32 s24, s10, 0xff
	buffer_store_dword v2, off, s[36:39], 0 offset:20 ; 4-byte Folded Spill
	s_addc_u32 s25, 0, 0
	v_lshlrev_b32_e32 v2, 5, v1
	s_lshl_b64 s[0:1], s[10:11], 2
	v_mov_b32_e32 v3, s1
	v_add_co_u32_e32 v6, vcc, s0, v2
	buffer_store_dword v7, off, s[36:39], 0 offset:8 ; 4-byte Folded Spill
	v_addc_co_u32_e32 v7, vcc, 0, v3, vcc
	v_add_co_u32_e32 v8, vcc, 4, v6
	v_addc_co_u32_e32 v9, vcc, 0, v7, vcc
	v_mov_b32_e32 v2, s16
	v_mul_lo_u32 v12, s14, v9
	v_mov_b32_e32 v9, s18
	v_mov_b32_e32 v3, s17
	;; [unrolled: 1-line block ×3, first 2 shown]
	v_mad_u64_u32 v[20:21], s[0:1], s14, v8, v[2:3]
	v_mul_lo_u32 v13, s15, v8
	v_mad_u64_u32 v[22:23], s[0:1], s14, v8, v[9:10]
	v_add_co_u32_e32 v8, vcc, 8, v6
	v_addc_co_u32_e32 v14, vcc, 0, v7, vcc
	v_mov_b32_e32 v11, s15
	v_add_co_u32_e32 v4, vcc, s14, v4
	v_addc_co_u32_e32 v5, vcc, v5, v11, vcc
	v_mul_lo_u32 v15, s15, v8
	v_mad_u64_u32 v[24:25], s[0:1], s14, v8, v[2:3]
	v_mad_u64_u32 v[26:27], s[0:1], s14, v8, v[9:10]
	v_add_co_u32_e32 v8, vcc, 12, v6
	v_addc_co_u32_e32 v11, vcc, 0, v7, vcc
	v_add3_u32 v21, v13, v21, v12
	v_add3_u32 v23, v13, v23, v12
	v_mul_lo_u32 v11, s14, v11
	v_mul_lo_u32 v12, s15, v8
	v_mad_u64_u32 v[28:29], s[0:1], s14, v8, v[2:3]
	v_mad_u64_u32 v[30:31], s[0:1], s14, v8, v[9:10]
	v_add_co_u32_e32 v8, vcc, 16, v6
	v_mul_lo_u32 v14, s14, v14
	v_addc_co_u32_e32 v13, vcc, 0, v7, vcc
	v_mul_lo_u32 v16, s15, v8
	v_mad_u64_u32 v[32:33], s[0:1], s14, v8, v[2:3]
	v_mad_u64_u32 v[34:35], s[0:1], s14, v8, v[9:10]
	v_add_co_u32_e32 v8, vcc, 20, v6
	v_add3_u32 v29, v12, v29, v11
	v_add3_u32 v31, v12, v31, v11
	v_addc_co_u32_e32 v11, vcc, 0, v7, vcc
	v_mul_lo_u32 v12, s15, v8
	v_mad_u64_u32 v[36:37], s[0:1], s14, v8, v[2:3]
	v_mad_u64_u32 v[38:39], s[0:1], s14, v8, v[9:10]
	v_add_co_u32_e32 v8, vcc, 24, v6
	v_add3_u32 v25, v15, v25, v14
	v_add3_u32 v27, v15, v27, v14
	v_addc_co_u32_e32 v14, vcc, 0, v7, vcc
	v_add_co_u32_e32 v6, vcc, 28, v6
	v_addc_co_u32_e32 v7, vcc, 0, v7, vcc
	v_mad_u64_u32 v[40:41], s[0:1], s14, v8, v[2:3]
	v_mad_u64_u32 v[44:45], s[0:1], s14, v6, v[2:3]
	v_add_co_u32_e32 v2, vcc, 7, v0
	v_addc_co_u32_e32 v3, vcc, 0, v17, vcc
	v_mul_lo_u32 v15, s15, v8
	v_mad_u64_u32 v[42:43], s[0:1], s14, v8, v[9:10]
	v_mad_u64_u32 v[46:47], s[0:1], s14, v6, v[9:10]
	v_mul_lo_u32 v8, s14, v3
	v_mul_lo_u32 v9, s15, v2
	v_mad_u64_u32 v[2:3], s[0:1], s14, v2, 0
	v_mul_lo_u32 v7, s14, v7
	v_mul_lo_u32 v6, s15, v6
	v_add3_u32 v3, v3, v8, v9
	v_lshlrev_b64 v[2:3], 2, v[2:3]
	buffer_store_dword v1, off, s[36:39], 0 offset:104 ; 4-byte Folded Spill
	v_add3_u32 v45, v6, v45, v7
	v_add3_u32 v47, v6, v47, v7
	v_mov_b32_e32 v6, s17
	v_add_co_u32_e32 v1, vcc, s16, v2
	buffer_store_dword v1, off, s[36:39], 0 offset:24 ; 4-byte Folded Spill
	v_addc_co_u32_e32 v1, vcc, v6, v3, vcc
	v_add_co_u32_e32 v6, vcc, 6, v0
	v_addc_co_u32_e32 v7, vcc, 0, v17, vcc
	v_mul_lo_u32 v9, s14, v7
	v_mul_lo_u32 v10, s15, v6
	v_mad_u64_u32 v[6:7], s[0:1], s14, v6, 0
	buffer_store_dword v1, off, s[36:39], 0 offset:28 ; 4-byte Folded Spill
	v_mov_b32_e32 v8, s19
	v_add_co_u32_e32 v1, vcc, s18, v2
	v_add3_u32 v7, v7, v9, v10
	buffer_store_dword v1, off, s[36:39], 0 offset:32 ; 4-byte Folded Spill
	v_addc_co_u32_e32 v1, vcc, v8, v3, vcc
	v_lshlrev_b64 v[2:3], 2, v[6:7]
	buffer_store_dword v1, off, s[36:39], 0 offset:36 ; 4-byte Folded Spill
	v_mov_b32_e32 v6, s17
	v_add_co_u32_e32 v1, vcc, s16, v2
	buffer_store_dword v1, off, s[36:39], 0 offset:40 ; 4-byte Folded Spill
	v_addc_co_u32_e32 v1, vcc, v6, v3, vcc
	v_add_co_u32_e32 v6, vcc, 5, v0
	v_addc_co_u32_e32 v7, vcc, 0, v17, vcc
	v_mul_lo_u32 v9, s14, v7
	v_mul_lo_u32 v10, s15, v6
	v_mad_u64_u32 v[6:7], s[0:1], s14, v6, 0
	buffer_store_dword v1, off, s[36:39], 0 offset:44 ; 4-byte Folded Spill
	v_add_co_u32_e32 v1, vcc, s18, v2
	v_add3_u32 v7, v7, v9, v10
	buffer_store_dword v1, off, s[36:39], 0 offset:48 ; 4-byte Folded Spill
	v_addc_co_u32_e32 v1, vcc, v8, v3, vcc
	v_lshlrev_b64 v[2:3], 2, v[6:7]
	buffer_store_dword v1, off, s[36:39], 0 offset:52 ; 4-byte Folded Spill
	v_mov_b32_e32 v6, s17
	v_add_co_u32_e32 v1, vcc, s16, v2
	buffer_store_dword v1, off, s[36:39], 0 offset:56 ; 4-byte Folded Spill
	v_addc_co_u32_e32 v1, vcc, v6, v3, vcc
	v_add_co_u32_e32 v6, vcc, 4, v0
	v_addc_co_u32_e32 v7, vcc, 0, v17, vcc
	v_mul_lo_u32 v9, s14, v7
	v_mul_lo_u32 v10, s15, v6
	v_mad_u64_u32 v[6:7], s[0:1], s14, v6, 0
	buffer_store_dword v1, off, s[36:39], 0 offset:60 ; 4-byte Folded Spill
	v_add_co_u32_e32 v1, vcc, s18, v2
	v_add3_u32 v7, v7, v9, v10
	buffer_store_dword v1, off, s[36:39], 0 offset:64 ; 4-byte Folded Spill
	v_addc_co_u32_e32 v1, vcc, v8, v3, vcc
	v_lshlrev_b64 v[2:3], 2, v[6:7]
	buffer_store_dword v1, off, s[36:39], 0 offset:68 ; 4-byte Folded Spill
	v_mov_b32_e32 v6, s17
	v_add_co_u32_e32 v1, vcc, s16, v2
	buffer_store_dword v1, off, s[36:39], 0 offset:72 ; 4-byte Folded Spill
	v_addc_co_u32_e32 v1, vcc, v6, v3, vcc
	buffer_store_dword v1, off, s[36:39], 0 offset:76 ; 4-byte Folded Spill
	v_mov_b32_e32 v6, s19
	v_add_co_u32_e32 v1, vcc, s18, v2
	buffer_store_dword v1, off, s[36:39], 0 offset:80 ; 4-byte Folded Spill
	v_addc_co_u32_e32 v1, vcc, v6, v3, vcc
	v_add_co_u32_e32 v2, vcc, 3, v0
	v_addc_co_u32_e32 v3, vcc, 0, v17, vcc
	v_mul_lo_u32 v6, s14, v3
	v_mul_lo_u32 v7, s15, v2
	v_mad_u64_u32 v[2:3], s[0:1], s14, v2, 0
	buffer_store_dword v1, off, s[36:39], 0 offset:84 ; 4-byte Folded Spill
	v_mul_lo_u32 v13, s14, v13
	v_add3_u32 v3, v3, v6, v7
	v_lshlrev_b64 v[2:3], 2, v[2:3]
	v_mov_b32_e32 v6, s17
	v_add_co_u32_e32 v1, vcc, s16, v2
	buffer_store_dword v1, off, s[36:39], 0 offset:88 ; 4-byte Folded Spill
	v_addc_co_u32_e32 v1, vcc, v6, v3, vcc
	buffer_store_dword v1, off, s[36:39], 0 offset:92 ; 4-byte Folded Spill
	v_mov_b32_e32 v6, s19
	v_add_co_u32_e32 v1, vcc, s18, v2
	v_addc_co_u32_e32 v59, vcc, v6, v3, vcc
	v_add_co_u32_e32 v0, vcc, 2, v0
	buffer_store_dword v1, off, s[36:39], 0 offset:96 ; 4-byte Folded Spill
	v_addc_co_u32_e32 v1, vcc, 0, v17, vcc
	v_mul_lo_u32 v2, s14, v1
	v_mul_lo_u32 v3, s15, v0
	v_mad_u64_u32 v[0:1], s[0:1], s14, v0, 0
	v_mul_lo_u32 v11, s14, v11
	v_mul_lo_u32 v14, s14, v14
	v_add3_u32 v1, v1, v2, v3
	v_lshlrev_b64 v[0:1], 2, v[0:1]
	v_mov_b32_e32 v2, s17
	v_add_co_u32_e32 v60, vcc, s16, v0
	v_mov_b32_e32 v3, v61
	v_addc_co_u32_e32 v61, vcc, v2, v1, vcc
	v_mov_b32_e32 v2, s19
	v_add_co_u32_e32 v62, vcc, s18, v0
	v_addc_co_u32_e32 v63, vcc, v2, v1, vcc
	v_lshlrev_b64 v[0:1], 2, v[4:5]
	v_mov_b32_e32 v2, s17
	v_add_co_u32_e32 v50, vcc, s16, v0
	v_addc_co_u32_e32 v51, vcc, v2, v1, vcc
	v_mov_b32_e32 v2, s19
	v_add_co_u32_e32 v0, vcc, s18, v0
	v_addc_co_u32_e32 v1, vcc, v2, v1, vcc
	v_mov_b32_e32 v2, 0
	buffer_store_dword v3, off, s[36:39], 0 offset:100 ; 4-byte Folded Spill
	v_add_u32_e32 v3, s33, v3
	v_mov_b32_e32 v4, v2
	v_lshlrev_b64 v[48:49], 2, v[3:4]
	v_mbcnt_lo_u32_b32 v3, -1, 0
	v_mbcnt_hi_u32_b32 v3, -1, v3
	v_lshlrev_b32_e32 v3, 2, v3
	v_add3_u32 v33, v16, v33, v13
	v_add3_u32 v35, v16, v35, v13
	;; [unrolled: 1-line block ×6, first 2 shown]
	v_and_b32_e32 v52, 0x100, v3
	v_mov_b32_e32 v55, 0
	v_mov_b32_e32 v3, 0
	buffer_store_dword v2, off, s[36:39], 0 ; 4-byte Folded Spill
	s_nop 0
	buffer_store_dword v3, off, s[36:39], 0 offset:4 ; 4-byte Folded Spill
	s_branch .LBB69_56
.LBB69_53:                              ;   in Loop: Header=BB69_56 Depth=1
	s_or_b64 exec, exec, s[16:17]
.LBB69_54:                              ;   in Loop: Header=BB69_56 Depth=1
	s_or_b64 exec, exec, s[0:1]
	buffer_load_dword v3, off, s[36:39], 0 offset:8 ; 4-byte Folded Reload
	buffer_load_dword v4, off, s[36:39], 0 offset:12 ; 4-byte Folded Reload
	;; [unrolled: 1-line block ×4, first 2 shown]
	s_waitcnt vmcnt(3)
	v_add_co_u32_e32 v3, vcc, v3, v48
	s_waitcnt vmcnt(2)
	v_addc_co_u32_e32 v4, vcc, v4, v49, vcc
	s_waitcnt vmcnt(1)
	v_add_co_u32_e32 v7, vcc, v7, v48
	s_waitcnt vmcnt(0)
	v_addc_co_u32_e32 v8, vcc, v8, v49, vcc
	global_load_dword v19, v[7:8], off
	global_load_dword v53, v[3:4], off
	v_add_co_u32_e32 v3, vcc, v20, v48
	v_addc_co_u32_e32 v4, vcc, v21, v49, vcc
	global_load_dword v8, v[3:4], off
	v_add_co_u32_e32 v3, vcc, v22, v48
	v_addc_co_u32_e32 v4, vcc, v23, v49, vcc
	;; [unrolled: 3-line block ×5, first 2 shown]
	v_add_co_u32_e32 v10, vcc, v30, v48
	v_addc_co_u32_e32 v11, vcc, v31, v49, vcc
	global_load_dword v10, v[10:11], off
	v_add_co_u32_e32 v11, vcc, v32, v48
	v_addc_co_u32_e32 v12, vcc, v33, v49, vcc
	global_load_dword v4, v[3:4], off
	s_nop 0
	global_load_dword v3, v[11:12], off
	v_add_co_u32_e32 v11, vcc, v34, v48
	v_addc_co_u32_e32 v12, vcc, v35, v49, vcc
	v_add_co_u32_e32 v13, vcc, v38, v48
	v_addc_co_u32_e32 v14, vcc, v39, v49, vcc
	;; [unrolled: 2-line block ×3, first 2 shown]
	global_load_dword v12, v[11:12], off
	ds_bpermute_b32 v11, v52, v6
	global_load_dword v14, v[13:14], off
	ds_bpermute_b32 v13, v52, v5
	global_load_dword v7, v[17:18], off
	s_nop 0
	buffer_load_dword v17, off, s[36:39], 0 ; 4-byte Folded Reload
	buffer_load_dword v18, off, s[36:39], 0 offset:4 ; 4-byte Folded Reload
	s_waitcnt vmcnt(1)
	v_add_co_u32_e32 v17, vcc, v40, v48
	s_waitcnt lgkmcnt(1)
	v_sub_f32_e32 v11, v19, v11
	v_mul_f32_e32 v11, v53, v11
	s_waitcnt lgkmcnt(0)
	v_fmac_f32_e32 v55, v11, v13
	s_waitcnt vmcnt(0)
	v_add_f32_e32 v19, v18, v53
	v_addc_co_u32_e32 v18, vcc, v41, v49, vcc
	global_load_dword v11, v[17:18], off
	ds_bpermute_b32 v17, v52, v6 offset:4
	ds_bpermute_b32 v18, v52, v6 offset:8
	v_add_co_u32_e64 v53, s[0:1], v42, v48
	v_addc_co_u32_e64 v54, vcc, v43, v49, s[0:1]
	s_waitcnt lgkmcnt(1)
	v_sub_f32_e32 v16, v16, v17
	ds_bpermute_b32 v17, v52, v5 offset:4
	s_waitcnt lgkmcnt(1)
	v_sub_f32_e32 v15, v15, v18
	ds_bpermute_b32 v18, v52, v5 offset:8
	v_mul_f32_e32 v16, v8, v16
	v_mul_f32_e32 v15, v9, v15
	s_waitcnt lgkmcnt(1)
	v_fmac_f32_e32 v55, v16, v17
	v_add_co_u32_e64 v17, s[0:1], v46, v48
	s_waitcnt lgkmcnt(0)
	v_fmac_f32_e32 v55, v15, v18
	v_addc_co_u32_e64 v18, s[0:1], v47, v49, s[0:1]
	global_load_dword v15, v[17:18], off
	ds_bpermute_b32 v18, v52, v6 offset:12
	v_add_f32_e32 v8, v19, v8
	ds_bpermute_b32 v19, v52, v5 offset:12
	v_add_f32_e32 v8, v8, v9
	global_load_dword v13, v[53:54], off
	s_waitcnt lgkmcnt(1)
	v_sub_f32_e32 v9, v10, v18
	ds_bpermute_b32 v10, v52, v6 offset:16
	v_mul_f32_e32 v9, v4, v9
	s_waitcnt lgkmcnt(1)
	v_fmac_f32_e32 v55, v9, v19
	ds_bpermute_b32 v9, v52, v5 offset:16
	v_add_co_u32_e32 v16, vcc, v44, v48
	s_waitcnt lgkmcnt(1)
	v_sub_f32_e32 v10, v12, v10
	v_addc_co_u32_e32 v17, vcc, v45, v49, vcc
	v_mul_f32_e32 v10, v3, v10
	s_waitcnt lgkmcnt(0)
	v_fmac_f32_e32 v55, v10, v9
	global_load_dword v10, v[16:17], off
	ds_bpermute_b32 v18, v52, v6 offset:20
	v_add_f32_e32 v4, v8, v4
	ds_bpermute_b32 v8, v52, v6 offset:24
	ds_bpermute_b32 v12, v52, v5 offset:20
	v_add_f32_e32 v3, v4, v3
	ds_bpermute_b32 v4, v52, v5 offset:24
	ds_bpermute_b32 v6, v52, v6 offset:28
	s_waitcnt lgkmcnt(4)
	v_sub_f32_e32 v9, v14, v18
	ds_bpermute_b32 v5, v52, v5 offset:28
	v_mul_f32_e32 v9, v7, v9
	v_add_f32_e32 v3, v3, v7
	s_waitcnt lgkmcnt(3)
	v_fmac_f32_e32 v55, v9, v12
	s_waitcnt vmcnt(3)
	v_add_f32_e32 v3, v3, v11
	s_waitcnt vmcnt(1)
	v_sub_f32_e32 v7, v13, v8
	v_mul_f32_e32 v7, v11, v7
	s_waitcnt lgkmcnt(2)
	v_fmac_f32_e32 v55, v7, v4
	s_waitcnt lgkmcnt(1)
	v_sub_f32_e32 v4, v15, v6
	v_mov_b32_e32 v11, v55
	s_waitcnt vmcnt(0)
	v_mul_f32_e32 v4, v10, v4
	s_waitcnt lgkmcnt(0)
	v_mul_f32_e32 v4, v4, v5
.LBB69_55:                              ;   in Loop: Header=BB69_56 Depth=1
	v_add_f32_e32 v3, v3, v10
	buffer_store_dword v2, off, s[36:39], 0 ; 4-byte Folded Spill
	s_nop 0
	buffer_store_dword v3, off, s[36:39], 0 offset:4 ; 4-byte Folded Spill
	buffer_load_dword v3, off, s[36:39], 0 offset:8 ; 4-byte Folded Reload
	v_add_f32_e32 v55, v11, v4
	buffer_load_dword v4, off, s[36:39], 0 offset:12 ; 4-byte Folded Reload
	s_add_u32 s10, s10, s7
	s_addc_u32 s11, s11, 0
	s_add_u32 s24, s24, s7
	s_addc_u32 s25, s25, 0
	s_waitcnt vmcnt(1)
	v_add_co_u32_e32 v3, vcc, s8, v3
	buffer_store_dword v3, off, s[36:39], 0 offset:8 ; 4-byte Folded Spill
	v_mov_b32_e32 v3, s9
	s_waitcnt vmcnt(1)
	v_addc_co_u32_e32 v4, vcc, v4, v3, vcc
	buffer_store_dword v4, off, s[36:39], 0 offset:12 ; 4-byte Folded Spill
	buffer_load_dword v4, off, s[36:39], 0 offset:16 ; 4-byte Folded Reload
	s_waitcnt vmcnt(0)
	v_add_co_u32_e32 v4, vcc, s8, v4
	buffer_store_dword v4, off, s[36:39], 0 offset:16 ; 4-byte Folded Spill
	buffer_load_dword v4, off, s[36:39], 0 offset:20 ; 4-byte Folded Reload
	s_waitcnt vmcnt(0)
	v_addc_co_u32_e32 v4, vcc, v4, v3, vcc
	buffer_store_dword v4, off, s[36:39], 0 offset:20 ; 4-byte Folded Spill
	buffer_load_dword v4, off, s[36:39], 0 offset:24 ; 4-byte Folded Reload
	v_add_co_u32_e32 v20, vcc, s8, v20
	v_addc_co_u32_e32 v21, vcc, v21, v3, vcc
	v_add_co_u32_e32 v24, vcc, s8, v24
	v_addc_co_u32_e32 v25, vcc, v25, v3, vcc
	;; [unrolled: 2-line block ×14, first 2 shown]
	s_waitcnt vmcnt(0)
	v_add_co_u32_e32 v4, vcc, s8, v4
	buffer_store_dword v4, off, s[36:39], 0 offset:24 ; 4-byte Folded Spill
	buffer_load_dword v4, off, s[36:39], 0 offset:28 ; 4-byte Folded Reload
	s_waitcnt vmcnt(0)
	v_addc_co_u32_e32 v4, vcc, v4, v3, vcc
	buffer_store_dword v4, off, s[36:39], 0 offset:28 ; 4-byte Folded Spill
	buffer_load_dword v4, off, s[36:39], 0 offset:32 ; 4-byte Folded Reload
	s_waitcnt vmcnt(0)
	v_add_co_u32_e32 v4, vcc, s8, v4
	buffer_store_dword v4, off, s[36:39], 0 offset:32 ; 4-byte Folded Spill
	buffer_load_dword v4, off, s[36:39], 0 offset:36 ; 4-byte Folded Reload
	s_waitcnt vmcnt(0)
	v_addc_co_u32_e32 v4, vcc, v4, v3, vcc
	buffer_store_dword v4, off, s[36:39], 0 offset:36 ; 4-byte Folded Spill
	buffer_load_dword v4, off, s[36:39], 0 offset:40 ; 4-byte Folded Reload
	;; [unrolled: 8-line block ×9, first 2 shown]
	s_waitcnt vmcnt(0)
	v_add_co_u32_e32 v4, vcc, s8, v4
	v_addc_co_u32_e32 v59, vcc, v59, v3, vcc
	v_add_co_u32_e32 v60, vcc, s8, v60
	v_addc_co_u32_e32 v61, vcc, v61, v3, vcc
	;; [unrolled: 2-line block ×4, first 2 shown]
	v_add_co_u32_e32 v0, vcc, s8, v0
	buffer_store_dword v4, off, s[36:39], 0 offset:96 ; 4-byte Folded Spill
	v_addc_co_u32_e32 v1, vcc, v1, v3, vcc
	v_mov_b32_e32 v3, s12
	v_mov_b32_e32 v4, s13
	v_cmp_ge_i64_e32 vcc, s[10:11], v[3:4]
	s_cbranch_vccnz .LBB69_82
.LBB69_56:                              ; =>This Inner Loop Header: Depth=1
	v_mov_b32_e32 v3, s12
	v_mov_b32_e32 v4, s13
	v_cmp_ge_i64_e32 vcc, s[24:25], v[3:4]
	buffer_load_dword v4, off, s[36:39], 0 offset:108 ; 4-byte Folded Reload
	v_mov_b32_e32 v3, s25
	s_and_b64 vcc, exec, vcc
                                        ; implicit-def: $vgpr10
                                        ; implicit-def: $vgpr11
	s_waitcnt vmcnt(0)
	v_add_co_u32_e64 v53, s[0:1], s24, v4
	v_addc_co_u32_e64 v54, s[0:1], 0, v3, s[0:1]
	s_mov_b64 s[0:1], -1
                                        ; implicit-def: $vgpr4
                                        ; implicit-def: $vgpr3
	s_cbranch_vccz .LBB69_78
; %bb.57:                               ;   in Loop: Header=BB69_56 Depth=1
	s_load_dword s0, s[2:3], 0xc
	buffer_load_dword v3, off, s[36:39], 0 offset:100 ; 4-byte Folded Reload
	buffer_load_dword v4, off, s[36:39], 0 offset:104 ; 4-byte Folded Reload
	v_mov_b32_e32 v56, 0
	v_mov_b32_e32 v19, 0
	s_waitcnt lgkmcnt(0)
	s_and_b32 s0, s0, 0xffff
	s_waitcnt vmcnt(0)
	v_mad_u32_u24 v3, v4, s0, v3
	v_and_b32_e32 v3, 63, v3
	v_cmp_gt_u32_e32 vcc, 8, v3
	s_and_saveexec_b64 s[0:1], vcc
	s_cbranch_execz .LBB69_61
; %bb.58:                               ;   in Loop: Header=BB69_56 Depth=1
	v_add_co_u32_e32 v3, vcc, v53, v3
	v_addc_co_u32_e32 v4, vcc, 0, v54, vcc
	v_add_co_u32_e32 v3, vcc, 0xffffff01, v3
	v_addc_co_u32_e32 v4, vcc, -1, v4, vcc
	v_cmp_gt_i64_e32 vcc, s[12:13], v[3:4]
	v_mov_b32_e32 v19, 0
	v_mov_b32_e32 v56, 0
	s_and_saveexec_b64 s[16:17], vcc
	s_cbranch_execz .LBB69_60
; %bb.59:                               ;   in Loop: Header=BB69_56 Depth=1
	v_lshlrev_b64 v[3:4], 2, v[3:4]
	v_mov_b32_e32 v6, s23
	v_add_co_u32_e32 v5, vcc, s22, v3
	v_addc_co_u32_e32 v6, vcc, v6, v4, vcc
	v_mov_b32_e32 v7, s21
	v_add_co_u32_e32 v3, vcc, s20, v3
	v_addc_co_u32_e32 v4, vcc, v7, v4, vcc
	global_load_dword v19, v[3:4], off
	global_load_dword v56, v[5:6], off
.LBB69_60:                              ;   in Loop: Header=BB69_56 Depth=1
	s_or_b64 exec, exec, s[16:17]
.LBB69_61:                              ;   in Loop: Header=BB69_56 Depth=1
	s_or_b64 exec, exec, s[0:1]
	v_add_co_u32_e32 v3, vcc, 0xffffff01, v53
	v_addc_co_u32_e32 v4, vcc, -1, v54, vcc
	v_mov_b32_e32 v9, v2
	v_cmp_gt_i64_e32 vcc, s[12:13], v[3:4]
	v_mov_b32_e32 v3, v2
	v_mov_b32_e32 v4, v2
	v_mov_b32_e32 v5, v2
	v_mov_b32_e32 v6, v2
	v_mov_b32_e32 v7, v2
	v_mov_b32_e32 v8, v2
	v_mov_b32_e32 v18, v9
	v_mov_b32_e32 v17, v8
	v_mov_b32_e32 v16, v7
	v_mov_b32_e32 v15, v6
	v_mov_b32_e32 v14, v5
	v_mov_b32_e32 v13, v4
	v_mov_b32_e32 v12, v3
	v_mov_b32_e32 v11, v2
	v_mov_b32_e32 v10, v9
	v_mov_b32_e32 v9, v8
	v_mov_b32_e32 v8, v7
	v_mov_b32_e32 v7, v6
	v_mov_b32_e32 v6, v5
	v_mov_b32_e32 v5, v4
	v_mov_b32_e32 v4, v3
	v_mov_b32_e32 v3, v2
	s_and_saveexec_b64 s[0:1], vcc
	s_cbranch_execz .LBB69_63
; %bb.62:                               ;   in Loop: Header=BB69_56 Depth=1
	buffer_load_dword v3, off, s[36:39], 0 offset:8 ; 4-byte Folded Reload
	buffer_load_dword v4, off, s[36:39], 0 offset:12 ; 4-byte Folded Reload
	;; [unrolled: 1-line block ×3, first 2 shown]
	v_mov_b32_e32 v6, v2
	v_mov_b32_e32 v7, v2
	;; [unrolled: 1-line block ×12, first 2 shown]
	s_waitcnt vmcnt(2)
	v_add_co_u32_e32 v3, vcc, v3, v48
	s_waitcnt vmcnt(1)
	v_addc_co_u32_e32 v4, vcc, v4, v49, vcc
	global_load_dword v3, v[3:4], off
	s_nop 0
	buffer_load_dword v4, off, s[36:39], 0 offset:16 ; 4-byte Folded Reload
	s_waitcnt vmcnt(0)
	v_add_co_u32_e32 v4, vcc, v4, v48
	v_addc_co_u32_e32 v5, vcc, v5, v49, vcc
	global_load_dword v11, v[4:5], off
	v_mov_b32_e32 v4, v2
	v_mov_b32_e32 v5, v2
.LBB69_63:                              ;   in Loop: Header=BB69_56 Depth=1
	s_or_b64 exec, exec, s[0:1]
	v_add_co_u32_e32 v57, vcc, 0xffffff02, v53
	v_addc_co_u32_e32 v58, vcc, -1, v54, vcc
	v_cmp_gt_i64_e32 vcc, s[12:13], v[57:58]
	s_and_saveexec_b64 s[0:1], vcc
	s_cbranch_execz .LBB69_65
; %bb.64:                               ;   in Loop: Header=BB69_56 Depth=1
	v_add_co_u32_e32 v57, vcc, v50, v48
	v_addc_co_u32_e32 v58, vcc, v51, v49, vcc
	global_load_dword v4, v[57:58], off
	v_add_co_u32_e32 v57, vcc, v0, v48
	v_addc_co_u32_e32 v58, vcc, v1, v49, vcc
	global_load_dword v12, v[57:58], off
.LBB69_65:                              ;   in Loop: Header=BB69_56 Depth=1
	s_or_b64 exec, exec, s[0:1]
	v_add_co_u32_e32 v57, vcc, 0xffffff03, v53
	v_addc_co_u32_e32 v58, vcc, -1, v54, vcc
	v_cmp_gt_i64_e32 vcc, s[12:13], v[57:58]
	s_and_saveexec_b64 s[0:1], vcc
	s_cbranch_execz .LBB69_67
; %bb.66:                               ;   in Loop: Header=BB69_56 Depth=1
	v_add_co_u32_e32 v57, vcc, v60, v48
	v_addc_co_u32_e32 v58, vcc, v61, v49, vcc
	global_load_dword v5, v[57:58], off
	v_add_co_u32_e32 v57, vcc, v62, v48
	v_addc_co_u32_e32 v58, vcc, v63, v49, vcc
	global_load_dword v13, v[57:58], off
.LBB69_67:                              ;   in Loop: Header=BB69_56 Depth=1
	s_or_b64 exec, exec, s[0:1]
	v_add_co_u32_e32 v57, vcc, 0xffffff04, v53
	v_addc_co_u32_e32 v58, vcc, -1, v54, vcc
	v_cmp_gt_i64_e32 vcc, s[12:13], v[57:58]
	s_and_saveexec_b64 s[0:1], vcc
	s_cbranch_execz .LBB69_69
; %bb.68:                               ;   in Loop: Header=BB69_56 Depth=1
	buffer_load_dword v6, off, s[36:39], 0 offset:88 ; 4-byte Folded Reload
	buffer_load_dword v14, off, s[36:39], 0 offset:96 ; 4-byte Folded Reload
	s_waitcnt vmcnt(1)
	v_add_co_u32_e32 v57, vcc, v6, v48
	buffer_load_dword v6, off, s[36:39], 0 offset:92 ; 4-byte Folded Reload
	s_waitcnt vmcnt(0)
	v_addc_co_u32_e32 v58, vcc, v6, v49, vcc
	global_load_dword v6, v[57:58], off
	v_add_co_u32_e32 v57, vcc, v14, v48
	v_addc_co_u32_e32 v58, vcc, v59, v49, vcc
	global_load_dword v14, v[57:58], off
.LBB69_69:                              ;   in Loop: Header=BB69_56 Depth=1
	s_or_b64 exec, exec, s[0:1]
	v_add_co_u32_e32 v57, vcc, 0xffffff05, v53
	v_addc_co_u32_e32 v58, vcc, -1, v54, vcc
	v_cmp_gt_i64_e32 vcc, s[12:13], v[57:58]
	s_and_saveexec_b64 s[0:1], vcc
	s_cbranch_execz .LBB69_71
; %bb.70:                               ;   in Loop: Header=BB69_56 Depth=1
	buffer_load_dword v7, off, s[36:39], 0 offset:72 ; 4-byte Folded Reload
	buffer_load_dword v15, off, s[36:39], 0 offset:80 ; 4-byte Folded Reload
	s_waitcnt vmcnt(1)
	v_add_co_u32_e32 v57, vcc, v7, v48
	buffer_load_dword v7, off, s[36:39], 0 offset:76 ; 4-byte Folded Reload
	s_waitcnt vmcnt(0)
	v_addc_co_u32_e32 v58, vcc, v7, v49, vcc
	global_load_dword v7, v[57:58], off
	v_add_co_u32_e32 v57, vcc, v15, v48
	buffer_load_dword v15, off, s[36:39], 0 offset:84 ; 4-byte Folded Reload
	s_waitcnt vmcnt(0)
	v_addc_co_u32_e32 v58, vcc, v15, v49, vcc
	global_load_dword v15, v[57:58], off
.LBB69_71:                              ;   in Loop: Header=BB69_56 Depth=1
	s_or_b64 exec, exec, s[0:1]
	v_add_co_u32_e32 v57, vcc, 0xffffff06, v53
	v_addc_co_u32_e32 v58, vcc, -1, v54, vcc
	v_cmp_gt_i64_e32 vcc, s[12:13], v[57:58]
	s_and_saveexec_b64 s[0:1], vcc
	s_cbranch_execz .LBB69_73
; %bb.72:                               ;   in Loop: Header=BB69_56 Depth=1
	buffer_load_dword v8, off, s[36:39], 0 offset:56 ; 4-byte Folded Reload
	buffer_load_dword v16, off, s[36:39], 0 offset:64 ; 4-byte Folded Reload
	s_waitcnt vmcnt(1)
	v_add_co_u32_e32 v57, vcc, v8, v48
	buffer_load_dword v8, off, s[36:39], 0 offset:60 ; 4-byte Folded Reload
	s_waitcnt vmcnt(0)
	v_addc_co_u32_e32 v58, vcc, v8, v49, vcc
	global_load_dword v8, v[57:58], off
	v_add_co_u32_e32 v57, vcc, v16, v48
	buffer_load_dword v16, off, s[36:39], 0 offset:68 ; 4-byte Folded Reload
	s_waitcnt vmcnt(0)
	v_addc_co_u32_e32 v58, vcc, v16, v49, vcc
	global_load_dword v16, v[57:58], off
.LBB69_73:                              ;   in Loop: Header=BB69_56 Depth=1
	;; [unrolled: 21-line block ×4, first 2 shown]
	s_or_b64 exec, exec, s[0:1]
	s_waitcnt vmcnt(1)
	ds_bpermute_b32 v58, v52, v19
	s_waitcnt vmcnt(0)
	ds_bpermute_b32 v57, v52, v56
	s_mov_b64 s[0:1], 0
	s_waitcnt lgkmcnt(1)
	v_sub_f32_e32 v11, v11, v58
	v_mul_f32_e32 v11, v3, v11
	s_waitcnt lgkmcnt(0)
	v_fma_f32 v11, v11, v57, v55
	buffer_load_dword v57, off, s[36:39], 0 ; 4-byte Folded Reload
	buffer_load_dword v58, off, s[36:39], 0 offset:4 ; 4-byte Folded Reload
	s_waitcnt vmcnt(1)
	ds_bpermute_b32 v57, v52, v56 offset:4
	s_waitcnt vmcnt(0)
	v_add_f32_e32 v3, v58, v3
	ds_bpermute_b32 v58, v52, v19 offset:4
	v_add_f32_e32 v3, v4, v3
	v_add_f32_e32 v3, v5, v3
	;; [unrolled: 1-line block ×4, first 2 shown]
	s_waitcnt lgkmcnt(0)
	v_sub_f32_e32 v12, v12, v58
	v_mul_f32_e32 v12, v4, v12
	v_fmac_f32_e32 v11, v12, v57
	ds_bpermute_b32 v12, v52, v19 offset:8
	ds_bpermute_b32 v4, v52, v56 offset:8
	v_add_f32_e32 v3, v8, v3
	v_add_f32_e32 v3, v9, v3
	s_waitcnt lgkmcnt(1)
	v_sub_f32_e32 v12, v13, v12
	v_mul_f32_e32 v12, v5, v12
	ds_bpermute_b32 v5, v52, v19 offset:12
	s_waitcnt lgkmcnt(1)
	v_fmac_f32_e32 v11, v12, v4
	ds_bpermute_b32 v4, v52, v56 offset:12
	s_waitcnt lgkmcnt(1)
	v_sub_f32_e32 v5, v14, v5
	v_mul_f32_e32 v5, v6, v5
	s_waitcnt lgkmcnt(0)
	v_fmac_f32_e32 v11, v5, v4
	ds_bpermute_b32 v5, v52, v19 offset:16
	ds_bpermute_b32 v4, v52, v56 offset:16
	s_waitcnt lgkmcnt(1)
	v_sub_f32_e32 v5, v15, v5
	v_mul_f32_e32 v5, v7, v5
	s_waitcnt lgkmcnt(0)
	v_fmac_f32_e32 v11, v5, v4
	ds_bpermute_b32 v5, v52, v19 offset:20
	;; [unrolled: 7-line block ×4, first 2 shown]
	ds_bpermute_b32 v4, v52, v56 offset:28
	s_waitcnt lgkmcnt(1)
	v_sub_f32_e32 v5, v18, v5
	v_mul_f32_e32 v5, v10, v5
	s_waitcnt lgkmcnt(0)
	v_mul_f32_e32 v4, v5, v4
.LBB69_78:                              ;   in Loop: Header=BB69_56 Depth=1
	s_and_b64 vcc, exec, s[0:1]
	s_cbranch_vccz .LBB69_55
; %bb.79:                               ;   in Loop: Header=BB69_56 Depth=1
	s_load_dword s0, s[2:3], 0x0
	v_mov_b32_e32 v5, 0
	s_waitcnt lgkmcnt(0)
	s_cmp_lt_u32 s6, s0
	s_cselect_b32 s0, 12, 18
	s_add_u32 s0, s2, s0
	s_addc_u32 s1, s3, 0
	global_load_ushort v3, v2, s[0:1]
	buffer_load_dword v4, off, s[36:39], 0 offset:100 ; 4-byte Folded Reload
	buffer_load_dword v6, off, s[36:39], 0 offset:104 ; 4-byte Folded Reload
	s_waitcnt vmcnt(0)
	v_mad_u32_u24 v3, v6, v3, v4
	v_and_b32_e32 v3, 63, v3
	v_cmp_gt_u32_e32 vcc, 8, v3
	v_mov_b32_e32 v6, 0
	s_and_saveexec_b64 s[0:1], vcc
	s_cbranch_execz .LBB69_54
; %bb.80:                               ;   in Loop: Header=BB69_56 Depth=1
	v_add_co_u32_e32 v3, vcc, v53, v3
	v_addc_co_u32_e32 v4, vcc, 0, v54, vcc
	v_add_co_u32_e32 v3, vcc, 0xffffff01, v3
	v_addc_co_u32_e32 v4, vcc, -1, v4, vcc
	v_cmp_gt_i64_e32 vcc, s[12:13], v[3:4]
	v_mov_b32_e32 v6, 0
	v_mov_b32_e32 v5, 0
	s_and_saveexec_b64 s[16:17], vcc
	s_cbranch_execz .LBB69_53
; %bb.81:                               ;   in Loop: Header=BB69_56 Depth=1
	v_lshlrev_b64 v[3:4], 2, v[3:4]
	v_mov_b32_e32 v5, s23
	v_add_co_u32_e32 v7, vcc, s22, v3
	v_addc_co_u32_e32 v8, vcc, v5, v4, vcc
	v_mov_b32_e32 v5, s21
	v_add_co_u32_e32 v3, vcc, s20, v3
	v_addc_co_u32_e32 v4, vcc, v5, v4, vcc
	global_load_dword v6, v[3:4], off
	global_load_dword v5, v[7:8], off
	s_branch .LBB69_53
.LBB69_82:
	buffer_load_dword v61, off, s[36:39], 0 offset:100 ; 4-byte Folded Reload
	buffer_load_dword v1, off, s[36:39], 0 offset:104 ; 4-byte Folded Reload
.LBB69_83:
	s_waitcnt vmcnt(0)
	v_mad_u32_u24 v0, v1, 33, v61
	v_lshl_add_u32 v2, v0, 2, 0
	ds_write_b32 v2, v55
	buffer_load_dword v3, off, s[36:39], 0  ; 4-byte Folded Reload
	buffer_load_dword v4, off, s[36:39], 0 offset:4 ; 4-byte Folded Reload
	s_waitcnt vmcnt(1)
	v_sub_u32_e32 v3, v0, v1
	s_movk_i32 s0, 0x800
	v_cmp_gt_u32_e32 vcc, s0, v3
	s_waitcnt vmcnt(0)
	ds_write_b32 v2, v4 offset:4224
	s_waitcnt lgkmcnt(0)
	s_barrier
	s_and_saveexec_b64 s[0:1], vcc
	s_cbranch_execz .LBB69_99
; %bb.84:
	s_load_dwordx4 s[8:11], s[4:5], 0x30
	v_and_b32_e32 v0, 63, v3
	v_lshrrev_b32_e32 v2, 6, v3
	v_cmp_gt_u32_e64 s[0:1], 32, v0
	v_mul_u32_u24_e32 v4, 33, v0
                                        ; implicit-def: $vgpr0
                                        ; implicit-def: $vgpr1
	s_and_saveexec_b64 s[2:3], s[0:1]
	s_cbranch_execz .LBB69_86
; %bb.85:
	v_add_u32_e32 v0, v2, v4
	v_lshl_add_u32 v0, v0, 2, 0
	ds_read_b32 v1, v0
	ds_read_b32 v0, v0 offset:4224
.LBB69_86:
	s_or_b64 exec, exec, s[2:3]
	v_mbcnt_lo_u32_b32 v5, -1, 0
	v_mbcnt_hi_u32_b32 v9, -1, v5
	v_and_b32_e32 v5, 64, v9
	v_add_u32_e32 v10, 64, v5
	v_xor_b32_e32 v5, 16, v9
	v_cmp_lt_i32_e32 vcc, v5, v10
	v_cndmask_b32_e32 v5, v9, v5, vcc
	v_lshlrev_b32_e32 v5, 2, v5
	s_waitcnt lgkmcnt(0)
	ds_bpermute_b32 v6, v5, v1
	v_xor_b32_e32 v7, 8, v9
	v_cmp_lt_i32_e32 vcc, v7, v10
	ds_bpermute_b32 v8, v5, v0
	s_mov_b32 s7, 0
	s_waitcnt lgkmcnt(1)
	v_add_f32_e32 v1, v1, v6
	v_cndmask_b32_e32 v6, v9, v7, vcc
	v_lshlrev_b32_e32 v6, 2, v6
	ds_bpermute_b32 v7, v6, v1
	s_waitcnt lgkmcnt(1)
	v_add_f32_e32 v0, v0, v8
	ds_bpermute_b32 v8, v6, v0
	s_lshl_b64 s[4:5], s[6:7], 5
	s_cmp_lg_u64 s[8:9], 0
	s_waitcnt lgkmcnt(1)
	v_add_f32_e32 v1, v1, v7
	v_xor_b32_e32 v7, 4, v9
	v_cmp_lt_i32_e32 vcc, v7, v10
	v_cndmask_b32_e32 v7, v9, v7, vcc
	v_lshlrev_b32_e32 v7, 2, v7
	ds_bpermute_b32 v11, v7, v1
	s_waitcnt lgkmcnt(1)
	v_add_f32_e32 v0, v0, v8
	v_xor_b32_e32 v8, 2, v9
	v_cmp_lt_i32_e32 vcc, v8, v10
	v_cndmask_b32_e32 v8, v9, v8, vcc
	s_waitcnt lgkmcnt(0)
	v_add_f32_e32 v1, v1, v11
	v_lshlrev_b32_e32 v8, 2, v8
	ds_bpermute_b32 v11, v7, v0
	ds_bpermute_b32 v12, v8, v1
	v_cmp_eq_u32_e64 s[2:3], 0, v61
	s_cselect_b64 s[12:13], -1, 0
	s_cmp_lg_u64 s[10:11], 0
	s_waitcnt lgkmcnt(1)
	v_add_f32_e32 v0, v0, v11
	s_waitcnt lgkmcnt(0)
	v_add_f32_e32 v1, v1, v12
	v_xor_b32_e32 v12, 1, v9
	ds_bpermute_b32 v11, v8, v0
	v_cmp_lt_i32_e32 vcc, v12, v10
	v_cndmask_b32_e32 v9, v9, v12, vcc
	v_lshlrev_b32_e32 v9, 2, v9
	ds_bpermute_b32 v10, v9, v1
	s_waitcnt lgkmcnt(1)
	v_add_f32_e32 v11, v0, v11
	ds_bpermute_b32 v12, v9, v11
	v_or_b32_e32 v0, s4, v2
	s_cselect_b64 s[6:7], -1, 0
	s_waitcnt lgkmcnt(1)
	v_add_f32_e32 v10, v1, v10
	v_mov_b32_e32 v1, s5
	v_cmp_gt_i64_e32 vcc, s[14:15], v[0:1]
	s_waitcnt lgkmcnt(0)
	v_add_f32_e32 v11, v11, v12
	s_and_b64 s[18:19], s[2:3], vcc
	s_and_saveexec_b64 s[16:17], s[18:19]
	s_cbranch_execz .LBB69_91
; %bb.87:
	v_lshlrev_b64 v[0:1], 2, v[0:1]
	s_andn2_b64 vcc, exec, s[12:13]
	s_cbranch_vccnz .LBB69_89
; %bb.88:
	v_mov_b32_e32 v13, s9
	v_add_co_u32_e32 v12, vcc, s8, v0
	v_addc_co_u32_e32 v13, vcc, v13, v1, vcc
	global_store_dword v[12:13], v10, off
.LBB69_89:
	s_andn2_b64 vcc, exec, s[6:7]
	s_cbranch_vccnz .LBB69_91
; %bb.90:
	v_mov_b32_e32 v12, s11
	v_add_co_u32_e32 v0, vcc, s10, v0
	v_addc_co_u32_e32 v1, vcc, v12, v1, vcc
	global_store_dword v[0:1], v11, off
.LBB69_91:
	s_or_b64 exec, exec, s[16:17]
	s_movk_i32 s16, 0x400
	v_cmp_gt_u32_e32 vcc, s16, v3
	s_and_b64 exec, exec, vcc
	s_cbranch_execz .LBB69_99
; %bb.92:
	s_and_saveexec_b64 s[16:17], s[0:1]
	s_cbranch_execz .LBB69_94
; %bb.93:
	v_add_u32_e32 v0, v2, v4
	v_lshl_add_u32 v0, v0, 2, 0
	ds_read_b32 v10, v0 offset:64
	ds_read_b32 v11, v0 offset:4288
.LBB69_94:
	s_or_b64 exec, exec, s[16:17]
	s_waitcnt lgkmcnt(1)
	ds_bpermute_b32 v0, v5, v10
	s_waitcnt lgkmcnt(1)
	ds_bpermute_b32 v1, v5, v11
	v_add_u32_e32 v5, 16, v2
	v_or_b32_e32 v5, s4, v5
	s_waitcnt lgkmcnt(1)
	v_add_f32_e32 v0, v10, v0
	s_waitcnt lgkmcnt(0)
	v_add_f32_e32 v1, v11, v1
	ds_bpermute_b32 v3, v6, v0
	ds_bpermute_b32 v4, v6, v1
	v_mov_b32_e32 v6, s5
	v_cmp_gt_i64_e32 vcc, s[14:15], v[5:6]
	s_waitcnt lgkmcnt(1)
	v_add_f32_e32 v0, v0, v3
	s_waitcnt lgkmcnt(0)
	v_add_f32_e32 v1, v1, v4
	ds_bpermute_b32 v3, v7, v0
	ds_bpermute_b32 v4, v7, v1
	s_and_b64 s[0:1], s[2:3], vcc
	s_waitcnt lgkmcnt(1)
	v_add_f32_e32 v0, v0, v3
	s_waitcnt lgkmcnt(0)
	v_add_f32_e32 v1, v1, v4
	ds_bpermute_b32 v3, v8, v0
	ds_bpermute_b32 v4, v8, v1
	s_waitcnt lgkmcnt(1)
	v_add_f32_e32 v3, v0, v3
	s_waitcnt lgkmcnt(0)
	v_add_f32_e32 v0, v1, v4
	ds_bpermute_b32 v4, v9, v3
	ds_bpermute_b32 v1, v9, v0
	s_and_b64 exec, exec, s[0:1]
	s_cbranch_execz .LBB69_99
; %bb.95:
	s_andn2_b64 vcc, exec, s[12:13]
	s_cbranch_vccnz .LBB69_97
; %bb.96:
	s_waitcnt lgkmcnt(1)
	v_add_f32_e32 v5, v3, v4
	v_mov_b32_e32 v4, s5
	v_add_co_u32_e32 v3, vcc, s4, v2
	v_addc_co_u32_e32 v4, vcc, 0, v4, vcc
	v_lshlrev_b64 v[3:4], 2, v[3:4]
	v_mov_b32_e32 v6, s9
	v_add_co_u32_e32 v3, vcc, s8, v3
	v_addc_co_u32_e32 v4, vcc, v6, v4, vcc
	global_store_dword v[3:4], v5, off offset:64
.LBB69_97:
	s_andn2_b64 vcc, exec, s[6:7]
	s_cbranch_vccnz .LBB69_99
; %bb.98:
	s_waitcnt lgkmcnt(0)
	v_add_f32_e32 v3, v0, v1
	v_mov_b32_e32 v1, s5
	v_add_co_u32_e32 v0, vcc, s4, v2
	v_addc_co_u32_e32 v1, vcc, 0, v1, vcc
	v_lshlrev_b64 v[0:1], 2, v[0:1]
	v_mov_b32_e32 v2, s11
	v_add_co_u32_e32 v0, vcc, s10, v0
	v_addc_co_u32_e32 v1, vcc, v2, v1, vcc
	global_store_dword v[0:1], v3, off offset:64
.LBB69_99:
	s_endpgm
	.section	.rodata,"a",@progbits
	.p2align	6, 0x0
	.amdhsa_kernel _ZN2at6native12_GLOBAL__N_135GammaBetaBackwardCUDAKernelTemplateIffLj32ELj32ELj256ELb0ELb0ELb0EEEvllPKT_S5_PKT0_S8_PS3_S9_
		.amdhsa_group_segment_fixed_size 0
		.amdhsa_private_segment_fixed_size 116
		.amdhsa_kernarg_size 320
		.amdhsa_user_sgpr_count 6
		.amdhsa_user_sgpr_private_segment_buffer 1
		.amdhsa_user_sgpr_dispatch_ptr 0
		.amdhsa_user_sgpr_queue_ptr 0
		.amdhsa_user_sgpr_kernarg_segment_ptr 1
		.amdhsa_user_sgpr_dispatch_id 0
		.amdhsa_user_sgpr_flat_scratch_init 0
		.amdhsa_user_sgpr_private_segment_size 0
		.amdhsa_uses_dynamic_stack 0
		.amdhsa_system_sgpr_private_segment_wavefront_offset 1
		.amdhsa_system_sgpr_workgroup_id_x 1
		.amdhsa_system_sgpr_workgroup_id_y 1
		.amdhsa_system_sgpr_workgroup_id_z 0
		.amdhsa_system_sgpr_workgroup_info 0
		.amdhsa_system_vgpr_workitem_id 1
		.amdhsa_next_free_vgpr 64
		.amdhsa_next_free_sgpr 40
		.amdhsa_reserve_vcc 1
		.amdhsa_reserve_flat_scratch 0
		.amdhsa_float_round_mode_32 0
		.amdhsa_float_round_mode_16_64 0
		.amdhsa_float_denorm_mode_32 3
		.amdhsa_float_denorm_mode_16_64 3
		.amdhsa_dx10_clamp 1
		.amdhsa_ieee_mode 1
		.amdhsa_fp16_overflow 0
		.amdhsa_exception_fp_ieee_invalid_op 0
		.amdhsa_exception_fp_denorm_src 0
		.amdhsa_exception_fp_ieee_div_zero 0
		.amdhsa_exception_fp_ieee_overflow 0
		.amdhsa_exception_fp_ieee_underflow 0
		.amdhsa_exception_fp_ieee_inexact 0
		.amdhsa_exception_int_div_zero 0
	.end_amdhsa_kernel
	.section	.text._ZN2at6native12_GLOBAL__N_135GammaBetaBackwardCUDAKernelTemplateIffLj32ELj32ELj256ELb0ELb0ELb0EEEvllPKT_S5_PKT0_S8_PS3_S9_,"axG",@progbits,_ZN2at6native12_GLOBAL__N_135GammaBetaBackwardCUDAKernelTemplateIffLj32ELj32ELj256ELb0ELb0ELb0EEEvllPKT_S5_PKT0_S8_PS3_S9_,comdat
.Lfunc_end69:
	.size	_ZN2at6native12_GLOBAL__N_135GammaBetaBackwardCUDAKernelTemplateIffLj32ELj32ELj256ELb0ELb0ELb0EEEvllPKT_S5_PKT0_S8_PS3_S9_, .Lfunc_end69-_ZN2at6native12_GLOBAL__N_135GammaBetaBackwardCUDAKernelTemplateIffLj32ELj32ELj256ELb0ELb0ELb0EEEvllPKT_S5_PKT0_S8_PS3_S9_
                                        ; -- End function
	.set _ZN2at6native12_GLOBAL__N_135GammaBetaBackwardCUDAKernelTemplateIffLj32ELj32ELj256ELb0ELb0ELb0EEEvllPKT_S5_PKT0_S8_PS3_S9_.num_vgpr, 64
	.set _ZN2at6native12_GLOBAL__N_135GammaBetaBackwardCUDAKernelTemplateIffLj32ELj32ELj256ELb0ELb0ELb0EEEvllPKT_S5_PKT0_S8_PS3_S9_.num_agpr, 0
	.set _ZN2at6native12_GLOBAL__N_135GammaBetaBackwardCUDAKernelTemplateIffLj32ELj32ELj256ELb0ELb0ELb0EEEvllPKT_S5_PKT0_S8_PS3_S9_.numbered_sgpr, 40
	.set _ZN2at6native12_GLOBAL__N_135GammaBetaBackwardCUDAKernelTemplateIffLj32ELj32ELj256ELb0ELb0ELb0EEEvllPKT_S5_PKT0_S8_PS3_S9_.num_named_barrier, 0
	.set _ZN2at6native12_GLOBAL__N_135GammaBetaBackwardCUDAKernelTemplateIffLj32ELj32ELj256ELb0ELb0ELb0EEEvllPKT_S5_PKT0_S8_PS3_S9_.private_seg_size, 116
	.set _ZN2at6native12_GLOBAL__N_135GammaBetaBackwardCUDAKernelTemplateIffLj32ELj32ELj256ELb0ELb0ELb0EEEvllPKT_S5_PKT0_S8_PS3_S9_.uses_vcc, 1
	.set _ZN2at6native12_GLOBAL__N_135GammaBetaBackwardCUDAKernelTemplateIffLj32ELj32ELj256ELb0ELb0ELb0EEEvllPKT_S5_PKT0_S8_PS3_S9_.uses_flat_scratch, 0
	.set _ZN2at6native12_GLOBAL__N_135GammaBetaBackwardCUDAKernelTemplateIffLj32ELj32ELj256ELb0ELb0ELb0EEEvllPKT_S5_PKT0_S8_PS3_S9_.has_dyn_sized_stack, 0
	.set _ZN2at6native12_GLOBAL__N_135GammaBetaBackwardCUDAKernelTemplateIffLj32ELj32ELj256ELb0ELb0ELb0EEEvllPKT_S5_PKT0_S8_PS3_S9_.has_recursion, 0
	.set _ZN2at6native12_GLOBAL__N_135GammaBetaBackwardCUDAKernelTemplateIffLj32ELj32ELj256ELb0ELb0ELb0EEEvllPKT_S5_PKT0_S8_PS3_S9_.has_indirect_call, 0
	.section	.AMDGPU.csdata,"",@progbits
; Kernel info:
; codeLenInByte = 8716
; TotalNumSgprs: 44
; NumVgprs: 64
; ScratchSize: 116
; MemoryBound: 0
; FloatMode: 240
; IeeeMode: 1
; LDSByteSize: 0 bytes/workgroup (compile time only)
; SGPRBlocks: 5
; VGPRBlocks: 15
; NumSGPRsForWavesPerEU: 44
; NumVGPRsForWavesPerEU: 64
; Occupancy: 4
; WaveLimiterHint : 0
; COMPUTE_PGM_RSRC2:SCRATCH_EN: 1
; COMPUTE_PGM_RSRC2:USER_SGPR: 6
; COMPUTE_PGM_RSRC2:TRAP_HANDLER: 0
; COMPUTE_PGM_RSRC2:TGID_X_EN: 1
; COMPUTE_PGM_RSRC2:TGID_Y_EN: 1
; COMPUTE_PGM_RSRC2:TGID_Z_EN: 0
; COMPUTE_PGM_RSRC2:TIDIG_COMP_CNT: 1
	.section	.text._ZN2at6native12_GLOBAL__N_118cuComputeGradInputIN3c104HalfEfLb0EEEvPKT_S7_llPKT0_SA_S7_PS5_,"axG",@progbits,_ZN2at6native12_GLOBAL__N_118cuComputeGradInputIN3c104HalfEfLb0EEEvPKT_S7_llPKT0_SA_S7_PS5_,comdat
	.globl	_ZN2at6native12_GLOBAL__N_118cuComputeGradInputIN3c104HalfEfLb0EEEvPKT_S7_llPKT0_SA_S7_PS5_ ; -- Begin function _ZN2at6native12_GLOBAL__N_118cuComputeGradInputIN3c104HalfEfLb0EEEvPKT_S7_llPKT0_SA_S7_PS5_
	.p2align	8
	.type	_ZN2at6native12_GLOBAL__N_118cuComputeGradInputIN3c104HalfEfLb0EEEvPKT_S7_llPKT0_SA_S7_PS5_,@function
_ZN2at6native12_GLOBAL__N_118cuComputeGradInputIN3c104HalfEfLb0EEEvPKT_S7_llPKT0_SA_S7_PS5_: ; @_ZN2at6native12_GLOBAL__N_118cuComputeGradInputIN3c104HalfEfLb0EEEvPKT_S7_llPKT0_SA_S7_PS5_
; %bb.0:
	s_load_dwordx4 s[24:27], s[4:5], 0x10
	s_mov_b32 s14, s7
	s_ashr_i32 s15, s7, 31
	v_mov_b32_e32 v2, s14
	v_mov_b32_e32 v3, s15
	s_waitcnt lgkmcnt(0)
	v_cmp_le_i64_e32 vcc, s[24:25], v[2:3]
	s_cbranch_vccnz .LBB70_49
; %bb.1:
	s_load_dword s0, s[4:5], 0x4c
	s_load_dwordx8 s[16:23], s[4:5], 0x20
	s_load_dword s41, s[4:5], 0x44
	s_load_dwordx4 s[28:31], s[4:5], 0x0
	v_cmp_gt_i64_e64 s[4:5], s[26:27], 0
	v_mbcnt_lo_u32_b32 v7, -1, 0
	s_waitcnt lgkmcnt(0)
	s_lshr_b32 s33, s0, 16
	s_and_b32 s40, s0, 0xffff
	s_cmp_lg_u64 s[20:21], 0
	s_cselect_b64 s[8:9], -1, 0
	s_cmp_gt_u32 s40, 1
	s_cselect_b64 s[34:35], -1, 0
	s_cmp_gt_u32 s33, 1
	s_cselect_b64 s[36:37], -1, 0
	s_xor_b32 s1, s26, s27
	s_flbit_i32 s0, s27
	s_ashr_i32 s1, s1, 31
	s_add_i32 s0, s0, -1
	s_add_i32 s1, s1, 32
	s_min_u32 s2, s0, s1
	s_lshl_b64 s[0:1], s[26:27], s2
	s_min_u32 s0, s0, 1
	s_or_b32 s0, s1, s0
	v_cvt_f32_i32_e32 v2, s0
	s_sub_i32 s0, 32, s2
	v_cndmask_b32_e64 v6, 0, 1, s[4:5]
	v_cmp_ne_u32_e64 s[4:5], 1, v6
	v_ldexp_f32 v14, v2, s0
	v_div_scale_f32 v3, s[0:1], v14, v14, 1.0
	v_div_scale_f32 v4, vcc, 1.0, v14, 1.0
	v_mbcnt_hi_u32_b32 v15, -1, v7
	v_mov_b32_e32 v2, 0
	s_mul_i32 s42, s33, s40
	v_mov_b32_e32 v5, v2
	s_ashr_i32 s43, s42, 31
	v_lshlrev_b32_e32 v8, 3, v0
	v_cmp_eq_u32_e64 s[0:1], 0, v1
	v_cmp_ne_u32_e64 s[2:3], 0, v1
	v_add_u32_e32 v18, 0, v8
	v_rcp_f32_e32 v9, v3
	v_fma_f32 v6, -v3, v9, 1.0
	v_fmac_f32_e32 v9, v6, v9
	v_mul_f32_e32 v6, v4, v9
	v_fma_f32 v7, -v3, v6, v4
	v_fmac_f32_e32 v6, v7, v9
	v_fma_f32 v3, -v3, v6, v4
	v_div_fmas_f32 v3, v3, v9, v6
	v_mad_u32_u24 v4, v1, s40, v0
	v_lshlrev_b32_e32 v6, 3, v4
	v_add_u32_e32 v7, s42, v4
	v_cndmask_b32_e64 v9, 0, 1, s[8:9]
	v_cmp_gt_i64_e64 s[6:7], s[26:27], v[4:5]
	v_ashrrev_i32_e32 v10, 31, v7
	v_cmp_ne_u32_e64 s[8:9], 1, v9
	v_add_u32_e32 v16, 0, v6
	v_mov_b32_e32 v9, s43
	v_subrev_co_u32_e32 v6, vcc, s42, v7
	v_subb_co_u32_e32 v7, vcc, v10, v9, vcc
	v_div_fixup_f32 v17, v3, v14, 1.0
	s_branch .LBB70_4
.LBB70_2:                               ;   in Loop: Header=BB70_4 Depth=1
	s_or_b64 exec, exec, s[10:11]
.LBB70_3:                               ;   in Loop: Header=BB70_4 Depth=1
	s_add_i32 s14, s41, s14
	s_ashr_i32 s15, s14, 31
	v_mov_b32_e32 v8, s14
	v_mov_b32_e32 v9, s15
	v_cmp_le_i64_e32 vcc, s[24:25], v[8:9]
	s_waitcnt vmcnt(0)
	s_barrier
	s_cbranch_vccnz .LBB70_49
.LBB70_4:                               ; =>This Loop Header: Depth=1
                                        ;     Child Loop BB70_8 Depth 2
                                        ;     Child Loop BB70_20 Depth 2
	;; [unrolled: 1-line block ×6, first 2 shown]
	s_mul_i32 s10, s14, s27
	s_mul_hi_u32 s11, s14, s26
	s_add_i32 s10, s11, s10
	s_mul_i32 s11, s15, s26
	s_add_i32 s11, s10, s11
	s_lshl_b64 s[12:13], s[14:15], 2
	s_add_u32 s38, s16, s12
	s_addc_u32 s39, s17, s13
	s_add_u32 s12, s18, s12
	s_mul_i32 s10, s14, s26
	s_addc_u32 s13, s19, s13
	s_load_dword s15, s[38:39], 0x0
	s_load_dword s48, s[12:13], 0x0
	s_lshl_b64 s[38:39], s[10:11], 1
	s_add_u32 s44, s30, s38
	s_addc_u32 s45, s31, s39
	s_add_u32 s46, s28, s38
	s_addc_u32 s47, s29, s39
	s_and_b64 vcc, exec, s[8:9]
	s_cbranch_vccnz .LBB70_14
; %bb.5:                                ;   in Loop: Header=BB70_4 Depth=1
	s_and_b64 vcc, exec, s[4:5]
	s_cbranch_vccnz .LBB70_15
; %bb.6:                                ;   in Loop: Header=BB70_4 Depth=1
	v_mov_b32_e32 v8, 0
	s_mov_b32 s49, 0
	v_mov_b32_e32 v9, 0
	s_branch .LBB70_8
.LBB70_7:                               ;   in Loop: Header=BB70_8 Depth=2
	s_or_b64 exec, exec, s[10:11]
	s_add_i32 s49, s49, s42
	s_waitcnt lgkmcnt(0)
	v_subrev_f32_e32 v10, s15, v13
	v_mul_f32_e32 v11, v3, v12
	s_ashr_i32 s10, s49, 31
	v_mul_f32_e32 v13, v10, v11
	v_mov_b32_e32 v10, s49
	v_mov_b32_e32 v11, s10
	v_cmp_le_i64_e32 vcc, s[26:27], v[10:11]
	v_fmac_f32_e32 v8, v3, v12
	v_fmac_f32_e32 v9, s48, v13
	s_cbranch_vccnz .LBB70_16
.LBB70_8:                               ;   Parent Loop BB70_4 Depth=1
                                        ; =>  This Inner Loop Header: Depth=2
	v_add_u32_e32 v10, s49, v4
	v_ashrrev_i32_e32 v11, 31, v10
	v_cmp_gt_i64_e32 vcc, s[26:27], v[10:11]
	v_lshlrev_b64 v[10:11], 1, v[10:11]
	v_mov_b32_e32 v3, 0
	s_and_saveexec_b64 s[12:13], vcc
	s_cbranch_execz .LBB70_10
; %bb.9:                                ;   in Loop: Header=BB70_8 Depth=2
	v_mov_b32_e32 v3, s21
	v_add_co_u32_e64 v12, s[10:11], s20, v10
	v_addc_co_u32_e64 v13, s[10:11], v3, v11, s[10:11]
	global_load_ushort v3, v[12:13], off
	s_waitcnt vmcnt(0)
	v_cvt_f32_f16_e32 v3, v3
.LBB70_10:                              ;   in Loop: Header=BB70_8 Depth=2
	s_or_b64 exec, exec, s[12:13]
	v_mov_b32_e32 v12, 0
	v_mov_b32_e32 v13, 0
	s_and_saveexec_b64 s[12:13], vcc
	s_cbranch_execz .LBB70_12
; %bb.11:                               ;   in Loop: Header=BB70_8 Depth=2
	v_mov_b32_e32 v13, s45
	v_add_co_u32_e64 v19, s[10:11], s44, v10
	v_addc_co_u32_e64 v20, s[10:11], v13, v11, s[10:11]
	global_load_ushort v13, v[19:20], off
	s_waitcnt vmcnt(0)
	v_cvt_f32_f16_e32 v13, v13
.LBB70_12:                              ;   in Loop: Header=BB70_8 Depth=2
	s_or_b64 exec, exec, s[12:13]
	s_and_saveexec_b64 s[10:11], vcc
	s_cbranch_execz .LBB70_7
; %bb.13:                               ;   in Loop: Header=BB70_8 Depth=2
	v_mov_b32_e32 v12, s47
	v_add_co_u32_e32 v10, vcc, s46, v10
	v_addc_co_u32_e32 v11, vcc, v12, v11, vcc
	global_load_ushort v10, v[10:11], off
	s_waitcnt vmcnt(0)
	v_cvt_f32_f16_e32 v12, v10
	s_branch .LBB70_7
.LBB70_14:                              ;   in Loop: Header=BB70_4 Depth=1
                                        ; implicit-def: $vgpr8_vgpr9
	s_branch .LBB70_17
.LBB70_15:                              ;   in Loop: Header=BB70_4 Depth=1
	v_mov_b32_e32 v3, v2
	v_mov_b32_e32 v9, v3
	;; [unrolled: 1-line block ×3, first 2 shown]
.LBB70_16:                              ;   in Loop: Header=BB70_4 Depth=1
	s_cbranch_execnz .LBB70_25
.LBB70_17:                              ;   in Loop: Header=BB70_4 Depth=1
	s_and_b64 vcc, exec, s[4:5]
	s_cbranch_vccnz .LBB70_24
; %bb.18:                               ;   in Loop: Header=BB70_4 Depth=1
	v_mov_b32_e32 v8, 0
	s_mov_b32 s49, 0
	v_mov_b32_e32 v9, 0
	s_branch .LBB70_20
.LBB70_19:                              ;   in Loop: Header=BB70_20 Depth=2
	s_or_b64 exec, exec, s[10:11]
	s_add_i32 s49, s49, s42
	s_ashr_i32 s10, s49, 31
	v_mov_b32_e32 v10, s49
	v_mov_b32_e32 v11, s10
	s_waitcnt lgkmcnt(0)
	v_subrev_f32_e32 v3, s15, v3
	v_cmp_le_i64_e32 vcc, s[26:27], v[10:11]
	v_mul_f32_e32 v3, v3, v12
	v_fmac_f32_e32 v9, s48, v3
	v_add_f32_e32 v8, v8, v12
	s_cbranch_vccnz .LBB70_25
.LBB70_20:                              ;   Parent Loop BB70_4 Depth=1
                                        ; =>  This Inner Loop Header: Depth=2
	v_add_u32_e32 v10, s49, v4
	v_ashrrev_i32_e32 v11, 31, v10
	v_cmp_gt_i64_e32 vcc, s[26:27], v[10:11]
	v_lshlrev_b64 v[10:11], 1, v[10:11]
	v_mov_b32_e32 v3, 0
	s_and_saveexec_b64 s[12:13], vcc
	s_cbranch_execz .LBB70_22
; %bb.21:                               ;   in Loop: Header=BB70_20 Depth=2
	v_mov_b32_e32 v3, s45
	v_add_co_u32_e64 v12, s[10:11], s44, v10
	v_addc_co_u32_e64 v13, s[10:11], v3, v11, s[10:11]
	global_load_ushort v3, v[12:13], off
	s_waitcnt vmcnt(0)
	v_cvt_f32_f16_e32 v3, v3
.LBB70_22:                              ;   in Loop: Header=BB70_20 Depth=2
	s_or_b64 exec, exec, s[12:13]
	v_mov_b32_e32 v12, 0
	s_and_saveexec_b64 s[10:11], vcc
	s_cbranch_execz .LBB70_19
; %bb.23:                               ;   in Loop: Header=BB70_20 Depth=2
	v_mov_b32_e32 v12, s47
	v_add_co_u32_e32 v10, vcc, s46, v10
	v_addc_co_u32_e32 v11, vcc, v12, v11, vcc
	global_load_ushort v10, v[10:11], off
	s_waitcnt vmcnt(0)
	v_cvt_f32_f16_e32 v12, v10
	s_branch .LBB70_19
.LBB70_24:                              ;   in Loop: Header=BB70_4 Depth=1
	v_mov_b32_e32 v3, v2
	v_mov_b32_e32 v9, v3
	v_mov_b32_e32 v8, v2
.LBB70_25:                              ;   in Loop: Header=BB70_4 Depth=1
	s_andn2_b64 vcc, exec, s[34:35]
	s_cbranch_vccnz .LBB70_28
; %bb.26:                               ;   in Loop: Header=BB70_4 Depth=1
	v_and_b32_e32 v3, 64, v15
	v_add_u32_e32 v3, 64, v3
	s_mov_b32 s10, s40
.LBB70_27:                              ;   Parent Loop BB70_4 Depth=1
                                        ; =>  This Inner Loop Header: Depth=2
	s_lshr_b32 s11, s10, 1
	v_xor_b32_e32 v10, s11, v15
	v_cmp_lt_i32_e32 vcc, v10, v3
	v_cndmask_b32_e32 v10, v15, v10, vcc
	v_lshlrev_b32_e32 v10, 2, v10
	ds_bpermute_b32 v11, v10, v9
	ds_bpermute_b32 v10, v10, v8
	s_cmp_lt_u32 s10, 4
	s_mov_b32 s10, s11
	s_waitcnt lgkmcnt(0)
	v_add_f32_e32 v9, v9, v11
	v_add_f32_e32 v8, v8, v10
	s_cbranch_scc0 .LBB70_27
.LBB70_28:                              ;   in Loop: Header=BB70_4 Depth=1
	s_andn2_b64 vcc, exec, s[36:37]
	s_mov_b32 s49, s33
	s_cbranch_vccnz .LBB70_40
.LBB70_29:                              ;   Parent Loop BB70_4 Depth=1
                                        ; =>  This Inner Loop Header: Depth=2
	s_lshr_b32 s50, s49, 1
	s_and_b32 s12, s49, 0xfffe
	v_cmp_le_u32_e64 s[10:11], s50, v1
	v_cmp_gt_u32_e64 s[12:13], s12, v1
	v_cmp_gt_u32_e32 vcc, s50, v1
	s_and_b64 s[12:13], s[10:11], s[12:13]
	s_and_saveexec_b64 s[10:11], s[12:13]
; %bb.30:                               ;   in Loop: Header=BB70_29 Depth=2
	v_subrev_u32_e32 v3, s50, v1
	v_mad_u32_u24 v3, v3, s40, v0
	v_lshl_add_u32 v3, v3, 3, 0
	ds_write_b64 v3, v[8:9]
; %bb.31:                               ;   in Loop: Header=BB70_29 Depth=2
	s_or_b64 exec, exec, s[10:11]
	s_waitcnt lgkmcnt(0)
	s_barrier
	s_and_saveexec_b64 s[10:11], vcc
	s_cbranch_execz .LBB70_33
; %bb.32:                               ;   in Loop: Header=BB70_29 Depth=2
	ds_read_b64 v[10:11], v16
	s_waitcnt lgkmcnt(0)
	v_add_f32_e32 v9, v9, v11
	v_add_f32_e32 v8, v8, v10
.LBB70_33:                              ;   in Loop: Header=BB70_29 Depth=2
	s_or_b64 exec, exec, s[10:11]
	s_cmp_lt_u32 s49, 4
	s_barrier
	s_cbranch_scc1 .LBB70_35
; %bb.34:                               ;   in Loop: Header=BB70_29 Depth=2
	s_mov_b32 s49, s50
	s_branch .LBB70_29
.LBB70_35:                              ;   in Loop: Header=BB70_4 Depth=1
	s_and_saveexec_b64 s[10:11], s[0:1]
; %bb.36:                               ;   in Loop: Header=BB70_4 Depth=1
	ds_write_b64 v18, v[8:9]
; %bb.37:                               ;   in Loop: Header=BB70_4 Depth=1
	s_or_b64 exec, exec, s[10:11]
	s_waitcnt lgkmcnt(0)
	s_barrier
	s_and_saveexec_b64 s[10:11], s[2:3]
; %bb.38:                               ;   in Loop: Header=BB70_4 Depth=1
	ds_read_b64 v[8:9], v18
; %bb.39:                               ;   in Loop: Header=BB70_4 Depth=1
	s_or_b64 exec, exec, s[10:11]
.LBB70_40:                              ;   in Loop: Header=BB70_4 Depth=1
	s_add_u32 s38, s22, s38
	s_addc_u32 s39, s23, s39
	s_and_b64 vcc, exec, s[8:9]
	s_waitcnt lgkmcnt(0)
	v_mul_f32_e32 v3, s48, v17
	s_cbranch_vccnz .LBB70_45
; %bb.41:                               ;   in Loop: Header=BB70_4 Depth=1
	s_and_saveexec_b64 s[10:11], s[6:7]
	s_cbranch_execz .LBB70_44
; %bb.42:                               ;   in Loop: Header=BB70_4 Depth=1
	v_mov_b32_e32 v11, v7
	v_mov_b32_e32 v13, v5
	s_mov_b64 s[12:13], 0
	v_mov_b32_e32 v10, v6
	v_mov_b32_e32 v12, v4
.LBB70_43:                              ;   Parent Loop BB70_4 Depth=1
                                        ; =>  This Inner Loop Header: Depth=2
	v_lshlrev_b64 v[12:13], 1, v[12:13]
	v_mov_b32_e32 v20, s45
	v_add_co_u32_e32 v19, vcc, s44, v12
	v_addc_co_u32_e32 v20, vcc, v20, v13, vcc
	global_load_ushort v19, v[19:20], off
	v_mov_b32_e32 v20, s47
	s_waitcnt vmcnt(0)
	v_cvt_f32_f16_e32 v21, v19
	v_add_co_u32_e32 v19, vcc, s46, v12
	v_addc_co_u32_e32 v20, vcc, v20, v13, vcc
	global_load_ushort v19, v[19:20], off
	v_mov_b32_e32 v20, s21
	s_waitcnt vmcnt(0)
	v_cvt_f32_f16_e32 v19, v19
	v_mul_f32_e32 v22, v14, v19
	v_add_co_u32_e32 v19, vcc, s20, v12
	v_addc_co_u32_e32 v20, vcc, v20, v13, vcc
	global_load_ushort v19, v[19:20], off
	v_subrev_f32_e32 v20, s15, v21
	v_mul_f32_e32 v20, s48, v20
	v_add_co_u32_e32 v12, vcc, s38, v12
	s_waitcnt vmcnt(0)
	v_fma_mix_f32 v19, v22, v19, -v8 op_sel_hi:[0,1,0]
	v_fma_f32 v19, -v9, v20, v19
	v_mov_b32_e32 v20, s39
	v_fma_mixlo_f16 v19, v3, v19, 0
	v_addc_co_u32_e32 v13, vcc, v20, v13, vcc
	global_store_short v[12:13], v19, off
	v_add_co_u32_e32 v10, vcc, s42, v10
	v_mov_b32_e32 v12, s43
	v_addc_co_u32_e32 v11, vcc, v11, v12, vcc
	v_cmp_le_i64_e32 vcc, s[26:27], v[10:11]
	v_ashrrev_i32_e32 v13, 31, v10
	v_mov_b32_e32 v12, v10
	s_or_b64 s[12:13], vcc, s[12:13]
	s_andn2_b64 exec, exec, s[12:13]
	s_cbranch_execnz .LBB70_43
.LBB70_44:                              ;   in Loop: Header=BB70_4 Depth=1
	s_or_b64 exec, exec, s[10:11]
	s_cbranch_execnz .LBB70_3
	s_branch .LBB70_46
.LBB70_45:                              ;   in Loop: Header=BB70_4 Depth=1
.LBB70_46:                              ;   in Loop: Header=BB70_4 Depth=1
	s_and_saveexec_b64 s[10:11], s[6:7]
	s_cbranch_execz .LBB70_2
; %bb.47:                               ;   in Loop: Header=BB70_4 Depth=1
	v_mov_b32_e32 v11, v7
	v_mov_b32_e32 v13, v5
	;; [unrolled: 1-line block ×3, first 2 shown]
	s_mov_b64 s[12:13], 0
	v_mov_b32_e32 v10, v6
	v_mov_b32_e32 v12, v4
.LBB70_48:                              ;   Parent Loop BB70_4 Depth=1
                                        ; =>  This Inner Loop Header: Depth=2
	v_lshlrev_b64 v[12:13], 1, v[12:13]
	v_mov_b32_e32 v21, s45
	v_add_co_u32_e32 v20, vcc, s44, v12
	v_addc_co_u32_e32 v21, vcc, v21, v13, vcc
	global_load_ushort v20, v[20:21], off
	v_mov_b32_e32 v21, s47
	s_waitcnt vmcnt(0)
	v_cvt_f32_f16_e32 v22, v20
	v_add_co_u32_e32 v20, vcc, s46, v12
	v_addc_co_u32_e32 v21, vcc, v21, v13, vcc
	global_load_ushort v20, v[20:21], off
	v_subrev_f32_e32 v21, s15, v22
	v_mul_f32_e32 v21, v19, v21
	v_add_co_u32_e32 v12, vcc, s38, v12
	s_waitcnt vmcnt(0)
	v_fma_mix_f32 v20, v14, v20, -v8 op_sel_hi:[0,1,0]
	v_fma_f32 v20, -v21, v9, v20
	v_mov_b32_e32 v21, s39
	v_fma_mixlo_f16 v20, v3, v20, 0
	v_addc_co_u32_e32 v13, vcc, v21, v13, vcc
	global_store_short v[12:13], v20, off
	v_add_co_u32_e32 v10, vcc, s42, v10
	v_mov_b32_e32 v12, s43
	v_addc_co_u32_e32 v11, vcc, v11, v12, vcc
	v_cmp_le_i64_e32 vcc, s[26:27], v[10:11]
	v_ashrrev_i32_e32 v13, 31, v10
	v_mov_b32_e32 v12, v10
	s_or_b64 s[12:13], vcc, s[12:13]
	s_andn2_b64 exec, exec, s[12:13]
	s_cbranch_execnz .LBB70_48
	s_branch .LBB70_2
.LBB70_49:
	s_endpgm
	.section	.rodata,"a",@progbits
	.p2align	6, 0x0
	.amdhsa_kernel _ZN2at6native12_GLOBAL__N_118cuComputeGradInputIN3c104HalfEfLb0EEEvPKT_S7_llPKT0_SA_S7_PS5_
		.amdhsa_group_segment_fixed_size 0
		.amdhsa_private_segment_fixed_size 0
		.amdhsa_kernarg_size 320
		.amdhsa_user_sgpr_count 6
		.amdhsa_user_sgpr_private_segment_buffer 1
		.amdhsa_user_sgpr_dispatch_ptr 0
		.amdhsa_user_sgpr_queue_ptr 0
		.amdhsa_user_sgpr_kernarg_segment_ptr 1
		.amdhsa_user_sgpr_dispatch_id 0
		.amdhsa_user_sgpr_flat_scratch_init 0
		.amdhsa_user_sgpr_private_segment_size 0
		.amdhsa_uses_dynamic_stack 0
		.amdhsa_system_sgpr_private_segment_wavefront_offset 0
		.amdhsa_system_sgpr_workgroup_id_x 1
		.amdhsa_system_sgpr_workgroup_id_y 1
		.amdhsa_system_sgpr_workgroup_id_z 0
		.amdhsa_system_sgpr_workgroup_info 0
		.amdhsa_system_vgpr_workitem_id 1
		.amdhsa_next_free_vgpr 23
		.amdhsa_next_free_sgpr 51
		.amdhsa_reserve_vcc 1
		.amdhsa_reserve_flat_scratch 0
		.amdhsa_float_round_mode_32 0
		.amdhsa_float_round_mode_16_64 0
		.amdhsa_float_denorm_mode_32 3
		.amdhsa_float_denorm_mode_16_64 3
		.amdhsa_dx10_clamp 1
		.amdhsa_ieee_mode 1
		.amdhsa_fp16_overflow 0
		.amdhsa_exception_fp_ieee_invalid_op 0
		.amdhsa_exception_fp_denorm_src 0
		.amdhsa_exception_fp_ieee_div_zero 0
		.amdhsa_exception_fp_ieee_overflow 0
		.amdhsa_exception_fp_ieee_underflow 0
		.amdhsa_exception_fp_ieee_inexact 0
		.amdhsa_exception_int_div_zero 0
	.end_amdhsa_kernel
	.section	.text._ZN2at6native12_GLOBAL__N_118cuComputeGradInputIN3c104HalfEfLb0EEEvPKT_S7_llPKT0_SA_S7_PS5_,"axG",@progbits,_ZN2at6native12_GLOBAL__N_118cuComputeGradInputIN3c104HalfEfLb0EEEvPKT_S7_llPKT0_SA_S7_PS5_,comdat
.Lfunc_end70:
	.size	_ZN2at6native12_GLOBAL__N_118cuComputeGradInputIN3c104HalfEfLb0EEEvPKT_S7_llPKT0_SA_S7_PS5_, .Lfunc_end70-_ZN2at6native12_GLOBAL__N_118cuComputeGradInputIN3c104HalfEfLb0EEEvPKT_S7_llPKT0_SA_S7_PS5_
                                        ; -- End function
	.set _ZN2at6native12_GLOBAL__N_118cuComputeGradInputIN3c104HalfEfLb0EEEvPKT_S7_llPKT0_SA_S7_PS5_.num_vgpr, 23
	.set _ZN2at6native12_GLOBAL__N_118cuComputeGradInputIN3c104HalfEfLb0EEEvPKT_S7_llPKT0_SA_S7_PS5_.num_agpr, 0
	.set _ZN2at6native12_GLOBAL__N_118cuComputeGradInputIN3c104HalfEfLb0EEEvPKT_S7_llPKT0_SA_S7_PS5_.numbered_sgpr, 51
	.set _ZN2at6native12_GLOBAL__N_118cuComputeGradInputIN3c104HalfEfLb0EEEvPKT_S7_llPKT0_SA_S7_PS5_.num_named_barrier, 0
	.set _ZN2at6native12_GLOBAL__N_118cuComputeGradInputIN3c104HalfEfLb0EEEvPKT_S7_llPKT0_SA_S7_PS5_.private_seg_size, 0
	.set _ZN2at6native12_GLOBAL__N_118cuComputeGradInputIN3c104HalfEfLb0EEEvPKT_S7_llPKT0_SA_S7_PS5_.uses_vcc, 1
	.set _ZN2at6native12_GLOBAL__N_118cuComputeGradInputIN3c104HalfEfLb0EEEvPKT_S7_llPKT0_SA_S7_PS5_.uses_flat_scratch, 0
	.set _ZN2at6native12_GLOBAL__N_118cuComputeGradInputIN3c104HalfEfLb0EEEvPKT_S7_llPKT0_SA_S7_PS5_.has_dyn_sized_stack, 0
	.set _ZN2at6native12_GLOBAL__N_118cuComputeGradInputIN3c104HalfEfLb0EEEvPKT_S7_llPKT0_SA_S7_PS5_.has_recursion, 0
	.set _ZN2at6native12_GLOBAL__N_118cuComputeGradInputIN3c104HalfEfLb0EEEvPKT_S7_llPKT0_SA_S7_PS5_.has_indirect_call, 0
	.section	.AMDGPU.csdata,"",@progbits
; Kernel info:
; codeLenInByte = 1660
; TotalNumSgprs: 55
; NumVgprs: 23
; ScratchSize: 0
; MemoryBound: 0
; FloatMode: 240
; IeeeMode: 1
; LDSByteSize: 0 bytes/workgroup (compile time only)
; SGPRBlocks: 6
; VGPRBlocks: 5
; NumSGPRsForWavesPerEU: 55
; NumVGPRsForWavesPerEU: 23
; Occupancy: 10
; WaveLimiterHint : 0
; COMPUTE_PGM_RSRC2:SCRATCH_EN: 0
; COMPUTE_PGM_RSRC2:USER_SGPR: 6
; COMPUTE_PGM_RSRC2:TRAP_HANDLER: 0
; COMPUTE_PGM_RSRC2:TGID_X_EN: 1
; COMPUTE_PGM_RSRC2:TGID_Y_EN: 1
; COMPUTE_PGM_RSRC2:TGID_Z_EN: 0
; COMPUTE_PGM_RSRC2:TIDIG_COMP_CNT: 1
	.section	.text._ZN2at6native12_GLOBAL__N_128layer_norm_grad_input_kernelIN3c104HalfEfLb0EEEvPKT_S7_PKT0_SA_S7_PS5_i,"axG",@progbits,_ZN2at6native12_GLOBAL__N_128layer_norm_grad_input_kernelIN3c104HalfEfLb0EEEvPKT_S7_PKT0_SA_S7_PS5_i,comdat
	.globl	_ZN2at6native12_GLOBAL__N_128layer_norm_grad_input_kernelIN3c104HalfEfLb0EEEvPKT_S7_PKT0_SA_S7_PS5_i ; -- Begin function _ZN2at6native12_GLOBAL__N_128layer_norm_grad_input_kernelIN3c104HalfEfLb0EEEvPKT_S7_PKT0_SA_S7_PS5_i
	.p2align	8
	.type	_ZN2at6native12_GLOBAL__N_128layer_norm_grad_input_kernelIN3c104HalfEfLb0EEEvPKT_S7_PKT0_SA_S7_PS5_i,@function
_ZN2at6native12_GLOBAL__N_128layer_norm_grad_input_kernelIN3c104HalfEfLb0EEEvPKT_S7_PKT0_SA_S7_PS5_i: ; @_ZN2at6native12_GLOBAL__N_128layer_norm_grad_input_kernelIN3c104HalfEfLb0EEEvPKT_S7_PKT0_SA_S7_PS5_i
; %bb.0:
	s_load_dword s18, s[4:5], 0x30
	s_load_dwordx2 s[16:17], s[4:5], 0x20
	s_load_dwordx8 s[8:15], s[4:5], 0x0
	s_mov_b32 s7, 0
	s_lshl_b64 s[2:3], s[6:7], 2
	s_waitcnt lgkmcnt(0)
	s_ashr_i32 s0, s18, 31
	s_mul_hi_u32 s1, s18, s6
	s_mul_i32 s0, s0, s6
	s_add_i32 s1, s1, s0
	s_mul_i32 s0, s18, s6
	s_add_u32 s6, s12, s2
	s_addc_u32 s7, s13, s3
	s_add_u32 s2, s14, s2
	s_addc_u32 s3, s15, s3
	s_load_dword s19, s[6:7], 0x0
	s_load_dword s20, s[2:3], 0x0
	s_lshl_b64 s[6:7], s[0:1], 1
	s_add_u32 s21, s10, s6
	v_lshlrev_b32_e32 v1, 2, v0
	s_addc_u32 s23, s11, s7
	s_add_u32 s22, s8, s6
	v_or_b32_e32 v2, 3, v1
	s_addc_u32 s24, s9, s7
	v_cmp_gt_u32_e32 vcc, s18, v2
	v_mov_b32_e32 v10, 0
	v_mov_b32_e32 v9, 0
	s_and_saveexec_b64 s[2:3], vcc
	s_cbranch_execz .LBB71_12
; %bb.1:
	s_load_dword s0, s[4:5], 0x44
	s_cmp_lg_u64 s[16:17], 0
	s_cselect_b64 s[14:15], -1, 0
	v_cndmask_b32_e64 v3, 0, 1, s[14:15]
	s_mov_b64 s[12:13], 0
	s_waitcnt lgkmcnt(0)
	s_and_b32 s0, s0, 0xffff
	v_mov_b32_e32 v2, 0
	s_lshl_b32 s25, s0, 2
	v_mov_b32_e32 v11, s23
	v_mov_b32_e32 v12, s24
	v_cmp_ne_u32_e64 s[0:1], 1, v3
	v_mov_b32_e32 v10, 0
	v_mov_b32_e32 v9, 0
	s_branch .LBB71_3
.LBB71_2:                               ;   in Loop: Header=BB71_3 Depth=1
	global_load_ushort v7, v[5:6], off offset:6
	global_load_ushort v8, v[3:4], off offset:6
	s_waitcnt vmcnt(7)
	v_cvt_f32_f16_e32 v3, v16
	s_waitcnt vmcnt(6)
	v_cvt_f32_f16_e32 v4, v17
	v_fma_mix_f32 v5, v14, v17, v10 op_sel_hi:[0,1,0]
	s_waitcnt vmcnt(5)
	v_cvt_f32_f16_e32 v6, v20
	s_waitcnt vmcnt(4)
	v_cvt_f32_f16_e32 v10, v18
	v_mul_f32_e32 v4, v14, v4
	v_subrev_f32_e32 v3, s19, v3
	v_subrev_f32_e32 v6, s19, v6
	v_mul_f32_e32 v10, v13, v10
	v_mul_f32_e32 v3, v3, v4
	s_waitcnt vmcnt(3)
	v_cvt_f32_f16_e32 v16, v22
	s_waitcnt vmcnt(2)
	v_cvt_f32_f16_e32 v17, v21
	v_mul_f32_e32 v4, v6, v10
	v_fmac_f32_e32 v9, s20, v3
	v_fmac_f32_e32 v9, s20, v4
	v_add_u32_e32 v1, s25, v1
	v_fma_mix_f32 v5, v13, v18, v5 op_sel_hi:[0,1,0]
	v_mul_f32_e32 v13, v19, v17
	v_subrev_f32_e32 v14, s19, v16
	v_add_u32_e32 v18, 3, v1
	v_mul_f32_e32 v6, v14, v13
	v_fma_mix_f32 v5, v19, v21, v5 op_sel_hi:[0,1,0]
	v_cmp_le_u32_e32 vcc, s18, v18
	v_fmac_f32_e32 v9, s20, v6
	s_or_b64 s[12:13], vcc, s[12:13]
	s_waitcnt vmcnt(1)
	v_cvt_f32_f16_e32 v3, v7
	s_waitcnt vmcnt(0)
	v_cvt_f32_f16_e32 v4, v8
	v_fma_mix_f32 v10, v15, v7, v5 op_sel_hi:[0,1,0]
	v_mul_f32_e32 v3, v15, v3
	v_subrev_f32_e32 v4, s19, v4
	v_mul_f32_e32 v3, v4, v3
	v_fmac_f32_e32 v9, s20, v3
	s_andn2_b64 exec, exec, s[12:13]
	s_cbranch_execz .LBB71_11
.LBB71_3:                               ; =>This Inner Loop Header: Depth=1
	v_lshlrev_b64 v[7:8], 1, v[1:2]
	v_mov_b32_e32 v13, 1.0
	s_and_b64 vcc, exec, s[14:15]
	v_mov_b32_e32 v14, 1.0
	s_cbranch_vccz .LBB71_5
; %bb.4:                                ;   in Loop: Header=BB71_3 Depth=1
	v_mov_b32_e32 v4, s17
	v_add_co_u32_e32 v3, vcc, s16, v7
	v_addc_co_u32_e32 v4, vcc, v4, v8, vcc
	global_load_ushort v3, v[3:4], off
	s_waitcnt vmcnt(0)
	v_cvt_f32_f16_e32 v14, v3
.LBB71_5:                               ;   in Loop: Header=BB71_3 Depth=1
	v_add_co_u32_e32 v3, vcc, s21, v7
	v_addc_co_u32_e32 v4, vcc, v11, v8, vcc
	v_add_co_u32_e32 v5, vcc, s22, v7
	v_addc_co_u32_e32 v6, vcc, v12, v8, vcc
	global_load_ushort v16, v[3:4], off
	global_load_ushort v17, v[5:6], off
	s_and_b64 vcc, exec, s[0:1]
	s_cbranch_vccnz .LBB71_7
; %bb.6:                                ;   in Loop: Header=BB71_3 Depth=1
	v_mov_b32_e32 v13, s17
	v_add_co_u32_e32 v18, vcc, s16, v7
	v_addc_co_u32_e32 v19, vcc, v13, v8, vcc
	global_load_ushort v13, v[18:19], off offset:2
	s_waitcnt vmcnt(0)
	v_cvt_f32_f16_e32 v13, v13
.LBB71_7:                               ;   in Loop: Header=BB71_3 Depth=1
	global_load_ushort v20, v[3:4], off offset:2
	global_load_ushort v18, v[5:6], off offset:2
	v_mov_b32_e32 v15, 1.0
	s_and_b64 vcc, exec, s[0:1]
	v_mov_b32_e32 v19, 1.0
	s_cbranch_vccnz .LBB71_9
; %bb.8:                                ;   in Loop: Header=BB71_3 Depth=1
	v_mov_b32_e32 v19, s17
	v_add_co_u32_e32 v21, vcc, s16, v7
	v_addc_co_u32_e32 v22, vcc, v19, v8, vcc
	global_load_ushort v19, v[21:22], off offset:4
	s_waitcnt vmcnt(0)
	v_cvt_f32_f16_e32 v19, v19
.LBB71_9:                               ;   in Loop: Header=BB71_3 Depth=1
	global_load_ushort v22, v[3:4], off offset:4
	global_load_ushort v21, v[5:6], off offset:4
	s_and_b64 vcc, exec, s[0:1]
	s_cbranch_vccnz .LBB71_2
; %bb.10:                               ;   in Loop: Header=BB71_3 Depth=1
	v_mov_b32_e32 v15, s17
	v_add_co_u32_e32 v7, vcc, s16, v7
	v_addc_co_u32_e32 v8, vcc, v15, v8, vcc
	global_load_ushort v7, v[7:8], off offset:6
	s_waitcnt vmcnt(0)
	v_cvt_f32_f16_e32 v15, v7
	s_branch .LBB71_2
.LBB71_11:
	s_or_b64 exec, exec, s[12:13]
.LBB71_12:
	s_or_b64 exec, exec, s[2:3]
	v_cmp_gt_u32_e32 vcc, s18, v1
	s_and_saveexec_b64 s[2:3], vcc
	s_cbranch_execz .LBB71_19
; %bb.13:
	v_mov_b32_e32 v2, 0
	v_lshlrev_b64 v[4:5], 1, v[1:2]
	v_mov_b32_e32 v3, s17
	v_add_co_u32_e32 v2, vcc, s16, v4
	v_addc_co_u32_e32 v3, vcc, v3, v5, vcc
	v_mov_b32_e32 v6, s7
	v_add_co_u32_e32 v7, vcc, s6, v4
	v_addc_co_u32_e32 v8, vcc, v6, v5, vcc
	v_mov_b32_e32 v5, s11
	v_add_co_u32_e32 v4, vcc, s10, v7
	s_cmp_lg_u64 s[16:17], 0
	v_addc_co_u32_e32 v5, vcc, v5, v8, vcc
	v_mov_b32_e32 v11, s9
	v_add_co_u32_e32 v6, vcc, s8, v7
	s_cselect_b64 s[0:1], -1, 0
	v_addc_co_u32_e32 v7, vcc, v11, v8, vcc
	v_cndmask_b32_e64 v8, 0, 1, s[0:1]
	s_mov_b64 s[12:13], 0
	v_cmp_ne_u32_e64 s[0:1], 1, v8
	s_branch .LBB71_16
.LBB71_14:                              ;   in Loop: Header=BB71_16 Depth=1
	global_load_ushort v8, v[2:3], off
	s_waitcnt vmcnt(0)
	v_cvt_f32_f16_e32 v8, v8
.LBB71_15:                              ;   in Loop: Header=BB71_16 Depth=1
	global_load_ushort v11, v[6:7], off
	global_load_ushort v12, v[4:5], off
	v_add_co_u32_e32 v2, vcc, 2, v2
	v_addc_co_u32_e32 v3, vcc, 0, v3, vcc
	v_add_co_u32_e32 v4, vcc, 2, v4
	v_add_u32_e32 v1, 1, v1
	v_addc_co_u32_e32 v5, vcc, 0, v5, vcc
	v_cmp_le_u32_e32 vcc, s18, v1
	s_or_b64 s[12:13], vcc, s[12:13]
	v_add_co_u32_e32 v6, vcc, 2, v6
	v_addc_co_u32_e32 v7, vcc, 0, v7, vcc
	s_waitcnt vmcnt(1)
	v_cvt_f32_f16_e32 v13, v11
	s_waitcnt vmcnt(0)
	v_cvt_f32_f16_e32 v12, v12
	v_fma_mix_f32 v10, v8, v11, v10 op_sel_hi:[0,1,0]
	v_mul_f32_e32 v8, v8, v13
	s_waitcnt lgkmcnt(0)
	v_subrev_f32_e32 v11, s19, v12
	v_mul_f32_e32 v8, v11, v8
	v_fmac_f32_e32 v9, s20, v8
	s_andn2_b64 exec, exec, s[12:13]
	s_cbranch_execz .LBB71_18
.LBB71_16:                              ; =>This Inner Loop Header: Depth=1
	s_and_b64 vcc, exec, s[0:1]
	s_cbranch_vccz .LBB71_14
; %bb.17:                               ;   in Loop: Header=BB71_16 Depth=1
	v_mov_b32_e32 v8, 1.0
	s_branch .LBB71_15
.LBB71_18:
	s_or_b64 exec, exec, s[12:13]
.LBB71_19:
	s_or_b64 exec, exec, s[2:3]
	v_mbcnt_lo_u32_b32 v1, -1, 0
	v_mbcnt_hi_u32_b32 v1, -1, v1
	v_mov_b32_e32 v2, 0x80
	v_lshl_or_b32 v3, v1, 2, v2
	ds_bpermute_b32 v2, v3, v10
	v_and_b32_e32 v8, 63, v1
	v_cmp_gt_u32_e32 vcc, 48, v8
	v_cndmask_b32_e64 v4, 0, 16, vcc
	v_add_lshl_u32 v4, v4, v1, 2
	s_waitcnt lgkmcnt(0)
	v_add_f32_e32 v2, v10, v2
	ds_bpermute_b32 v6, v4, v2
	v_cmp_gt_u32_e32 vcc, 56, v8
	v_cndmask_b32_e64 v5, 0, 8, vcc
	v_add_lshl_u32 v5, v5, v1, 2
	v_cmp_gt_u32_e32 vcc, 60, v8
	s_waitcnt lgkmcnt(0)
	v_add_f32_e32 v2, v2, v6
	ds_bpermute_b32 v7, v5, v2
	v_cndmask_b32_e64 v6, 0, 4, vcc
	v_add_lshl_u32 v6, v6, v1, 2
	v_cmp_gt_u32_e32 vcc, 62, v8
	v_and_b32_e32 v10, 63, v0
	s_waitcnt lgkmcnt(0)
	v_add_f32_e32 v2, v2, v7
	ds_bpermute_b32 v11, v6, v2
	v_cndmask_b32_e64 v7, 0, 2, vcc
	v_add_lshl_u32 v7, v7, v1, 2
	v_cmp_ne_u32_e32 vcc, 63, v8
	v_addc_co_u32_e32 v1, vcc, 0, v1, vcc
	s_waitcnt lgkmcnt(0)
	v_add_f32_e32 v2, v2, v11
	ds_bpermute_b32 v11, v7, v2
	v_lshlrev_b32_e32 v8, 2, v1
	v_cmp_eq_u32_e32 vcc, 0, v10
	s_waitcnt lgkmcnt(0)
	s_barrier
	v_add_f32_e32 v1, v2, v11
	ds_bpermute_b32 v11, v8, v1
	v_lshrrev_b32_e32 v2, 4, v0
	s_waitcnt lgkmcnt(0)
	s_and_saveexec_b64 s[0:1], vcc
; %bb.20:
	v_add_u32_e32 v12, 0, v2
	v_add_f32_e32 v1, v1, v11
	ds_write_b32 v12, v1
; %bb.21:
	s_or_b64 exec, exec, s[0:1]
	s_waitcnt lgkmcnt(0)
	s_barrier
	s_load_dword s10, s[4:5], 0x44
	v_mov_b32_e32 v1, 0
	v_lshl_add_u32 v10, v10, 2, 0
	s_waitcnt lgkmcnt(0)
	s_bfe_u32 s0, s10, 0xa0006
	v_cmp_gt_u32_e64 s[0:1], s0, v0
	s_and_saveexec_b64 s[2:3], s[0:1]
; %bb.22:
	ds_read_b32 v1, v10
; %bb.23:
	s_or_b64 exec, exec, s[2:3]
	v_cmp_gt_u32_e64 s[2:3], 64, v0
	s_and_saveexec_b64 s[8:9], s[2:3]
	s_cbranch_execz .LBB71_25
; %bb.24:
	s_waitcnt lgkmcnt(0)
	ds_bpermute_b32 v11, v3, v1
	s_waitcnt lgkmcnt(0)
	v_add_f32_e32 v1, v1, v11
	ds_bpermute_b32 v11, v4, v1
	s_waitcnt lgkmcnt(0)
	v_add_f32_e32 v1, v1, v11
	;; [unrolled: 3-line block ×6, first 2 shown]
.LBB71_25:
	s_or_b64 exec, exec, s[8:9]
	ds_bpermute_b32 v11, v3, v9
	s_waitcnt lgkmcnt(0)
	s_barrier
	v_add_f32_e32 v9, v9, v11
	ds_bpermute_b32 v11, v4, v9
	s_waitcnt lgkmcnt(0)
	v_add_f32_e32 v9, v9, v11
	ds_bpermute_b32 v11, v5, v9
	s_waitcnt lgkmcnt(0)
	;; [unrolled: 3-line block ×4, first 2 shown]
	v_add_f32_e32 v9, v9, v11
	ds_bpermute_b32 v11, v8, v9
	s_and_saveexec_b64 s[8:9], vcc
	s_cbranch_execz .LBB71_27
; %bb.26:
	v_add_u32_e32 v2, 0, v2
	s_waitcnt lgkmcnt(0)
	v_add_f32_e32 v9, v9, v11
	ds_write_b32 v2, v9
.LBB71_27:
	s_or_b64 exec, exec, s[8:9]
	v_mov_b32_e32 v2, 0
	s_waitcnt lgkmcnt(0)
	s_barrier
	s_and_saveexec_b64 s[8:9], s[0:1]
	s_cbranch_execnz .LBB71_38
; %bb.28:
	s_or_b64 exec, exec, s[8:9]
	s_and_saveexec_b64 s[0:1], s[2:3]
	s_cbranch_execnz .LBB71_39
.LBB71_29:
	s_or_b64 exec, exec, s[0:1]
	v_cmp_eq_u32_e32 vcc, 0, v0
	s_and_saveexec_b64 s[0:1], vcc
	s_cbranch_execz .LBB71_31
.LBB71_30:
	v_mov_b32_e32 v3, 0
	s_waitcnt lgkmcnt(0)
	ds_write_b64 v3, v[1:2]
.LBB71_31:
	s_or_b64 exec, exec, s[0:1]
	v_cmp_gt_i32_e32 vcc, s18, v0
	s_waitcnt lgkmcnt(0)
	s_barrier
	s_and_saveexec_b64 s[0:1], vcc
	s_cbranch_execz .LBB71_37
; %bb.32:
	v_cvt_f32_i32_e32 v6, s18
	s_and_b32 s8, 0xffff, s10
	s_mov_b64 s[2:3], 0
	v_mov_b32_e32 v7, s23
	v_div_scale_f32 v1, s[0:1], v6, v6, 1.0
	v_div_scale_f32 v2, vcc, 1.0, v6, 1.0
	s_load_dwordx2 s[0:1], s[4:5], 0x28
	v_mov_b32_e32 v8, s24
	s_waitcnt lgkmcnt(0)
	s_add_u32 s4, s0, s6
	s_addc_u32 s5, s1, s7
	s_cmp_lg_u64 s[16:17], 0
	s_cselect_b64 s[0:1], -1, 0
	v_mov_b32_e32 v10, s5
	v_rcp_f32_e32 v3, v1
	v_fma_f32 v4, -v1, v3, 1.0
	v_fmac_f32_e32 v3, v4, v3
	v_mul_f32_e32 v4, v2, v3
	v_fma_f32 v5, -v1, v4, v2
	v_fmac_f32_e32 v4, v5, v3
	v_fma_f32 v1, -v1, v4, v2
	v_div_fmas_f32 v1, v1, v3, v4
	v_mov_b32_e32 v2, 0
	ds_read_b64 v[2:3], v2
	v_cndmask_b32_e64 v4, 0, 1, s[0:1]
	v_cmp_ne_u32_e64 s[0:1], 1, v4
	v_div_fixup_f32 v1, v1, v6, 1.0
	v_mul_f32_e32 v9, s20, v1
	s_branch .LBB71_35
.LBB71_33:                              ;   in Loop: Header=BB71_35 Depth=1
	v_mov_b32_e32 v13, s17
	v_add_co_u32_e32 v12, vcc, s16, v4
	v_addc_co_u32_e32 v13, vcc, v13, v5, vcc
	global_load_ushort v12, v[12:13], off
	s_waitcnt vmcnt(0)
	v_cvt_f32_f16_e32 v12, v12
.LBB71_34:                              ;   in Loop: Header=BB71_35 Depth=1
	s_waitcnt vmcnt(1)
	v_cvt_f32_f16_e32 v1, v1
	v_mul_f32_e32 v12, v12, v6
	v_add_co_u32_e32 v4, vcc, s4, v4
	v_subrev_f32_e32 v1, s19, v1
	v_mul_f32_e32 v1, s20, v1
	s_waitcnt lgkmcnt(0)
	v_mul_f32_e32 v1, v3, v1
	s_waitcnt vmcnt(0)
	v_fma_mix_f32 v1, v12, v11, -v1 op_sel_hi:[0,1,0]
	v_addc_co_u32_e32 v5, vcc, v10, v5, vcc
	v_add_u32_e32 v0, s8, v0
	v_sub_f32_e32 v1, v1, v2
	v_cmp_le_i32_e32 vcc, s18, v0
	v_fma_mixlo_f16 v1, v9, v1, 0
	s_or_b64 s[2:3], vcc, s[2:3]
	global_store_short v[4:5], v1, off
	s_andn2_b64 exec, exec, s[2:3]
	s_cbranch_execz .LBB71_37
.LBB71_35:                              ; =>This Inner Loop Header: Depth=1
	v_ashrrev_i32_e32 v1, 31, v0
	v_lshlrev_b64 v[4:5], 1, v[0:1]
	v_add_co_u32_e32 v11, vcc, s21, v4
	v_addc_co_u32_e32 v12, vcc, v7, v5, vcc
	global_load_ushort v1, v[11:12], off
	v_add_co_u32_e32 v11, vcc, s22, v4
	v_addc_co_u32_e32 v12, vcc, v8, v5, vcc
	global_load_ushort v11, v[11:12], off
	s_and_b64 vcc, exec, s[0:1]
	s_cbranch_vccz .LBB71_33
; %bb.36:                               ;   in Loop: Header=BB71_35 Depth=1
	v_mov_b32_e32 v12, 1.0
	s_branch .LBB71_34
.LBB71_37:
	s_endpgm
.LBB71_38:
	ds_read_b32 v2, v10
	s_or_b64 exec, exec, s[8:9]
	s_and_saveexec_b64 s[0:1], s[2:3]
	s_cbranch_execz .LBB71_29
.LBB71_39:
	s_waitcnt lgkmcnt(0)
	ds_bpermute_b32 v3, v3, v2
	s_waitcnt lgkmcnt(0)
	v_add_f32_e32 v2, v2, v3
	ds_bpermute_b32 v3, v4, v2
	s_waitcnt lgkmcnt(0)
	v_add_f32_e32 v2, v2, v3
	;; [unrolled: 3-line block ×6, first 2 shown]
	s_or_b64 exec, exec, s[0:1]
	v_cmp_eq_u32_e32 vcc, 0, v0
	s_and_saveexec_b64 s[0:1], vcc
	s_cbranch_execnz .LBB71_30
	s_branch .LBB71_31
	.section	.rodata,"a",@progbits
	.p2align	6, 0x0
	.amdhsa_kernel _ZN2at6native12_GLOBAL__N_128layer_norm_grad_input_kernelIN3c104HalfEfLb0EEEvPKT_S7_PKT0_SA_S7_PS5_i
		.amdhsa_group_segment_fixed_size 0
		.amdhsa_private_segment_fixed_size 0
		.amdhsa_kernarg_size 312
		.amdhsa_user_sgpr_count 6
		.amdhsa_user_sgpr_private_segment_buffer 1
		.amdhsa_user_sgpr_dispatch_ptr 0
		.amdhsa_user_sgpr_queue_ptr 0
		.amdhsa_user_sgpr_kernarg_segment_ptr 1
		.amdhsa_user_sgpr_dispatch_id 0
		.amdhsa_user_sgpr_flat_scratch_init 0
		.amdhsa_user_sgpr_private_segment_size 0
		.amdhsa_uses_dynamic_stack 0
		.amdhsa_system_sgpr_private_segment_wavefront_offset 0
		.amdhsa_system_sgpr_workgroup_id_x 1
		.amdhsa_system_sgpr_workgroup_id_y 0
		.amdhsa_system_sgpr_workgroup_id_z 0
		.amdhsa_system_sgpr_workgroup_info 0
		.amdhsa_system_vgpr_workitem_id 0
		.amdhsa_next_free_vgpr 23
		.amdhsa_next_free_sgpr 26
		.amdhsa_reserve_vcc 1
		.amdhsa_reserve_flat_scratch 0
		.amdhsa_float_round_mode_32 0
		.amdhsa_float_round_mode_16_64 0
		.amdhsa_float_denorm_mode_32 3
		.amdhsa_float_denorm_mode_16_64 3
		.amdhsa_dx10_clamp 1
		.amdhsa_ieee_mode 1
		.amdhsa_fp16_overflow 0
		.amdhsa_exception_fp_ieee_invalid_op 0
		.amdhsa_exception_fp_denorm_src 0
		.amdhsa_exception_fp_ieee_div_zero 0
		.amdhsa_exception_fp_ieee_overflow 0
		.amdhsa_exception_fp_ieee_underflow 0
		.amdhsa_exception_fp_ieee_inexact 0
		.amdhsa_exception_int_div_zero 0
	.end_amdhsa_kernel
	.section	.text._ZN2at6native12_GLOBAL__N_128layer_norm_grad_input_kernelIN3c104HalfEfLb0EEEvPKT_S7_PKT0_SA_S7_PS5_i,"axG",@progbits,_ZN2at6native12_GLOBAL__N_128layer_norm_grad_input_kernelIN3c104HalfEfLb0EEEvPKT_S7_PKT0_SA_S7_PS5_i,comdat
.Lfunc_end71:
	.size	_ZN2at6native12_GLOBAL__N_128layer_norm_grad_input_kernelIN3c104HalfEfLb0EEEvPKT_S7_PKT0_SA_S7_PS5_i, .Lfunc_end71-_ZN2at6native12_GLOBAL__N_128layer_norm_grad_input_kernelIN3c104HalfEfLb0EEEvPKT_S7_PKT0_SA_S7_PS5_i
                                        ; -- End function
	.set _ZN2at6native12_GLOBAL__N_128layer_norm_grad_input_kernelIN3c104HalfEfLb0EEEvPKT_S7_PKT0_SA_S7_PS5_i.num_vgpr, 23
	.set _ZN2at6native12_GLOBAL__N_128layer_norm_grad_input_kernelIN3c104HalfEfLb0EEEvPKT_S7_PKT0_SA_S7_PS5_i.num_agpr, 0
	.set _ZN2at6native12_GLOBAL__N_128layer_norm_grad_input_kernelIN3c104HalfEfLb0EEEvPKT_S7_PKT0_SA_S7_PS5_i.numbered_sgpr, 26
	.set _ZN2at6native12_GLOBAL__N_128layer_norm_grad_input_kernelIN3c104HalfEfLb0EEEvPKT_S7_PKT0_SA_S7_PS5_i.num_named_barrier, 0
	.set _ZN2at6native12_GLOBAL__N_128layer_norm_grad_input_kernelIN3c104HalfEfLb0EEEvPKT_S7_PKT0_SA_S7_PS5_i.private_seg_size, 0
	.set _ZN2at6native12_GLOBAL__N_128layer_norm_grad_input_kernelIN3c104HalfEfLb0EEEvPKT_S7_PKT0_SA_S7_PS5_i.uses_vcc, 1
	.set _ZN2at6native12_GLOBAL__N_128layer_norm_grad_input_kernelIN3c104HalfEfLb0EEEvPKT_S7_PKT0_SA_S7_PS5_i.uses_flat_scratch, 0
	.set _ZN2at6native12_GLOBAL__N_128layer_norm_grad_input_kernelIN3c104HalfEfLb0EEEvPKT_S7_PKT0_SA_S7_PS5_i.has_dyn_sized_stack, 0
	.set _ZN2at6native12_GLOBAL__N_128layer_norm_grad_input_kernelIN3c104HalfEfLb0EEEvPKT_S7_PKT0_SA_S7_PS5_i.has_recursion, 0
	.set _ZN2at6native12_GLOBAL__N_128layer_norm_grad_input_kernelIN3c104HalfEfLb0EEEvPKT_S7_PKT0_SA_S7_PS5_i.has_indirect_call, 0
	.section	.AMDGPU.csdata,"",@progbits
; Kernel info:
; codeLenInByte = 2044
; TotalNumSgprs: 30
; NumVgprs: 23
; ScratchSize: 0
; MemoryBound: 0
; FloatMode: 240
; IeeeMode: 1
; LDSByteSize: 0 bytes/workgroup (compile time only)
; SGPRBlocks: 3
; VGPRBlocks: 5
; NumSGPRsForWavesPerEU: 30
; NumVGPRsForWavesPerEU: 23
; Occupancy: 10
; WaveLimiterHint : 0
; COMPUTE_PGM_RSRC2:SCRATCH_EN: 0
; COMPUTE_PGM_RSRC2:USER_SGPR: 6
; COMPUTE_PGM_RSRC2:TRAP_HANDLER: 0
; COMPUTE_PGM_RSRC2:TGID_X_EN: 1
; COMPUTE_PGM_RSRC2:TGID_Y_EN: 0
; COMPUTE_PGM_RSRC2:TGID_Z_EN: 0
; COMPUTE_PGM_RSRC2:TIDIG_COMP_CNT: 0
	.section	.text._ZN2at6native12_GLOBAL__N_133GammaBetaBackwardSimpleCUDAKernelIN3c104HalfEfLb0EEEvllPKT_S7_PKT0_SA_PS5_SB_,"axG",@progbits,_ZN2at6native12_GLOBAL__N_133GammaBetaBackwardSimpleCUDAKernelIN3c104HalfEfLb0EEEvllPKT_S7_PKT0_SA_PS5_SB_,comdat
	.globl	_ZN2at6native12_GLOBAL__N_133GammaBetaBackwardSimpleCUDAKernelIN3c104HalfEfLb0EEEvllPKT_S7_PKT0_SA_PS5_SB_ ; -- Begin function _ZN2at6native12_GLOBAL__N_133GammaBetaBackwardSimpleCUDAKernelIN3c104HalfEfLb0EEEvllPKT_S7_PKT0_SA_PS5_SB_
	.p2align	8
	.type	_ZN2at6native12_GLOBAL__N_133GammaBetaBackwardSimpleCUDAKernelIN3c104HalfEfLb0EEEvllPKT_S7_PKT0_SA_PS5_SB_,@function
_ZN2at6native12_GLOBAL__N_133GammaBetaBackwardSimpleCUDAKernelIN3c104HalfEfLb0EEEvllPKT_S7_PKT0_SA_PS5_SB_: ; @_ZN2at6native12_GLOBAL__N_133GammaBetaBackwardSimpleCUDAKernelIN3c104HalfEfLb0EEEvllPKT_S7_PKT0_SA_PS5_SB_
; %bb.0:
	s_load_dword s0, s[4:5], 0x4c
	v_mov_b32_e32 v1, 0
	s_load_dwordx16 s[8:23], s[4:5], 0x0
	v_mov_b32_e32 v2, s6
	s_waitcnt lgkmcnt(0)
	s_and_b32 s0, s0, 0xffff
	v_mad_u64_u32 v[2:3], s[0:1], s0, v2, v[0:1]
	v_cmp_gt_i64_e32 vcc, s[10:11], v[2:3]
	s_and_saveexec_b64 s[0:1], vcc
	s_cbranch_execz .LBB72_14
; %bb.1:
	v_cmp_lt_i64_e64 s[0:1], s[8:9], 1
	v_lshlrev_b64 v[2:3], 1, v[2:3]
	s_and_b64 vcc, exec, s[0:1]
	v_mov_b32_e32 v0, 0
	s_cbranch_vccnz .LBB72_10
; %bb.2:
	s_cmp_lg_u64 s[20:21], 0
	s_cselect_b64 s[0:1], -1, 0
	s_cmp_lg_u64 s[22:23], 0
	s_cselect_b64 s[2:3], -1, 0
	v_cndmask_b32_e64 v0, 0, 1, s[0:1]
	v_cmp_ne_u32_e64 s[0:1], 1, v0
	v_cndmask_b32_e64 v0, 0, 1, s[2:3]
	s_lshl_b64 s[4:5], s[10:11], 1
	v_cmp_ne_u32_e64 s[2:3], 1, v0
	v_mov_b32_e32 v0, v2
	v_mov_b32_e32 v4, 0
	;; [unrolled: 1-line block ×5, first 2 shown]
	s_branch .LBB72_5
.LBB72_3:                               ;   in Loop: Header=BB72_5 Depth=1
	v_mov_b32_e32 v9, s13
	v_add_co_u32_e32 v8, vcc, s12, v0
	v_addc_co_u32_e32 v9, vcc, v9, v1, vcc
	global_load_ushort v8, v[8:9], off
	s_waitcnt vmcnt(0)
	v_cvt_f32_f16_e32 v8, v8
.LBB72_4:                               ;   in Loop: Header=BB72_5 Depth=1
	s_add_u32 s8, s8, -1
	s_addc_u32 s9, s9, -1
	s_add_u32 s18, s18, 4
	s_addc_u32 s19, s19, 0
	s_add_u32 s16, s16, 4
	s_addc_u32 s17, s17, 0
	v_add_co_u32_e32 v0, vcc, s4, v0
	v_add_f32_e32 v4, v4, v7
	v_add_f32_e32 v6, v6, v8
	s_cmp_eq_u64 s[8:9], 0
	v_addc_co_u32_e32 v1, vcc, v1, v5, vcc
	s_cbranch_scc1 .LBB72_9
.LBB72_5:                               ; =>This Inner Loop Header: Depth=1
	s_and_b64 vcc, exec, s[0:1]
	v_mov_b32_e32 v7, 0
	s_cbranch_vccnz .LBB72_7
; %bb.6:                                ;   in Loop: Header=BB72_5 Depth=1
	v_mov_b32_e32 v8, s13
	v_add_co_u32_e32 v7, vcc, s12, v0
	v_addc_co_u32_e32 v8, vcc, v8, v1, vcc
	global_load_ushort v9, v[7:8], off
	v_mov_b32_e32 v8, s15
	v_add_co_u32_e32 v7, vcc, s14, v0
	v_addc_co_u32_e32 v8, vcc, v8, v1, vcc
	global_load_ushort v7, v[7:8], off
	s_load_dword s5, s[16:17], 0x0
	s_load_dword s6, s[18:19], 0x0
	s_waitcnt vmcnt(1)
	v_cvt_f32_f16_e32 v8, v9
	s_waitcnt vmcnt(0)
	v_cvt_f32_f16_e32 v7, v7
	s_waitcnt lgkmcnt(0)
	v_subrev_f32_e32 v7, s5, v7
	v_mul_f32_e32 v7, v7, v8
	v_mul_f32_e32 v7, s6, v7
.LBB72_7:                               ;   in Loop: Header=BB72_5 Depth=1
	s_and_b64 vcc, exec, s[2:3]
	s_cbranch_vccz .LBB72_3
; %bb.8:                                ;   in Loop: Header=BB72_5 Depth=1
	v_mov_b32_e32 v8, 0
	s_branch .LBB72_4
.LBB72_9:
	v_cvt_f16_f32_e32 v1, v4
	v_cvt_f16_f32_e32 v0, v6
.LBB72_10:
	s_cmp_lg_u64 s[20:21], 0
	s_cbranch_scc0 .LBB72_12
; %bb.11:
	v_mov_b32_e32 v5, s21
	v_add_co_u32_e32 v4, vcc, s20, v2
	v_addc_co_u32_e32 v5, vcc, v5, v3, vcc
	global_store_short v[4:5], v1, off
.LBB72_12:
	s_cmp_eq_u64 s[22:23], 0
	s_cbranch_scc1 .LBB72_14
; %bb.13:
	v_mov_b32_e32 v4, s23
	v_add_co_u32_e32 v1, vcc, s22, v2
	v_addc_co_u32_e32 v2, vcc, v4, v3, vcc
	global_store_short v[1:2], v0, off
.LBB72_14:
	s_endpgm
	.section	.rodata,"a",@progbits
	.p2align	6, 0x0
	.amdhsa_kernel _ZN2at6native12_GLOBAL__N_133GammaBetaBackwardSimpleCUDAKernelIN3c104HalfEfLb0EEEvllPKT_S7_PKT0_SA_PS5_SB_
		.amdhsa_group_segment_fixed_size 0
		.amdhsa_private_segment_fixed_size 0
		.amdhsa_kernarg_size 320
		.amdhsa_user_sgpr_count 6
		.amdhsa_user_sgpr_private_segment_buffer 1
		.amdhsa_user_sgpr_dispatch_ptr 0
		.amdhsa_user_sgpr_queue_ptr 0
		.amdhsa_user_sgpr_kernarg_segment_ptr 1
		.amdhsa_user_sgpr_dispatch_id 0
		.amdhsa_user_sgpr_flat_scratch_init 0
		.amdhsa_user_sgpr_private_segment_size 0
		.amdhsa_uses_dynamic_stack 0
		.amdhsa_system_sgpr_private_segment_wavefront_offset 0
		.amdhsa_system_sgpr_workgroup_id_x 1
		.amdhsa_system_sgpr_workgroup_id_y 0
		.amdhsa_system_sgpr_workgroup_id_z 0
		.amdhsa_system_sgpr_workgroup_info 0
		.amdhsa_system_vgpr_workitem_id 0
		.amdhsa_next_free_vgpr 10
		.amdhsa_next_free_sgpr 24
		.amdhsa_reserve_vcc 1
		.amdhsa_reserve_flat_scratch 0
		.amdhsa_float_round_mode_32 0
		.amdhsa_float_round_mode_16_64 0
		.amdhsa_float_denorm_mode_32 3
		.amdhsa_float_denorm_mode_16_64 3
		.amdhsa_dx10_clamp 1
		.amdhsa_ieee_mode 1
		.amdhsa_fp16_overflow 0
		.amdhsa_exception_fp_ieee_invalid_op 0
		.amdhsa_exception_fp_denorm_src 0
		.amdhsa_exception_fp_ieee_div_zero 0
		.amdhsa_exception_fp_ieee_overflow 0
		.amdhsa_exception_fp_ieee_underflow 0
		.amdhsa_exception_fp_ieee_inexact 0
		.amdhsa_exception_int_div_zero 0
	.end_amdhsa_kernel
	.section	.text._ZN2at6native12_GLOBAL__N_133GammaBetaBackwardSimpleCUDAKernelIN3c104HalfEfLb0EEEvllPKT_S7_PKT0_SA_PS5_SB_,"axG",@progbits,_ZN2at6native12_GLOBAL__N_133GammaBetaBackwardSimpleCUDAKernelIN3c104HalfEfLb0EEEvllPKT_S7_PKT0_SA_PS5_SB_,comdat
.Lfunc_end72:
	.size	_ZN2at6native12_GLOBAL__N_133GammaBetaBackwardSimpleCUDAKernelIN3c104HalfEfLb0EEEvllPKT_S7_PKT0_SA_PS5_SB_, .Lfunc_end72-_ZN2at6native12_GLOBAL__N_133GammaBetaBackwardSimpleCUDAKernelIN3c104HalfEfLb0EEEvllPKT_S7_PKT0_SA_PS5_SB_
                                        ; -- End function
	.set _ZN2at6native12_GLOBAL__N_133GammaBetaBackwardSimpleCUDAKernelIN3c104HalfEfLb0EEEvllPKT_S7_PKT0_SA_PS5_SB_.num_vgpr, 10
	.set _ZN2at6native12_GLOBAL__N_133GammaBetaBackwardSimpleCUDAKernelIN3c104HalfEfLb0EEEvllPKT_S7_PKT0_SA_PS5_SB_.num_agpr, 0
	.set _ZN2at6native12_GLOBAL__N_133GammaBetaBackwardSimpleCUDAKernelIN3c104HalfEfLb0EEEvllPKT_S7_PKT0_SA_PS5_SB_.numbered_sgpr, 24
	.set _ZN2at6native12_GLOBAL__N_133GammaBetaBackwardSimpleCUDAKernelIN3c104HalfEfLb0EEEvllPKT_S7_PKT0_SA_PS5_SB_.num_named_barrier, 0
	.set _ZN2at6native12_GLOBAL__N_133GammaBetaBackwardSimpleCUDAKernelIN3c104HalfEfLb0EEEvllPKT_S7_PKT0_SA_PS5_SB_.private_seg_size, 0
	.set _ZN2at6native12_GLOBAL__N_133GammaBetaBackwardSimpleCUDAKernelIN3c104HalfEfLb0EEEvllPKT_S7_PKT0_SA_PS5_SB_.uses_vcc, 1
	.set _ZN2at6native12_GLOBAL__N_133GammaBetaBackwardSimpleCUDAKernelIN3c104HalfEfLb0EEEvllPKT_S7_PKT0_SA_PS5_SB_.uses_flat_scratch, 0
	.set _ZN2at6native12_GLOBAL__N_133GammaBetaBackwardSimpleCUDAKernelIN3c104HalfEfLb0EEEvllPKT_S7_PKT0_SA_PS5_SB_.has_dyn_sized_stack, 0
	.set _ZN2at6native12_GLOBAL__N_133GammaBetaBackwardSimpleCUDAKernelIN3c104HalfEfLb0EEEvllPKT_S7_PKT0_SA_PS5_SB_.has_recursion, 0
	.set _ZN2at6native12_GLOBAL__N_133GammaBetaBackwardSimpleCUDAKernelIN3c104HalfEfLb0EEEvllPKT_S7_PKT0_SA_PS5_SB_.has_indirect_call, 0
	.section	.AMDGPU.csdata,"",@progbits
; Kernel info:
; codeLenInByte = 420
; TotalNumSgprs: 28
; NumVgprs: 10
; ScratchSize: 0
; MemoryBound: 0
; FloatMode: 240
; IeeeMode: 1
; LDSByteSize: 0 bytes/workgroup (compile time only)
; SGPRBlocks: 3
; VGPRBlocks: 2
; NumSGPRsForWavesPerEU: 28
; NumVGPRsForWavesPerEU: 10
; Occupancy: 10
; WaveLimiterHint : 0
; COMPUTE_PGM_RSRC2:SCRATCH_EN: 0
; COMPUTE_PGM_RSRC2:USER_SGPR: 6
; COMPUTE_PGM_RSRC2:TRAP_HANDLER: 0
; COMPUTE_PGM_RSRC2:TGID_X_EN: 1
; COMPUTE_PGM_RSRC2:TGID_Y_EN: 0
; COMPUTE_PGM_RSRC2:TGID_Z_EN: 0
; COMPUTE_PGM_RSRC2:TIDIG_COMP_CNT: 0
	.section	.text._ZN2at6native12_GLOBAL__N_135GammaBetaBackwardCUDAKernelTemplateIN3c104HalfEfLj64ELj1ELj32ELb1ELb1ELb0EEEvllPKT_S7_PKT0_SA_PS5_SB_,"axG",@progbits,_ZN2at6native12_GLOBAL__N_135GammaBetaBackwardCUDAKernelTemplateIN3c104HalfEfLj64ELj1ELj32ELb1ELb1ELb0EEEvllPKT_S7_PKT0_SA_PS5_SB_,comdat
	.globl	_ZN2at6native12_GLOBAL__N_135GammaBetaBackwardCUDAKernelTemplateIN3c104HalfEfLj64ELj1ELj32ELb1ELb1ELb0EEEvllPKT_S7_PKT0_SA_PS5_SB_ ; -- Begin function _ZN2at6native12_GLOBAL__N_135GammaBetaBackwardCUDAKernelTemplateIN3c104HalfEfLj64ELj1ELj32ELb1ELb1ELb0EEEvllPKT_S7_PKT0_SA_PS5_SB_
	.p2align	8
	.type	_ZN2at6native12_GLOBAL__N_135GammaBetaBackwardCUDAKernelTemplateIN3c104HalfEfLj64ELj1ELj32ELb1ELb1ELb0EEEvllPKT_S7_PKT0_SA_PS5_SB_,@function
_ZN2at6native12_GLOBAL__N_135GammaBetaBackwardCUDAKernelTemplateIN3c104HalfEfLj64ELj1ELj32ELb1ELb1ELb0EEEvllPKT_S7_PKT0_SA_PS5_SB_: ; @_ZN2at6native12_GLOBAL__N_135GammaBetaBackwardCUDAKernelTemplateIN3c104HalfEfLj64ELj1ELj32ELb1ELb1ELb0EEEvllPKT_S7_PKT0_SA_PS5_SB_
; %bb.0:
	s_load_dwordx4 s[16:19], s[4:5], 0x0
	s_lshl_b32 s24, s7, 5
	s_mov_b32 s25, 0
	v_mov_b32_e32 v2, s24
	v_mov_b32_e32 v3, s25
	s_waitcnt lgkmcnt(0)
	v_cmp_gt_i64_e32 vcc, s[16:17], v[2:3]
	s_mov_b32 s2, s7
	s_cbranch_vccnz .LBB73_2
; %bb.1:
	s_add_u32 s26, s4, 64
	s_addc_u32 s27, s5, 0
	s_mov_b64 s[0:1], 0
	s_branch .LBB73_3
.LBB73_2:
	s_mov_b64 s[0:1], -1
                                        ; implicit-def: $sgpr26_sgpr27
.LBB73_3:
	s_load_dwordx4 s[20:23], s[4:5], 0x30
	v_mov_b32_e32 v5, 0
	s_andn2_b64 vcc, exec, s[0:1]
	v_mov_b32_e32 v4, 0
	s_cbranch_vccnz .LBB73_11
; %bb.4:
	s_load_dword s0, s[4:5], 0x4c
	s_load_dword s3, s[4:5], 0x44
	s_load_dwordx8 s[8:15], s[4:5], 0x10
	s_add_u32 s26, s4, 64
	s_addc_u32 s27, s5, 0
	s_waitcnt lgkmcnt(0)
	s_and_b32 s0, s0, 0xffff
	v_mad_u32_u24 v2, v1, s0, v0
	v_and_b32_e32 v19, 63, v2
	v_lshlrev_b32_e32 v2, 5, v1
	v_mbcnt_lo_u32_b32 v3, -1, 0
	v_mbcnt_hi_u32_b32 v3, -1, v3
	v_add_co_u32_e32 v20, vcc, s24, v2
	v_lshlrev_b32_e32 v3, 2, v3
	v_addc_co_u32_e64 v21, s[4:5], 0, 0, vcc
	v_and_b32_e32 v7, 0x100, v3
	v_mul_lo_u32 v4, s19, v20
	v_mul_lo_u32 v14, s18, v21
	v_mad_u64_u32 v[2:3], s[4:5], s18, v20, 0
	v_mov_b32_e32 v6, 0
	v_lshl_or_b32 v5, s6, 6, v0
	v_add3_u32 v3, v3, v14, v4
	v_lshlrev_b64 v[2:3], 1, v[2:3]
	v_lshlrev_b64 v[4:5], 1, v[5:6]
	s_lshl_b32 s28, s3, 5
	v_add_co_u32_e32 v14, vcc, v2, v4
	v_addc_co_u32_e32 v15, vcc, v3, v5, vcc
	v_add_co_u32_e32 v2, vcc, v20, v19
	v_addc_co_u32_e32 v3, vcc, 0, v21, vcc
	s_mul_i32 s3, s19, s28
	s_mul_hi_u32 s4, s18, s28
	s_mov_b32 s29, 0
	s_add_i32 s5, s4, s3
	s_mul_i32 s4, s18, s28
	v_lshlrev_b64 v[4:5], 2, v[2:3]
	v_cmp_gt_u32_e64 s[0:1], 32, v19
	v_or_b32_e32 v8, 4, v7
	v_or_b32_e32 v9, 8, v7
	;; [unrolled: 1-line block ×10, first 2 shown]
	s_lshl_b64 s[30:31], s[28:29], 2
	s_lshl_b64 s[34:35], s[4:5], 1
	;; [unrolled: 1-line block ×3, first 2 shown]
	v_or_b32_e32 v20, 44, v7
	v_or_b32_e32 v21, 48, v7
	;; [unrolled: 1-line block ×21, first 2 shown]
	v_mov_b32_e32 v41, v6
	s_branch .LBB73_7
.LBB73_5:                               ;   in Loop: Header=BB73_7 Depth=1
	s_or_b64 exec, exec, s[38:39]
.LBB73_6:                               ;   in Loop: Header=BB73_7 Depth=1
	s_or_b64 exec, exec, s[4:5]
	v_mov_b32_e32 v44, s11
	v_add_co_u32_e32 v45, vcc, s10, v14
	v_addc_co_u32_e32 v46, vcc, v44, v15, vcc
	global_load_ushort v51, v[45:46], off
	v_mov_b32_e32 v44, s9
	v_add_co_u32_e32 v47, vcc, s8, v14
	v_addc_co_u32_e32 v48, vcc, v44, v15, vcc
	global_load_ushort v52, v[47:48], off
	;; [unrolled: 4-line block ×3, first 2 shown]
	v_add_co_u32_e32 v47, vcc, s36, v47
	v_addc_co_u32_e32 v48, vcc, v48, v44, vcc
	global_load_ushort v54, v[47:48], off
	v_add_co_u32_e32 v49, vcc, s36, v45
	v_addc_co_u32_e32 v50, vcc, v46, v44, vcc
	v_add_co_u32_e32 v45, vcc, s36, v47
	v_addc_co_u32_e32 v46, vcc, v48, v44, vcc
	;; [unrolled: 2-line block ×3, first 2 shown]
	global_load_ushort v55, v[49:50], off
	v_add_co_u32_e32 v49, vcc, s36, v45
	v_addc_co_u32_e32 v50, vcc, v46, v44, vcc
	global_load_ushort v46, v[45:46], off
	s_add_u32 s24, s24, s28
	s_addc_u32 s25, s25, 0
	v_add_co_u32_e64 v14, s[4:5], s34, v14
	s_waitcnt vmcnt(5)
	v_cvt_f32_f16_e32 v45, v51
	ds_bpermute_b32 v51, v7, v43
	s_waitcnt lgkmcnt(0)
	v_sub_f32_e32 v45, v45, v51
	s_waitcnt vmcnt(4)
	v_cvt_f32_f16_e32 v51, v52
	v_add_f32_e32 v6, v6, v51
	v_mul_f32_e32 v45, v45, v51
	ds_bpermute_b32 v51, v7, v42
	s_waitcnt lgkmcnt(0)
	v_fmac_f32_e32 v41, v45, v51
	v_add_co_u32_e32 v51, vcc, s36, v47
	ds_bpermute_b32 v45, v8, v43
	v_addc_co_u32_e32 v52, vcc, v48, v44, vcc
	global_load_ushort v47, v[47:48], off
	s_waitcnt vmcnt(4)
	v_cvt_f32_f16_e32 v48, v53
	ds_bpermute_b32 v53, v8, v42
	s_waitcnt lgkmcnt(1)
	v_sub_f32_e32 v48, v48, v45
	s_waitcnt vmcnt(3)
	v_cvt_f32_f16_e32 v45, v54
	v_mul_f32_e32 v48, v48, v45
	s_waitcnt lgkmcnt(0)
	v_fmac_f32_e32 v41, v48, v53
	global_load_ushort v48, v[49:50], off
	v_add_co_u32_e32 v53, vcc, s36, v49
	ds_bpermute_b32 v49, v9, v43
	v_addc_co_u32_e32 v54, vcc, v50, v44, vcc
	s_waitcnt vmcnt(3)
	v_cvt_f32_f16_e32 v50, v55
	s_waitcnt vmcnt(2)
	v_cvt_f32_f16_e32 v46, v46
	global_load_ushort v55, v[51:52], off
	v_add_f32_e32 v6, v6, v45
	s_waitcnt lgkmcnt(0)
	v_sub_f32_e32 v49, v50, v49
	ds_bpermute_b32 v50, v9, v42
	v_mul_f32_e32 v49, v49, v46
	v_add_f32_e32 v6, v6, v46
	s_waitcnt lgkmcnt(0)
	v_fmac_f32_e32 v41, v49, v50
	v_add_co_u32_e32 v49, vcc, s36, v51
	ds_bpermute_b32 v51, v10, v43
	v_addc_co_u32_e32 v50, vcc, v52, v44, vcc
	ds_bpermute_b32 v52, v10, v42
	s_waitcnt vmcnt(2)
	v_cvt_f32_f16_e32 v47, v47
	s_waitcnt lgkmcnt(1)
	v_sub_f32_e32 v51, v47, v51
	s_waitcnt vmcnt(1)
	v_cvt_f32_f16_e32 v47, v48
	v_mul_f32_e32 v48, v51, v47
	s_waitcnt lgkmcnt(0)
	v_fmac_f32_e32 v41, v48, v52
	global_load_ushort v48, v[53:54], off
	v_add_co_u32_e32 v51, vcc, s36, v53
	ds_bpermute_b32 v53, v11, v43
	v_addc_co_u32_e32 v52, vcc, v54, v44, vcc
	s_waitcnt vmcnt(1)
	v_cvt_f32_f16_e32 v54, v55
	v_add_f32_e32 v6, v6, v47
	s_waitcnt lgkmcnt(0)
	v_sub_f32_e32 v53, v54, v53
	ds_bpermute_b32 v54, v11, v42
	s_waitcnt vmcnt(0)
	v_cvt_f32_f16_e32 v48, v48
	v_mul_f32_e32 v53, v53, v48
	s_waitcnt lgkmcnt(0)
	v_fmac_f32_e32 v41, v53, v54
	v_add_co_u32_e32 v53, vcc, s36, v49
	global_load_ushort v49, v[49:50], off
	v_addc_co_u32_e32 v54, vcc, v50, v44, vcc
	global_load_ushort v50, v[51:52], off
	v_add_co_u32_e32 v55, vcc, s36, v51
	ds_bpermute_b32 v51, v12, v43
	v_addc_co_u32_e32 v56, vcc, v52, v44, vcc
	v_add_f32_e32 v6, v6, v48
	s_waitcnt vmcnt(1)
	v_cvt_f32_f16_e32 v49, v49
	s_waitcnt lgkmcnt(0)
	v_sub_f32_e32 v51, v49, v51
	s_waitcnt vmcnt(0)
	v_cvt_f32_f16_e32 v49, v50
	v_mul_f32_e32 v50, v51, v49
	ds_bpermute_b32 v51, v12, v42
	v_add_f32_e32 v6, v6, v49
	s_waitcnt lgkmcnt(0)
	v_fmac_f32_e32 v41, v50, v51
	global_load_ushort v50, v[53:54], off
	v_add_co_u32_e32 v51, vcc, s36, v53
	v_addc_co_u32_e32 v52, vcc, v54, v44, vcc
	v_add_co_u32_e32 v53, vcc, s36, v55
	global_load_ushort v55, v[55:56], off
	v_addc_co_u32_e32 v54, vcc, v56, v44, vcc
	ds_bpermute_b32 v56, v13, v43
	s_waitcnt vmcnt(1)
	v_cvt_f32_f16_e32 v50, v50
	s_waitcnt lgkmcnt(0)
	v_sub_f32_e32 v56, v50, v56
	s_waitcnt vmcnt(0)
	v_cvt_f32_f16_e32 v50, v55
	v_mul_f32_e32 v55, v56, v50
	ds_bpermute_b32 v56, v13, v42
	v_add_f32_e32 v6, v6, v50
	s_waitcnt lgkmcnt(0)
	v_fmac_f32_e32 v41, v55, v56
	v_add_co_u32_e32 v55, vcc, s36, v51
	global_load_ushort v51, v[51:52], off
	v_addc_co_u32_e32 v56, vcc, v52, v44, vcc
	global_load_ushort v52, v[53:54], off
	v_add_co_u32_e32 v57, vcc, s36, v53
	ds_bpermute_b32 v53, v16, v43
	v_addc_co_u32_e32 v58, vcc, v54, v44, vcc
	s_waitcnt vmcnt(1)
	v_cvt_f32_f16_e32 v51, v51
	s_waitcnt lgkmcnt(0)
	v_sub_f32_e32 v53, v51, v53
	s_waitcnt vmcnt(0)
	v_cvt_f32_f16_e32 v51, v52
	v_mul_f32_e32 v52, v53, v51
	ds_bpermute_b32 v53, v16, v42
	v_add_f32_e32 v6, v6, v51
	s_waitcnt lgkmcnt(0)
	v_fmac_f32_e32 v41, v52, v53
	global_load_ushort v52, v[55:56], off
	v_add_co_u32_e32 v53, vcc, s36, v55
	v_addc_co_u32_e32 v54, vcc, v56, v44, vcc
	v_add_co_u32_e32 v55, vcc, s36, v57
	global_load_ushort v57, v[57:58], off
	v_addc_co_u32_e32 v56, vcc, v58, v44, vcc
	ds_bpermute_b32 v58, v17, v43
	s_waitcnt vmcnt(1)
	v_cvt_f32_f16_e32 v52, v52
	s_waitcnt lgkmcnt(0)
	v_sub_f32_e32 v58, v52, v58
	s_waitcnt vmcnt(0)
	v_cvt_f32_f16_e32 v52, v57
	v_mul_f32_e32 v57, v58, v52
	ds_bpermute_b32 v58, v17, v42
	v_add_f32_e32 v6, v6, v52
	s_waitcnt lgkmcnt(0)
	v_fmac_f32_e32 v41, v57, v58
	v_add_co_u32_e32 v57, vcc, s36, v53
	global_load_ushort v53, v[53:54], off
	v_addc_co_u32_e32 v58, vcc, v54, v44, vcc
	global_load_ushort v54, v[55:56], off
	v_add_co_u32_e32 v59, vcc, s36, v55
	ds_bpermute_b32 v55, v18, v43
	v_addc_co_u32_e32 v60, vcc, v56, v44, vcc
	;; [unrolled: 36-line block ×6, first 2 shown]
	s_waitcnt vmcnt(1)
	v_cvt_f32_f16_e32 v61, v61
	s_waitcnt lgkmcnt(0)
	v_sub_f32_e32 v63, v61, v63
	s_waitcnt vmcnt(0)
	v_cvt_f32_f16_e32 v61, v62
	v_mul_f32_e32 v62, v63, v61
	ds_bpermute_b32 v63, v26, v42
	v_add_f32_e32 v6, v6, v61
	s_waitcnt lgkmcnt(0)
	v_fmac_f32_e32 v41, v62, v63
	v_add_co_u32_e32 v62, vcc, s36, v65
	v_addc_co_u32_e32 v63, vcc, v66, v44, vcc
	global_load_ushort v66, v[65:66], off
	v_add_co_u32_e32 v64, vcc, s36, v67
	global_load_ushort v67, v[67:68], off
	v_addc_co_u32_e32 v65, vcc, v68, v44, vcc
	ds_bpermute_b32 v68, v27, v43
	global_load_ushort v69, v[62:63], off
	s_waitcnt vmcnt(2)
	v_cvt_f32_f16_e32 v66, v66
	s_waitcnt lgkmcnt(0)
	v_sub_f32_e32 v66, v66, v68
	s_waitcnt vmcnt(1)
	v_cvt_f32_f16_e32 v68, v67
	ds_bpermute_b32 v67, v27, v42
	v_mul_f32_e32 v66, v66, v68
	v_add_f32_e32 v6, v6, v68
	s_waitcnt lgkmcnt(0)
	v_fmac_f32_e32 v41, v66, v67
	v_add_co_u32_e32 v66, vcc, s36, v62
	v_addc_co_u32_e32 v67, vcc, v63, v44, vcc
	v_add_co_u32_e32 v62, vcc, s36, v64
	global_load_ushort v64, v[64:65], off
	v_addc_co_u32_e32 v63, vcc, v65, v44, vcc
	s_waitcnt vmcnt(1)
	v_cvt_f32_f16_e32 v65, v69
	ds_bpermute_b32 v69, v28, v43
	global_load_ushort v70, v[66:67], off
	s_waitcnt lgkmcnt(0)
	v_sub_f32_e32 v65, v65, v69
	s_waitcnt vmcnt(1)
	v_cvt_f32_f16_e32 v69, v64
	v_mul_f32_e32 v64, v65, v69
	ds_bpermute_b32 v65, v28, v42
	v_add_f32_e32 v6, v6, v69
	s_waitcnt lgkmcnt(0)
	v_fmac_f32_e32 v41, v64, v65
	v_add_co_u32_e32 v64, vcc, s36, v66
	v_addc_co_u32_e32 v65, vcc, v67, v44, vcc
	v_add_co_u32_e32 v66, vcc, s36, v62
	global_load_ushort v62, v[62:63], off
	v_addc_co_u32_e32 v67, vcc, v63, v44, vcc
	s_waitcnt vmcnt(1)
	v_cvt_f32_f16_e32 v63, v70
	ds_bpermute_b32 v70, v29, v43
	global_load_ushort v71, v[64:65], off
	s_waitcnt lgkmcnt(0)
	v_sub_f32_e32 v63, v63, v70
	s_waitcnt vmcnt(1)
	v_cvt_f32_f16_e32 v70, v62
	v_mul_f32_e32 v62, v63, v70
	ds_bpermute_b32 v63, v29, v42
	;; [unrolled: 18-line block ×11, first 2 shown]
	v_add_f32_e32 v6, v6, v79
	s_waitcnt lgkmcnt(0)
	v_fmac_f32_e32 v41, v62, v63
	v_add_co_u32_e32 v62, vcc, s36, v64
	v_addc_co_u32_e32 v63, vcc, v65, v44, vcc
	v_add_co_u32_e32 v64, vcc, s36, v66
	v_addc_co_u32_e32 v65, vcc, v67, v44, vcc
	global_load_ushort v44, v[66:67], off
	ds_bpermute_b32 v67, v39, v43
	s_waitcnt vmcnt(1)
	v_cvt_f32_f16_e32 v66, v80
	ds_bpermute_b32 v43, v40, v43
	v_add_co_u32_e32 v4, vcc, s30, v4
	s_waitcnt lgkmcnt(1)
	v_sub_f32_e32 v66, v66, v67
	ds_bpermute_b32 v67, v39, v42
	ds_bpermute_b32 v42, v40, v42
	s_waitcnt vmcnt(0)
	v_cvt_f32_f16_e32 v44, v44
	v_mul_f32_e32 v66, v66, v44
	s_waitcnt lgkmcnt(1)
	v_fmac_f32_e32 v41, v66, v67
	global_load_ushort v66, v[64:65], off
	global_load_ushort v67, v[62:63], off
	v_add_f32_e32 v6, v6, v44
	v_mov_b32_e32 v44, s35
	v_addc_co_u32_e64 v15, s[4:5], v15, v44, s[4:5]
	s_waitcnt vmcnt(1)
	v_cvt_f32_f16_e32 v45, v66
	s_waitcnt vmcnt(0)
	v_cvt_f32_f16_e32 v46, v67
	v_add_f32_e32 v6, v6, v45
	v_sub_f32_e32 v43, v46, v43
	v_mul_f32_e32 v43, v43, v45
	s_waitcnt lgkmcnt(0)
	v_fmac_f32_e32 v41, v43, v42
	v_mov_b32_e32 v42, s31
	v_addc_co_u32_e32 v5, vcc, v5, v42, vcc
	v_add_co_u32_e32 v2, vcc, s28, v2
	v_mov_b32_e32 v43, s17
	v_addc_co_u32_e32 v3, vcc, 0, v3, vcc
	v_mov_b32_e32 v42, s16
	v_cmp_lt_i64_e32 vcc, s[24:25], v[42:43]
	s_cbranch_vccz .LBB73_10
.LBB73_7:                               ; =>This Inner Loop Header: Depth=1
	v_mov_b32_e32 v42, 0
	v_mov_b32_e32 v43, 0
	s_and_saveexec_b64 s[4:5], s[0:1]
	s_cbranch_execz .LBB73_6
; %bb.8:                                ;   in Loop: Header=BB73_7 Depth=1
	v_cmp_gt_i64_e32 vcc, s[16:17], v[2:3]
	v_mov_b32_e32 v43, 0
	v_mov_b32_e32 v42, 0
	s_and_saveexec_b64 s[38:39], vcc
	s_cbranch_execz .LBB73_5
; %bb.9:                                ;   in Loop: Header=BB73_7 Depth=1
	v_mov_b32_e32 v42, s15
	v_add_co_u32_e32 v44, vcc, s14, v4
	v_addc_co_u32_e32 v45, vcc, v42, v5, vcc
	v_mov_b32_e32 v42, s13
	v_add_co_u32_e32 v46, vcc, s12, v4
	v_addc_co_u32_e32 v47, vcc, v42, v5, vcc
	global_load_dword v43, v[46:47], off
	global_load_dword v42, v[44:45], off
	s_branch .LBB73_5
.LBB73_10:
	v_cvt_f16_f32_e32 v5, v41
	v_cvt_f16_f32_e32 v4, v6
.LBB73_11:
	s_load_dword s0, s[26:27], 0xc
	v_mov_b32_e32 v2, 0
	v_mov_b32_e32 v3, s2
	s_mov_b32 s7, 0
	s_waitcnt lgkmcnt(0)
	s_lshr_b32 s0, s0, 16
	v_mad_u64_u32 v[2:3], s[0:1], s0, v3, v[1:2]
	s_lshl_b64 s[0:1], s[6:7], 6
	v_or_b32_e32 v0, s0, v0
	v_mul_lo_u32 v3, v3, s18
	v_mul_lo_u32 v6, v2, s19
	v_mov_b32_e32 v1, s1
	v_lshlrev_b64 v[0:1], 1, v[0:1]
	s_cmp_eq_u64 s[20:21], 0
	s_cbranch_scc1 .LBB73_13
; %bb.12:
	v_mad_u64_u32 v[7:8], s[0:1], v2, s18, 0
	v_mov_b32_e32 v9, s21
	v_add3_u32 v8, v8, v6, v3
	v_lshlrev_b64 v[7:8], 1, v[7:8]
	v_add_co_u32_e32 v7, vcc, s20, v7
	v_addc_co_u32_e32 v8, vcc, v9, v8, vcc
	v_add_co_u32_e32 v7, vcc, v7, v0
	v_addc_co_u32_e32 v8, vcc, v8, v1, vcc
	global_store_short v[7:8], v5, off
.LBB73_13:
	s_cmp_eq_u64 s[22:23], 0
	s_cbranch_scc1 .LBB73_15
; %bb.14:
	v_mad_u64_u32 v[7:8], s[0:1], v2, s18, 0
	v_mov_b32_e32 v5, s23
	v_add3_u32 v8, v8, v6, v3
	v_lshlrev_b64 v[2:3], 1, v[7:8]
	v_add_co_u32_e32 v2, vcc, s22, v2
	v_addc_co_u32_e32 v3, vcc, v5, v3, vcc
	v_add_co_u32_e32 v0, vcc, v2, v0
	v_addc_co_u32_e32 v1, vcc, v3, v1, vcc
	global_store_short v[0:1], v4, off
.LBB73_15:
	s_endpgm
	.section	.rodata,"a",@progbits
	.p2align	6, 0x0
	.amdhsa_kernel _ZN2at6native12_GLOBAL__N_135GammaBetaBackwardCUDAKernelTemplateIN3c104HalfEfLj64ELj1ELj32ELb1ELb1ELb0EEEvllPKT_S7_PKT0_SA_PS5_SB_
		.amdhsa_group_segment_fixed_size 0
		.amdhsa_private_segment_fixed_size 0
		.amdhsa_kernarg_size 320
		.amdhsa_user_sgpr_count 6
		.amdhsa_user_sgpr_private_segment_buffer 1
		.amdhsa_user_sgpr_dispatch_ptr 0
		.amdhsa_user_sgpr_queue_ptr 0
		.amdhsa_user_sgpr_kernarg_segment_ptr 1
		.amdhsa_user_sgpr_dispatch_id 0
		.amdhsa_user_sgpr_flat_scratch_init 0
		.amdhsa_user_sgpr_private_segment_size 0
		.amdhsa_uses_dynamic_stack 0
		.amdhsa_system_sgpr_private_segment_wavefront_offset 0
		.amdhsa_system_sgpr_workgroup_id_x 1
		.amdhsa_system_sgpr_workgroup_id_y 1
		.amdhsa_system_sgpr_workgroup_id_z 0
		.amdhsa_system_sgpr_workgroup_info 0
		.amdhsa_system_vgpr_workitem_id 1
		.amdhsa_next_free_vgpr 81
		.amdhsa_next_free_sgpr 40
		.amdhsa_reserve_vcc 1
		.amdhsa_reserve_flat_scratch 0
		.amdhsa_float_round_mode_32 0
		.amdhsa_float_round_mode_16_64 0
		.amdhsa_float_denorm_mode_32 3
		.amdhsa_float_denorm_mode_16_64 3
		.amdhsa_dx10_clamp 1
		.amdhsa_ieee_mode 1
		.amdhsa_fp16_overflow 0
		.amdhsa_exception_fp_ieee_invalid_op 0
		.amdhsa_exception_fp_denorm_src 0
		.amdhsa_exception_fp_ieee_div_zero 0
		.amdhsa_exception_fp_ieee_overflow 0
		.amdhsa_exception_fp_ieee_underflow 0
		.amdhsa_exception_fp_ieee_inexact 0
		.amdhsa_exception_int_div_zero 0
	.end_amdhsa_kernel
	.section	.text._ZN2at6native12_GLOBAL__N_135GammaBetaBackwardCUDAKernelTemplateIN3c104HalfEfLj64ELj1ELj32ELb1ELb1ELb0EEEvllPKT_S7_PKT0_SA_PS5_SB_,"axG",@progbits,_ZN2at6native12_GLOBAL__N_135GammaBetaBackwardCUDAKernelTemplateIN3c104HalfEfLj64ELj1ELj32ELb1ELb1ELb0EEEvllPKT_S7_PKT0_SA_PS5_SB_,comdat
.Lfunc_end73:
	.size	_ZN2at6native12_GLOBAL__N_135GammaBetaBackwardCUDAKernelTemplateIN3c104HalfEfLj64ELj1ELj32ELb1ELb1ELb0EEEvllPKT_S7_PKT0_SA_PS5_SB_, .Lfunc_end73-_ZN2at6native12_GLOBAL__N_135GammaBetaBackwardCUDAKernelTemplateIN3c104HalfEfLj64ELj1ELj32ELb1ELb1ELb0EEEvllPKT_S7_PKT0_SA_PS5_SB_
                                        ; -- End function
	.set _ZN2at6native12_GLOBAL__N_135GammaBetaBackwardCUDAKernelTemplateIN3c104HalfEfLj64ELj1ELj32ELb1ELb1ELb0EEEvllPKT_S7_PKT0_SA_PS5_SB_.num_vgpr, 81
	.set _ZN2at6native12_GLOBAL__N_135GammaBetaBackwardCUDAKernelTemplateIN3c104HalfEfLj64ELj1ELj32ELb1ELb1ELb0EEEvllPKT_S7_PKT0_SA_PS5_SB_.num_agpr, 0
	.set _ZN2at6native12_GLOBAL__N_135GammaBetaBackwardCUDAKernelTemplateIN3c104HalfEfLj64ELj1ELj32ELb1ELb1ELb0EEEvllPKT_S7_PKT0_SA_PS5_SB_.numbered_sgpr, 40
	.set _ZN2at6native12_GLOBAL__N_135GammaBetaBackwardCUDAKernelTemplateIN3c104HalfEfLj64ELj1ELj32ELb1ELb1ELb0EEEvllPKT_S7_PKT0_SA_PS5_SB_.num_named_barrier, 0
	.set _ZN2at6native12_GLOBAL__N_135GammaBetaBackwardCUDAKernelTemplateIN3c104HalfEfLj64ELj1ELj32ELb1ELb1ELb0EEEvllPKT_S7_PKT0_SA_PS5_SB_.private_seg_size, 0
	.set _ZN2at6native12_GLOBAL__N_135GammaBetaBackwardCUDAKernelTemplateIN3c104HalfEfLj64ELj1ELj32ELb1ELb1ELb0EEEvllPKT_S7_PKT0_SA_PS5_SB_.uses_vcc, 1
	.set _ZN2at6native12_GLOBAL__N_135GammaBetaBackwardCUDAKernelTemplateIN3c104HalfEfLj64ELj1ELj32ELb1ELb1ELb0EEEvllPKT_S7_PKT0_SA_PS5_SB_.uses_flat_scratch, 0
	.set _ZN2at6native12_GLOBAL__N_135GammaBetaBackwardCUDAKernelTemplateIN3c104HalfEfLj64ELj1ELj32ELb1ELb1ELb0EEEvllPKT_S7_PKT0_SA_PS5_SB_.has_dyn_sized_stack, 0
	.set _ZN2at6native12_GLOBAL__N_135GammaBetaBackwardCUDAKernelTemplateIN3c104HalfEfLj64ELj1ELj32ELb1ELb1ELb0EEEvllPKT_S7_PKT0_SA_PS5_SB_.has_recursion, 0
	.set _ZN2at6native12_GLOBAL__N_135GammaBetaBackwardCUDAKernelTemplateIN3c104HalfEfLj64ELj1ELj32ELb1ELb1ELb0EEEvllPKT_S7_PKT0_SA_PS5_SB_.has_indirect_call, 0
	.section	.AMDGPU.csdata,"",@progbits
; Kernel info:
; codeLenInByte = 3684
; TotalNumSgprs: 44
; NumVgprs: 81
; ScratchSize: 0
; MemoryBound: 0
; FloatMode: 240
; IeeeMode: 1
; LDSByteSize: 0 bytes/workgroup (compile time only)
; SGPRBlocks: 5
; VGPRBlocks: 20
; NumSGPRsForWavesPerEU: 44
; NumVGPRsForWavesPerEU: 81
; Occupancy: 3
; WaveLimiterHint : 0
; COMPUTE_PGM_RSRC2:SCRATCH_EN: 0
; COMPUTE_PGM_RSRC2:USER_SGPR: 6
; COMPUTE_PGM_RSRC2:TRAP_HANDLER: 0
; COMPUTE_PGM_RSRC2:TGID_X_EN: 1
; COMPUTE_PGM_RSRC2:TGID_Y_EN: 1
; COMPUTE_PGM_RSRC2:TGID_Z_EN: 0
; COMPUTE_PGM_RSRC2:TIDIG_COMP_CNT: 1
	.section	.text._ZN2at6native12_GLOBAL__N_135GammaBetaBackwardCUDAKernelTemplateIN3c104HalfEfLj64ELj1ELj32ELb1ELb0ELb0EEEvllPKT_S7_PKT0_SA_PS5_SB_,"axG",@progbits,_ZN2at6native12_GLOBAL__N_135GammaBetaBackwardCUDAKernelTemplateIN3c104HalfEfLj64ELj1ELj32ELb1ELb0ELb0EEEvllPKT_S7_PKT0_SA_PS5_SB_,comdat
	.globl	_ZN2at6native12_GLOBAL__N_135GammaBetaBackwardCUDAKernelTemplateIN3c104HalfEfLj64ELj1ELj32ELb1ELb0ELb0EEEvllPKT_S7_PKT0_SA_PS5_SB_ ; -- Begin function _ZN2at6native12_GLOBAL__N_135GammaBetaBackwardCUDAKernelTemplateIN3c104HalfEfLj64ELj1ELj32ELb1ELb0ELb0EEEvllPKT_S7_PKT0_SA_PS5_SB_
	.p2align	8
	.type	_ZN2at6native12_GLOBAL__N_135GammaBetaBackwardCUDAKernelTemplateIN3c104HalfEfLj64ELj1ELj32ELb1ELb0ELb0EEEvllPKT_S7_PKT0_SA_PS5_SB_,@function
_ZN2at6native12_GLOBAL__N_135GammaBetaBackwardCUDAKernelTemplateIN3c104HalfEfLj64ELj1ELj32ELb1ELb0ELb0EEEvllPKT_S7_PKT0_SA_PS5_SB_: ; @_ZN2at6native12_GLOBAL__N_135GammaBetaBackwardCUDAKernelTemplateIN3c104HalfEfLj64ELj1ELj32ELb1ELb0ELb0EEEvllPKT_S7_PKT0_SA_PS5_SB_
; %bb.0:
	s_mov_b64 s[42:43], s[2:3]
	s_mov_b64 s[40:41], s[0:1]
	s_add_u32 s40, s40, s8
	s_mov_b32 s8, s7
	s_load_dwordx8 s[12:19], s[4:5], 0x0
	s_load_dwordx4 s[20:23], s[4:5], 0x20
	s_addc_u32 s41, s41, 0
	s_lshl_b32 s24, s8, 5
	s_lshl_b32 s7, s6, 6
	s_mov_b32 s25, 0
	v_mov_b32_e32 v2, s24
	s_or_b32 s0, s7, 63
	v_mov_b32_e32 v3, s25
	v_mov_b32_e32 v129, s0
	;; [unrolled: 1-line block ×3, first 2 shown]
	s_waitcnt lgkmcnt(0)
	v_cmp_gt_i64_e64 s[0:1], s[12:13], v[2:3]
	v_cmp_le_i64_e32 vcc, s[14:15], v[129:130]
	v_cndmask_b32_e64 v2, 0, 1, s[0:1]
	v_cmp_ne_u32_e64 s[0:1], 1, v2
	s_cbranch_vccz .LBB74_145
; %bb.1:
	s_and_b64 vcc, exec, s[0:1]
	v_mov_b32_e32 v133, 0
	s_cbranch_vccnz .LBB74_146
; %bb.2:
	v_lshlrev_b32_e32 v210, 5, v1
	v_add_co_u32_e32 v8, vcc, s24, v210
	v_addc_co_u32_e64 v9, s[2:3], 0, 0, vcc
	v_mul_lo_u32 v10, s15, v8
	v_mul_lo_u32 v11, s14, v9
	v_mad_u64_u32 v[6:7], s[2:3], s14, v8, 0
	s_load_dword s9, s[4:5], 0x44
	v_add_u32_e32 v2, s7, v0
	v_add3_u32 v7, v7, v11, v10
	v_lshlrev_b64 v[11:12], 1, v[6:7]
	v_mov_b32_e32 v3, 0
	s_add_u32 s26, s4, 64
	v_cmp_gt_i64_e64 s[2:3], s[14:15], v[2:3]
	v_lshlrev_b64 v[4:5], 1, v[2:3]
	v_mov_b32_e32 v10, s17
	v_add_co_u32_e32 v2, vcc, s16, v11
	s_addc_u32 s27, s5, 0
	s_waitcnt lgkmcnt(0)
	s_lshl_b32 s9, s9, 5
	v_addc_co_u32_e32 v10, vcc, v10, v12, vcc
	s_mul_i32 s10, s15, s9
	s_mul_hi_u32 s11, s14, s9
	v_add_co_u32_e32 v13, vcc, 31, v8
	s_add_i32 s11, s11, s10
	s_mul_i32 s10, s14, s9
	v_addc_co_u32_e32 v14, vcc, 0, v9, vcc
	s_lshl_b64 s[28:29], s[10:11], 1
	v_mul_lo_u32 v16, s15, v13
	v_mul_lo_u32 v17, s14, v14
	v_mad_u64_u32 v[13:14], s[10:11], s14, v13, 0
	v_mov_b32_e32 v15, s19
	v_add_co_u32_e32 v11, vcc, s18, v11
	v_add3_u32 v14, v14, v17, v16
	v_addc_co_u32_e32 v12, vcc, v15, v12, vcc
	v_lshlrev_b64 v[15:16], 1, v[13:14]
	v_mov_b32_e32 v14, s17
	v_add_co_u32_e32 v13, vcc, s16, v15
	v_addc_co_u32_e32 v14, vcc, v14, v16, vcc
	v_add_co_u32_e32 v17, vcc, 30, v8
	v_addc_co_u32_e32 v18, vcc, 0, v9, vcc
	v_mul_lo_u32 v20, s15, v17
	v_mul_lo_u32 v21, s14, v18
	v_mad_u64_u32 v[17:18], s[10:11], s14, v17, 0
	v_mov_b32_e32 v19, s19
	v_add_co_u32_e32 v15, vcc, s18, v15
	v_add3_u32 v18, v18, v21, v20
	v_addc_co_u32_e32 v16, vcc, v19, v16, vcc
	v_lshlrev_b64 v[19:20], 1, v[17:18]
	v_mov_b32_e32 v18, s17
	v_add_co_u32_e32 v17, vcc, s16, v19
	v_addc_co_u32_e32 v18, vcc, v18, v20, vcc
	v_add_co_u32_e32 v21, vcc, 29, v8
	v_addc_co_u32_e32 v22, vcc, 0, v9, vcc
	;; [unrolled: 13-line block ×29, first 2 shown]
	v_mul_lo_u32 v130, s15, v8
	v_mul_lo_u32 v131, s14, v9
	v_mad_u64_u32 v[8:9], s[10:11], s14, v8, 0
	v_mov_b32_e32 v129, s19
	v_add_co_u32_e32 v127, vcc, s18, v127
	v_add3_u32 v9, v9, v131, v130
	v_lshlrev_b64 v[8:9], 1, v[8:9]
	v_addc_co_u32_e32 v128, vcc, v129, v128, vcc
	v_mov_b32_e32 v130, s17
	v_add_co_u32_e32 v129, vcc, s16, v8
	v_addc_co_u32_e32 v131, vcc, v130, v9, vcc
	v_mov_b32_e32 v130, s19
	v_add_co_u32_e32 v132, vcc, s18, v8
	;; [unrolled: 3-line block ×3, first 2 shown]
	v_addc_co_u32_e32 v7, vcc, v7, v8, vcc
	v_lshlrev_b64 v[6:7], 1, v[6:7]
	v_mov_b32_e32 v8, s17
	v_add_co_u32_e32 v135, vcc, s16, v6
	v_addc_co_u32_e32 v136, vcc, v8, v7, vcc
	v_add_co_u32_e32 v137, vcc, s18, v6
	v_mbcnt_lo_u32_b32 v6, -1, 0
	v_mbcnt_hi_u32_b32 v6, -1, v6
	v_mov_b32_e32 v8, s19
	v_lshlrev_b32_e32 v6, 2, v6
	v_mov_b32_e32 v209, v3
	s_mov_b64 s[30:31], 31
	v_addc_co_u32_e32 v138, vcc, v8, v7, vcc
	v_and_b32_e32 v139, 0x100, v6
	v_mov_b32_e32 v133, 0
	v_mov_b32_e32 v140, 0
	s_mov_b64 s[34:35], s[24:25]
.LBB74_3:                               ; =>This Inner Loop Header: Depth=1
	s_add_u32 s10, s24, s30
	v_mov_b32_e32 v6, s12
	s_addc_u32 s11, 0, s31
	v_mov_b32_e32 v7, s13
	v_cmp_ge_i64_e32 vcc, s[10:11], v[6:7]
	v_add_co_u32_e64 v6, s[10:11], s24, v210
	v_addc_co_u32_e64 v7, s[10:11], 0, v209, s[10:11]
	s_mov_b64 s[10:11], -1
	s_and_b64 vcc, exec, vcc
                                        ; implicit-def: $vgpr8
                                        ; implicit-def: $vgpr165
                                        ; implicit-def: $vgpr169
                                        ; implicit-def: $vgpr9
                                        ; implicit-def: $vgpr130
                                        ; implicit-def: $vgpr141
	s_cbranch_vccz .LBB74_73
; %bb.4:                                ;   in Loop: Header=BB74_3 Depth=1
	s_load_dword s10, s[26:27], 0xc
	v_mov_b32_e32 v130, 0
	v_mov_b32_e32 v141, 0
	;; [unrolled: 1-line block ×3, first 2 shown]
	s_waitcnt lgkmcnt(0)
	s_and_b32 s10, s10, 0xffff
	v_mad_u32_u24 v8, v1, s10, v0
	v_and_b32_e32 v8, 63, v8
	v_cmp_gt_u32_e32 vcc, 32, v8
	s_and_saveexec_b64 s[10:11], vcc
	s_cbranch_execz .LBB74_8
; %bb.5:                                ;   in Loop: Header=BB74_3 Depth=1
	v_add_co_u32_e32 v8, vcc, v6, v8
	v_addc_co_u32_e32 v9, vcc, 0, v7, vcc
	v_cmp_gt_i64_e32 vcc, s[12:13], v[8:9]
	v_mov_b32_e32 v142, 0
	v_mov_b32_e32 v141, 0
	s_and_saveexec_b64 s[36:37], vcc
	s_cbranch_execz .LBB74_7
; %bb.6:                                ;   in Loop: Header=BB74_3 Depth=1
	v_lshlrev_b64 v[8:9], 2, v[8:9]
	v_mov_b32_e32 v141, s23
	v_add_co_u32_e32 v143, vcc, s22, v8
	v_addc_co_u32_e32 v144, vcc, v141, v9, vcc
	v_mov_b32_e32 v141, s21
	v_add_co_u32_e32 v8, vcc, s20, v8
	v_addc_co_u32_e32 v9, vcc, v141, v9, vcc
	global_load_dword v142, v[8:9], off
	global_load_dword v141, v[143:144], off
.LBB74_7:                               ;   in Loop: Header=BB74_3 Depth=1
	s_or_b64 exec, exec, s[36:37]
.LBB74_8:                               ;   in Loop: Header=BB74_3 Depth=1
	s_or_b64 exec, exec, s[10:11]
	v_cmp_gt_i64_e32 vcc, s[12:13], v[6:7]
	v_mov_b32_e32 v8, 0
	s_and_b64 s[36:37], s[2:3], vcc
	s_and_saveexec_b64 s[10:11], s[36:37]
	s_cbranch_execz .LBB74_10
; %bb.9:                                ;   in Loop: Header=BB74_3 Depth=1
	v_add_co_u32_e32 v8, vcc, v2, v4
	v_addc_co_u32_e32 v9, vcc, v10, v5, vcc
	global_load_ushort v130, v[8:9], off
	v_add_co_u32_e32 v8, vcc, v11, v4
	v_addc_co_u32_e32 v9, vcc, v12, v5, vcc
	global_load_ushort v8, v[8:9], off
	s_waitcnt vmcnt(1)
	v_cvt_f32_f16_e32 v130, v130
	s_waitcnt vmcnt(0)
	v_cvt_f32_f16_e32 v8, v8
.LBB74_10:                              ;   in Loop: Header=BB74_3 Depth=1
	s_or_b64 exec, exec, s[10:11]
	v_add_co_u32_e32 v143, vcc, 1, v6
	v_addc_co_u32_e32 v144, vcc, 0, v7, vcc
	v_cmp_gt_i64_e32 vcc, s[12:13], v[143:144]
	v_mov_b32_e32 v9, 0
	s_and_b64 s[36:37], s[2:3], vcc
	v_mov_b32_e32 v143, 0
	v_mov_b32_e32 v144, 0
	s_and_saveexec_b64 s[10:11], s[36:37]
	s_cbranch_execz .LBB74_12
; %bb.11:                               ;   in Loop: Header=BB74_3 Depth=1
	v_add_co_u32_e32 v143, vcc, v135, v4
	v_addc_co_u32_e32 v144, vcc, v136, v5, vcc
	global_load_ushort v145, v[143:144], off
	v_add_co_u32_e32 v143, vcc, v137, v4
	v_addc_co_u32_e32 v144, vcc, v138, v5, vcc
	global_load_ushort v144, v[143:144], off
	s_waitcnt vmcnt(1)
	v_cvt_f32_f16_e32 v143, v145
	s_waitcnt vmcnt(0)
	v_cvt_f32_f16_e32 v144, v144
.LBB74_12:                              ;   in Loop: Header=BB74_3 Depth=1
	s_or_b64 exec, exec, s[10:11]
	v_add_co_u32_e32 v145, vcc, 2, v6
	v_addc_co_u32_e32 v146, vcc, 0, v7, vcc
	v_cmp_gt_i64_e32 vcc, s[12:13], v[145:146]
	v_mov_b32_e32 v146, 0
	s_and_b64 s[36:37], s[2:3], vcc
	s_and_saveexec_b64 s[10:11], s[36:37]
	s_cbranch_execz .LBB74_14
; %bb.13:                               ;   in Loop: Header=BB74_3 Depth=1
	v_add_co_u32_e32 v145, vcc, v129, v4
	v_addc_co_u32_e32 v146, vcc, v131, v5, vcc
	global_load_ushort v9, v[145:146], off
	v_add_co_u32_e32 v145, vcc, v132, v4
	v_addc_co_u32_e32 v146, vcc, v134, v5, vcc
	global_load_ushort v145, v[145:146], off
	s_waitcnt vmcnt(1)
	v_cvt_f32_f16_e32 v9, v9
	s_waitcnt vmcnt(0)
	v_cvt_f32_f16_e32 v146, v145
.LBB74_14:                              ;   in Loop: Header=BB74_3 Depth=1
	s_or_b64 exec, exec, s[10:11]
	v_add_co_u32_e32 v147, vcc, 3, v6
	v_addc_co_u32_e32 v148, vcc, 0, v7, vcc
	v_cmp_gt_i64_e32 vcc, s[12:13], v[147:148]
	v_mov_b32_e32 v145, 0
	s_and_b64 s[36:37], s[2:3], vcc
	v_mov_b32_e32 v147, 0
	v_mov_b32_e32 v148, 0
	s_and_saveexec_b64 s[10:11], s[36:37]
	s_cbranch_execz .LBB74_16
; %bb.15:                               ;   in Loop: Header=BB74_3 Depth=1
	v_add_co_u32_e32 v147, vcc, v125, v4
	v_addc_co_u32_e32 v148, vcc, v126, v5, vcc
	global_load_ushort v149, v[147:148], off
	v_add_co_u32_e32 v147, vcc, v127, v4
	v_addc_co_u32_e32 v148, vcc, v128, v5, vcc
	global_load_ushort v148, v[147:148], off
	s_waitcnt vmcnt(1)
	v_cvt_f32_f16_e32 v147, v149
	s_waitcnt vmcnt(0)
	v_cvt_f32_f16_e32 v148, v148
.LBB74_16:                              ;   in Loop: Header=BB74_3 Depth=1
	s_or_b64 exec, exec, s[10:11]
	v_add_co_u32_e32 v149, vcc, 4, v6
	v_addc_co_u32_e32 v150, vcc, 0, v7, vcc
	v_cmp_gt_i64_e32 vcc, s[12:13], v[149:150]
	v_mov_b32_e32 v150, 0
	s_and_b64 s[36:37], s[2:3], vcc
	s_and_saveexec_b64 s[10:11], s[36:37]
	s_cbranch_execz .LBB74_18
; %bb.17:                               ;   in Loop: Header=BB74_3 Depth=1
	v_add_co_u32_e32 v149, vcc, v121, v4
	v_addc_co_u32_e32 v150, vcc, v122, v5, vcc
	global_load_ushort v145, v[149:150], off
	v_add_co_u32_e32 v149, vcc, v123, v4
	v_addc_co_u32_e32 v150, vcc, v124, v5, vcc
	global_load_ushort v149, v[149:150], off
	s_waitcnt vmcnt(1)
	v_cvt_f32_f16_e32 v145, v145
	s_waitcnt vmcnt(0)
	v_cvt_f32_f16_e32 v150, v149
.LBB74_18:                              ;   in Loop: Header=BB74_3 Depth=1
	;; [unrolled: 42-line block ×15, first 2 shown]
	s_or_b64 exec, exec, s[10:11]
	v_add_co_u32_e32 v204, vcc, 31, v6
	v_addc_co_u32_e32 v205, vcc, 0, v7, vcc
	v_cmp_gt_i64_e32 vcc, s[12:13], v[204:205]
	v_mov_b32_e32 v165, 0
	s_and_b64 s[36:37], s[2:3], vcc
	v_mov_b32_e32 v169, 0
	s_and_saveexec_b64 s[10:11], s[36:37]
	s_cbranch_execz .LBB74_72
; %bb.71:                               ;   in Loop: Header=BB74_3 Depth=1
	v_add_co_u32_e32 v204, vcc, v13, v4
	v_addc_co_u32_e32 v205, vcc, v14, v5, vcc
	global_load_ushort v165, v[204:205], off
	v_add_co_u32_e32 v204, vcc, v15, v4
	v_addc_co_u32_e32 v205, vcc, v16, v5, vcc
	global_load_ushort v169, v[204:205], off
	s_waitcnt vmcnt(1)
	v_cvt_f32_f16_e32 v165, v165
	s_waitcnt vmcnt(0)
	v_cvt_f32_f16_e32 v169, v169
.LBB74_72:                              ;   in Loop: Header=BB74_3 Depth=1
	s_or_b64 exec, exec, s[10:11]
	s_waitcnt vmcnt(1)
	ds_bpermute_b32 v204, v139, v142
	s_waitcnt vmcnt(0)
	ds_bpermute_b32 v205, v139, v141
	ds_bpermute_b32 v207, v139, v142 offset:4
	ds_bpermute_b32 v208, v139, v141 offset:4
	v_add_f32_e32 v206, v133, v130
	s_waitcnt lgkmcnt(3)
	v_sub_f32_e32 v8, v8, v204
	v_mul_f32_e32 v8, v130, v8
	s_waitcnt lgkmcnt(2)
	v_fma_f32 v130, v8, v205, v140
	s_waitcnt lgkmcnt(1)
	v_sub_f32_e32 v8, v144, v207
	ds_bpermute_b32 v144, v139, v142 offset:8
	v_mul_f32_e32 v8, v143, v8
	s_waitcnt lgkmcnt(1)
	v_fmac_f32_e32 v130, v8, v208
	ds_bpermute_b32 v8, v139, v141 offset:8
	v_add_f32_e32 v143, v206, v143
	s_waitcnt lgkmcnt(1)
	v_sub_f32_e32 v144, v146, v144
	ds_bpermute_b32 v146, v139, v142 offset:12
	v_mul_f32_e32 v144, v9, v144
	s_waitcnt lgkmcnt(1)
	v_fmac_f32_e32 v130, v144, v8
	ds_bpermute_b32 v8, v139, v141 offset:12
	ds_bpermute_b32 v144, v139, v142 offset:16
	v_add_f32_e32 v9, v143, v9
	s_waitcnt lgkmcnt(2)
	v_sub_f32_e32 v143, v148, v146
	v_mul_f32_e32 v143, v147, v143
	s_waitcnt lgkmcnt(1)
	v_fmac_f32_e32 v130, v143, v8
	ds_bpermute_b32 v8, v139, v141 offset:16
	s_waitcnt lgkmcnt(1)
	v_sub_f32_e32 v143, v150, v144
	ds_bpermute_b32 v144, v139, v142 offset:20
	v_mul_f32_e32 v143, v145, v143
	v_add_f32_e32 v9, v9, v147
	s_waitcnt lgkmcnt(1)
	v_fmac_f32_e32 v130, v143, v8
	ds_bpermute_b32 v8, v139, v141 offset:20
	s_waitcnt lgkmcnt(1)
	v_sub_f32_e32 v143, v152, v144
	ds_bpermute_b32 v144, v139, v142 offset:24
	v_mul_f32_e32 v143, v151, v143
	v_add_f32_e32 v9, v9, v145
	;; [unrolled: 8-line block ×25, first 2 shown]
	s_waitcnt lgkmcnt(1)
	v_fmac_f32_e32 v130, v143, v8
	ds_bpermute_b32 v8, v139, v141 offset:116
	s_waitcnt lgkmcnt(1)
	v_sub_f32_e32 v143, v202, v144
	ds_bpermute_b32 v144, v139, v142 offset:120
	v_add_f32_e32 v9, v9, v195
	v_mul_f32_e32 v143, v201, v143
	ds_bpermute_b32 v145, v139, v141 offset:120
	s_waitcnt lgkmcnt(2)
	v_fmac_f32_e32 v130, v143, v8
	v_add_f32_e32 v143, v9, v201
	ds_bpermute_b32 v8, v139, v141 offset:124
	ds_bpermute_b32 v9, v139, v142 offset:124
	s_waitcnt lgkmcnt(3)
	v_sub_f32_e32 v144, v203, v144
	v_mul_f32_e32 v141, v200, v144
	s_waitcnt lgkmcnt(2)
	v_fmac_f32_e32 v130, v141, v145
	v_add_f32_e32 v141, v143, v200
	s_mov_b64 s[10:11], 0
.LBB74_73:                              ;   in Loop: Header=BB74_3 Depth=1
	s_and_b64 vcc, exec, s[10:11]
	s_cbranch_vccz .LBB74_143
; %bb.74:                               ;   in Loop: Header=BB74_3 Depth=1
	s_load_dword s10, s[26:27], 0x0
	v_mov_b32_e32 v130, 0
	s_waitcnt lgkmcnt(0)
	v_mov_b32_e32 v8, 0
	s_cmp_lt_u32 s6, s10
	s_cselect_b32 s10, 12, 18
	s_add_u32 s10, s26, s10
	s_addc_u32 s11, s27, 0
	global_load_ushort v9, v3, s[10:11]
	s_waitcnt vmcnt(0)
	v_mad_u32_u24 v9, v1, v9, v0
	v_and_b32_e32 v141, 63, v9
	v_cmp_gt_u32_e32 vcc, 32, v141
	v_mov_b32_e32 v9, 0
	s_and_saveexec_b64 s[10:11], vcc
	s_cbranch_execz .LBB74_78
; %bb.75:                               ;   in Loop: Header=BB74_3 Depth=1
	v_add_co_u32_e32 v6, vcc, v6, v141
	v_addc_co_u32_e32 v7, vcc, 0, v7, vcc
	v_cmp_gt_i64_e32 vcc, s[12:13], v[6:7]
	v_mov_b32_e32 v9, 0
	v_mov_b32_e32 v8, 0
	s_and_saveexec_b64 s[36:37], vcc
	s_cbranch_execz .LBB74_77
; %bb.76:                               ;   in Loop: Header=BB74_3 Depth=1
	v_lshlrev_b64 v[6:7], 2, v[6:7]
	v_mov_b32_e32 v8, s23
	v_add_co_u32_e32 v141, vcc, s22, v6
	v_addc_co_u32_e32 v142, vcc, v8, v7, vcc
	v_mov_b32_e32 v8, s21
	v_add_co_u32_e32 v6, vcc, s20, v6
	v_addc_co_u32_e32 v7, vcc, v8, v7, vcc
	global_load_dword v9, v[6:7], off
	global_load_dword v8, v[141:142], off
.LBB74_77:                              ;   in Loop: Header=BB74_3 Depth=1
	s_or_b64 exec, exec, s[36:37]
.LBB74_78:                              ;   in Loop: Header=BB74_3 Depth=1
	s_or_b64 exec, exec, s[10:11]
	v_mov_b32_e32 v6, 0
	v_mov_b32_e32 v7, 0
	s_and_saveexec_b64 s[10:11], s[2:3]
	s_cbranch_execz .LBB74_80
; %bb.79:                               ;   in Loop: Header=BB74_3 Depth=1
	v_add_co_u32_e32 v6, vcc, v2, v4
	v_addc_co_u32_e32 v7, vcc, v10, v5, vcc
	global_load_ushort v141, v[6:7], off
	v_add_co_u32_e32 v6, vcc, v11, v4
	v_addc_co_u32_e32 v7, vcc, v12, v5, vcc
	global_load_ushort v7, v[6:7], off
	s_waitcnt vmcnt(1)
	v_cvt_f32_f16_e32 v6, v141
	s_waitcnt vmcnt(0)
	v_cvt_f32_f16_e32 v7, v7
.LBB74_80:                              ;   in Loop: Header=BB74_3 Depth=1
	s_or_b64 exec, exec, s[10:11]
	v_mov_b32_e32 v142, 0
	s_and_saveexec_b64 s[10:11], s[2:3]
	s_cbranch_execz .LBB74_82
; %bb.81:                               ;   in Loop: Header=BB74_3 Depth=1
	v_add_co_u32_e32 v141, vcc, v135, v4
	v_addc_co_u32_e32 v142, vcc, v136, v5, vcc
	global_load_ushort v130, v[141:142], off
	v_add_co_u32_e32 v141, vcc, v137, v4
	v_addc_co_u32_e32 v142, vcc, v138, v5, vcc
	global_load_ushort v141, v[141:142], off
	s_waitcnt vmcnt(1)
	v_cvt_f32_f16_e32 v130, v130
	s_waitcnt vmcnt(0)
	v_cvt_f32_f16_e32 v142, v141
.LBB74_82:                              ;   in Loop: Header=BB74_3 Depth=1
	s_or_b64 exec, exec, s[10:11]
	v_mov_b32_e32 v141, 0
	v_mov_b32_e32 v143, 0
	v_mov_b32_e32 v144, 0
	s_and_saveexec_b64 s[10:11], s[2:3]
	s_cbranch_execz .LBB74_84
; %bb.83:                               ;   in Loop: Header=BB74_3 Depth=1
	v_add_co_u32_e32 v143, vcc, v129, v4
	v_addc_co_u32_e32 v144, vcc, v131, v5, vcc
	global_load_ushort v145, v[143:144], off
	v_add_co_u32_e32 v143, vcc, v132, v4
	v_addc_co_u32_e32 v144, vcc, v134, v5, vcc
	global_load_ushort v144, v[143:144], off
	s_waitcnt vmcnt(1)
	v_cvt_f32_f16_e32 v143, v145
	s_waitcnt vmcnt(0)
	v_cvt_f32_f16_e32 v144, v144
.LBB74_84:                              ;   in Loop: Header=BB74_3 Depth=1
	s_or_b64 exec, exec, s[10:11]
	v_mov_b32_e32 v146, 0
	s_and_saveexec_b64 s[10:11], s[2:3]
	s_cbranch_execz .LBB74_86
; %bb.85:                               ;   in Loop: Header=BB74_3 Depth=1
	v_add_co_u32_e32 v145, vcc, v125, v4
	v_addc_co_u32_e32 v146, vcc, v126, v5, vcc
	global_load_ushort v141, v[145:146], off
	v_add_co_u32_e32 v145, vcc, v127, v4
	v_addc_co_u32_e32 v146, vcc, v128, v5, vcc
	global_load_ushort v145, v[145:146], off
	s_waitcnt vmcnt(1)
	v_cvt_f32_f16_e32 v141, v141
	s_waitcnt vmcnt(0)
	v_cvt_f32_f16_e32 v146, v145
.LBB74_86:                              ;   in Loop: Header=BB74_3 Depth=1
	s_or_b64 exec, exec, s[10:11]
	v_mov_b32_e32 v145, 0
	;; [unrolled: 34-line block ×5, first 2 shown]
	v_mov_b32_e32 v159, 0
	v_mov_b32_e32 v160, 0
	s_and_saveexec_b64 s[10:11], s[2:3]
	s_cbranch_execz .LBB74_100
; %bb.99:                               ;   in Loop: Header=BB74_3 Depth=1
	v_add_co_u32_e32 v159, vcc, v97, v4
	v_addc_co_u32_e32 v160, vcc, v98, v5, vcc
	global_load_ushort v161, v[159:160], off
	v_add_co_u32_e32 v159, vcc, v99, v4
	v_addc_co_u32_e32 v160, vcc, v100, v5, vcc
	global_load_ushort v160, v[159:160], off
	s_waitcnt vmcnt(1)
	v_cvt_f32_f16_e32 v159, v161
	s_waitcnt vmcnt(0)
	v_cvt_f32_f16_e32 v160, v160
.LBB74_100:                             ;   in Loop: Header=BB74_3 Depth=1
	s_or_b64 exec, exec, s[10:11]
	v_mov_b32_e32 v162, 0
	s_and_saveexec_b64 s[10:11], s[2:3]
	s_cbranch_execz .LBB74_102
; %bb.101:                              ;   in Loop: Header=BB74_3 Depth=1
	v_add_co_u32_e32 v161, vcc, v93, v4
	v_addc_co_u32_e32 v162, vcc, v94, v5, vcc
	global_load_ushort v157, v[161:162], off
	v_add_co_u32_e32 v161, vcc, v95, v4
	v_addc_co_u32_e32 v162, vcc, v96, v5, vcc
	global_load_ushort v161, v[161:162], off
	s_waitcnt vmcnt(1)
	v_cvt_f32_f16_e32 v157, v157
	s_waitcnt vmcnt(0)
	v_cvt_f32_f16_e32 v162, v161
.LBB74_102:                             ;   in Loop: Header=BB74_3 Depth=1
	s_or_b64 exec, exec, s[10:11]
	v_mov_b32_e32 v161, 0
	v_mov_b32_e32 v163, 0
	v_mov_b32_e32 v164, 0
	s_and_saveexec_b64 s[10:11], s[2:3]
	s_cbranch_execz .LBB74_104
; %bb.103:                              ;   in Loop: Header=BB74_3 Depth=1
	v_add_co_u32_e32 v163, vcc, v89, v4
	v_addc_co_u32_e32 v164, vcc, v90, v5, vcc
	global_load_ushort v165, v[163:164], off
	v_add_co_u32_e32 v163, vcc, v91, v4
	v_addc_co_u32_e32 v164, vcc, v92, v5, vcc
	global_load_ushort v164, v[163:164], off
	s_waitcnt vmcnt(1)
	v_cvt_f32_f16_e32 v163, v165
	s_waitcnt vmcnt(0)
	v_cvt_f32_f16_e32 v164, v164
.LBB74_104:                             ;   in Loop: Header=BB74_3 Depth=1
	s_or_b64 exec, exec, s[10:11]
	v_mov_b32_e32 v167, 0
	s_and_saveexec_b64 s[10:11], s[2:3]
	s_cbranch_execz .LBB74_106
; %bb.105:                              ;   in Loop: Header=BB74_3 Depth=1
	v_add_co_u32_e32 v165, vcc, v85, v4
	v_addc_co_u32_e32 v166, vcc, v86, v5, vcc
	global_load_ushort v161, v[165:166], off
	v_add_co_u32_e32 v165, vcc, v87, v4
	v_addc_co_u32_e32 v166, vcc, v88, v5, vcc
	global_load_ushort v165, v[165:166], off
	s_waitcnt vmcnt(1)
	v_cvt_f32_f16_e32 v161, v161
	s_waitcnt vmcnt(0)
	v_cvt_f32_f16_e32 v167, v165
.LBB74_106:                             ;   in Loop: Header=BB74_3 Depth=1
	s_or_b64 exec, exec, s[10:11]
	v_mov_b32_e32 v166, 0
	v_mov_b32_e32 v168, 0
	v_mov_b32_e32 v170, 0
	s_and_saveexec_b64 s[10:11], s[2:3]
	s_cbranch_execz .LBB74_108
; %bb.107:                              ;   in Loop: Header=BB74_3 Depth=1
	v_add_co_u32_e32 v168, vcc, v81, v4
	v_addc_co_u32_e32 v169, vcc, v82, v5, vcc
	global_load_ushort v165, v[168:169], off
	v_add_co_u32_e32 v168, vcc, v83, v4
	v_addc_co_u32_e32 v169, vcc, v84, v5, vcc
	global_load_ushort v169, v[168:169], off
	s_waitcnt vmcnt(1)
	v_cvt_f32_f16_e32 v168, v165
	s_waitcnt vmcnt(0)
	v_cvt_f32_f16_e32 v170, v169
.LBB74_108:                             ;   in Loop: Header=BB74_3 Depth=1
	;; [unrolled: 34-line block ×10, first 2 shown]
	s_or_b64 exec, exec, s[10:11]
	v_mov_b32_e32 v169, 0
	s_and_saveexec_b64 s[10:11], s[2:3]
	s_cbranch_execz .LBB74_142
; %bb.141:                              ;   in Loop: Header=BB74_3 Depth=1
	v_add_co_u32_e32 v202, vcc, v13, v4
	v_addc_co_u32_e32 v203, vcc, v14, v5, vcc
	global_load_ushort v165, v[202:203], off
	v_add_co_u32_e32 v202, vcc, v15, v4
	v_addc_co_u32_e32 v203, vcc, v16, v5, vcc
	global_load_ushort v169, v[202:203], off
	s_waitcnt vmcnt(1)
	v_cvt_f32_f16_e32 v165, v165
	s_waitcnt vmcnt(0)
	v_cvt_f32_f16_e32 v169, v169
.LBB74_142:                             ;   in Loop: Header=BB74_3 Depth=1
	s_or_b64 exec, exec, s[10:11]
	s_waitcnt vmcnt(1)
	ds_bpermute_b32 v202, v139, v9
	s_waitcnt vmcnt(0)
	ds_bpermute_b32 v203, v139, v8
	ds_bpermute_b32 v204, v139, v9 offset:4
	ds_bpermute_b32 v205, v139, v8 offset:4
	v_add_f32_e32 v133, v133, v6
	s_waitcnt lgkmcnt(3)
	v_sub_f32_e32 v7, v7, v202
	v_mul_f32_e32 v6, v6, v7
	s_waitcnt lgkmcnt(2)
	v_fmac_f32_e32 v140, v6, v203
	s_waitcnt lgkmcnt(1)
	v_sub_f32_e32 v6, v142, v204
	ds_bpermute_b32 v7, v139, v9 offset:8
	v_mul_f32_e32 v6, v130, v6
	s_waitcnt lgkmcnt(1)
	v_fmac_f32_e32 v140, v6, v205
	ds_bpermute_b32 v6, v139, v8 offset:8
	v_add_f32_e32 v130, v133, v130
	s_waitcnt lgkmcnt(1)
	v_sub_f32_e32 v7, v144, v7
	ds_bpermute_b32 v133, v139, v9 offset:12
	v_mul_f32_e32 v7, v143, v7
	s_waitcnt lgkmcnt(1)
	v_fmac_f32_e32 v140, v7, v6
	ds_bpermute_b32 v6, v139, v8 offset:12
	v_add_f32_e32 v7, v130, v143
	;; [unrolled: 8-line block ×28, first 2 shown]
	s_waitcnt lgkmcnt(1)
	v_sub_f32_e32 v130, v199, v133
	ds_bpermute_b32 v133, v139, v9 offset:120
	v_mul_f32_e32 v130, v195, v130
	s_waitcnt lgkmcnt(1)
	v_fmac_f32_e32 v140, v130, v6
	v_add_f32_e32 v6, v7, v195
	ds_bpermute_b32 v7, v139, v8 offset:120
	ds_bpermute_b32 v8, v139, v8 offset:124
	;; [unrolled: 1-line block ×3, first 2 shown]
	s_waitcnt lgkmcnt(3)
	v_sub_f32_e32 v130, v201, v133
	v_mul_f32_e32 v130, v200, v130
	s_waitcnt lgkmcnt(2)
	v_fmac_f32_e32 v140, v130, v7
	v_add_f32_e32 v141, v6, v200
	v_mov_b32_e32 v130, v140
.LBB74_143:                             ;   in Loop: Header=BB74_3 Depth=1
	s_waitcnt lgkmcnt(0)
	v_sub_f32_e32 v6, v169, v9
	v_mul_f32_e32 v6, v165, v6
	v_fmac_f32_e32 v130, v6, v8
	v_mov_b32_e32 v6, s29
	v_add_co_u32_e32 v2, vcc, s28, v2
	v_addc_co_u32_e32 v10, vcc, v10, v6, vcc
	v_add_co_u32_e32 v11, vcc, s28, v11
	v_addc_co_u32_e32 v12, vcc, v12, v6, vcc
	;; [unrolled: 2-line block ×64, first 2 shown]
	s_add_u32 s34, s34, s9
	v_add_co_u32_e32 v210, vcc, s9, v210
	v_mov_b32_e32 v6, s12
	s_addc_u32 s35, s35, 0
	v_addc_co_u32_e32 v209, vcc, 0, v209, vcc
	v_mov_b32_e32 v7, s13
	v_cmp_lt_i64_e32 vcc, s[34:35], v[6:7]
	s_add_u32 s30, s30, s9
	v_add_f32_e32 v133, v141, v165
	s_addc_u32 s31, 0, s31
	s_cbranch_vccz .LBB74_146
; %bb.144:                              ;   in Loop: Header=BB74_3 Depth=1
	v_mov_b32_e32 v140, v130
	s_branch .LBB74_3
.LBB74_145:
                                        ; implicit-def: $vgpr130
                                        ; implicit-def: $vgpr133
	s_branch .LBB74_147
.LBB74_146:
	s_cbranch_execnz .LBB74_228
.LBB74_147:
	v_mov_b32_e32 v130, 0
	s_and_b64 vcc, exec, s[0:1]
	v_mov_b32_e32 v133, 0
	s_cbranch_vccnz .LBB74_228
; %bb.148:
	v_mov_b32_e32 v4, 0
	v_mov_b32_e32 v2, v4
	buffer_store_dword v0, off, s[40:43], 0 offset:300 ; 4-byte Folded Spill
	v_lshlrev_b32_e32 v135, 5, v1
	s_load_dword s0, s[4:5], 0x44
	buffer_store_dword v1, off, s[40:43], 0 offset:304 ; 4-byte Folded Spill
	s_nop 0
	buffer_store_dword v2, off, s[40:43], 0 offset:308 ; 4-byte Folded Spill
	v_add_u32_e32 v3, s7, v0
	s_add_u32 s2, s4, 64
	v_add_co_u32_e32 v0, vcc, s24, v135
	s_addc_u32 s3, s5, 0
	s_waitcnt lgkmcnt(0)
	s_lshl_b32 s7, s0, 5
	v_addc_co_u32_e64 v166, s[0:1], 0, 0, vcc
	v_mov_b32_e32 v136, v4
	v_lshlrev_b64 v[4:5], 1, v[3:4]
	v_mul_lo_u32 v2, s15, v0
	v_mul_lo_u32 v3, s14, v166
	v_mad_u64_u32 v[130:131], s[0:1], s14, v0, 0
	s_mul_i32 s0, s15, s7
	s_mul_hi_u32 s1, s14, s7
	v_add3_u32 v131, v131, v3, v2
	v_lshlrev_b64 v[2:3], 1, v[130:131]
	s_add_i32 s1, s1, s0
	v_add_co_u32_e32 v6, vcc, s16, v2
	buffer_store_dword v6, off, s[40:43], 0 ; 4-byte Folded Spill
	v_mov_b32_e32 v6, s17
	v_addc_co_u32_e32 v6, vcc, v6, v3, vcc
	v_add_co_u32_e32 v2, vcc, s18, v2
	buffer_store_dword v2, off, s[40:43], 0 offset:8 ; 4-byte Folded Spill
	v_mov_b32_e32 v2, s19
	v_addc_co_u32_e32 v2, vcc, v2, v3, vcc
	buffer_store_dword v2, off, s[40:43], 0 offset:12 ; 4-byte Folded Spill
	buffer_store_dword v6, off, s[40:43], 0 offset:4 ; 4-byte Folded Spill
	s_mul_i32 s0, s14, s7
	s_lshl_b64 s[10:11], s[0:1], 1
	s_lshl_b64 s[0:1], s[24:25], 1
	s_mov_b64 s[26:27], 31
	v_mov_b32_e32 v208, 0
	v_mov_b32_e32 v2, v1
	buffer_store_dword v2, off, s[40:43], 0 offset:292 ; 4-byte Folded Spill
	s_nop 0
	buffer_store_dword v3, off, s[40:43], 0 offset:296 ; 4-byte Folded Spill
	v_lshlrev_b32_e32 v2, 6, v1
	v_add_co_u32_e32 v66, vcc, s0, v2
	v_mov_b32_e32 v2, s1
	v_addc_co_u32_e32 v67, vcc, 0, v2, vcc
	v_add_co_u32_e32 v68, vcc, 2, v66
	v_addc_co_u32_e32 v8, vcc, 0, v67, vcc
	v_add_co_u32_e32 v72, vcc, 4, v66
	;; [unrolled: 2-line block ×30, first 2 shown]
	v_mov_b32_e32 v2, s16
	v_addc_co_u32_e32 v69, vcc, 0, v67, vcc
	v_mov_b32_e32 v3, s17
	v_add_co_u32_e32 v163, vcc, 62, v66
	v_mad_u64_u32 v[6:7], s[0:1], s14, v68, v[2:3]
	v_mul_lo_u32 v70, s14, v8
	v_mad_u64_u32 v[8:9], s[0:1], s14, v72, v[2:3]
	v_mul_lo_u32 v73, s14, v10
	v_mad_u64_u32 v[10:11], s[0:1], s14, v75, v[2:3]
	v_mul_lo_u32 v76, s14, v12
	v_mad_u64_u32 v[12:13], s[0:1], s14, v78, v[2:3]
	v_mul_lo_u32 v79, s14, v14
	v_mad_u64_u32 v[14:15], s[0:1], s14, v81, v[2:3]
	v_mul_lo_u32 v82, s14, v16
	v_mad_u64_u32 v[16:17], s[0:1], s14, v84, v[2:3]
	v_mul_lo_u32 v85, s14, v18
	v_mad_u64_u32 v[18:19], s[0:1], s14, v87, v[2:3]
	v_mul_lo_u32 v88, s14, v20
	v_mad_u64_u32 v[20:21], s[0:1], s14, v90, v[2:3]
	v_mul_lo_u32 v91, s14, v22
	v_mad_u64_u32 v[22:23], s[0:1], s14, v93, v[2:3]
	v_mul_lo_u32 v94, s14, v24
	v_mad_u64_u32 v[24:25], s[0:1], s14, v96, v[2:3]
	v_mul_lo_u32 v97, s14, v26
	v_mad_u64_u32 v[26:27], s[0:1], s14, v99, v[2:3]
	v_mul_lo_u32 v100, s14, v28
	v_mad_u64_u32 v[28:29], s[0:1], s14, v102, v[2:3]
	v_mul_lo_u32 v103, s14, v30
	v_mad_u64_u32 v[30:31], s[0:1], s14, v105, v[2:3]
	v_mul_lo_u32 v106, s14, v32
	v_mad_u64_u32 v[32:33], s[0:1], s14, v108, v[2:3]
	v_mul_lo_u32 v109, s14, v34
	v_mad_u64_u32 v[34:35], s[0:1], s14, v111, v[2:3]
	v_mul_lo_u32 v112, s14, v36
	v_mad_u64_u32 v[36:37], s[0:1], s14, v114, v[2:3]
	v_mul_lo_u32 v115, s14, v38
	v_mad_u64_u32 v[38:39], s[0:1], s14, v117, v[2:3]
	v_mul_lo_u32 v118, s14, v40
	v_mad_u64_u32 v[40:41], s[0:1], s14, v120, v[2:3]
	v_mul_lo_u32 v121, s14, v42
	v_mad_u64_u32 v[42:43], s[0:1], s14, v123, v[2:3]
	v_mul_lo_u32 v124, s14, v44
	v_mad_u64_u32 v[44:45], s[0:1], s14, v126, v[2:3]
	v_mul_lo_u32 v127, s14, v46
	v_mad_u64_u32 v[46:47], s[0:1], s14, v129, v[2:3]
	v_mul_lo_u32 v132, s14, v48
	v_mad_u64_u32 v[48:49], s[0:1], s14, v134, v[2:3]
	v_mul_lo_u32 v137, s14, v50
	v_mad_u64_u32 v[50:51], s[0:1], s14, v139, v[2:3]
	v_mul_lo_u32 v140, s14, v52
	v_mad_u64_u32 v[52:53], s[0:1], s14, v142, v[2:3]
	v_mul_lo_u32 v143, s14, v54
	v_mad_u64_u32 v[54:55], s[0:1], s14, v145, v[2:3]
	v_mul_lo_u32 v146, s14, v56
	v_mad_u64_u32 v[56:57], s[0:1], s14, v148, v[2:3]
	v_mul_lo_u32 v149, s14, v58
	v_mad_u64_u32 v[58:59], s[0:1], s14, v151, v[2:3]
	v_mul_lo_u32 v152, s14, v60
	v_mad_u64_u32 v[60:61], s[0:1], s14, v154, v[2:3]
	v_mul_lo_u32 v155, s14, v62
	v_mad_u64_u32 v[62:63], s[0:1], s14, v157, v[2:3]
	v_mul_lo_u32 v158, s14, v64
	v_mad_u64_u32 v[64:65], s[0:1], s14, v160, v[2:3]
	v_mul_lo_u32 v161, s14, v69
	v_addc_co_u32_e32 v69, vcc, 0, v67, vcc
	v_mad_u64_u32 v[66:67], s[0:1], s14, v163, v[2:3]
	v_mov_b32_e32 v2, s18
	v_mov_b32_e32 v3, s19
	v_mul_lo_u32 v71, s15, v68
	v_mul_lo_u32 v164, s14, v69
	v_mad_u64_u32 v[68:69], s[0:1], s14, v68, v[2:3]
	v_add3_u32 v7, v71, v7, v70
	v_mul_lo_u32 v74, s15, v72
	v_add3_u32 v69, v71, v69, v70
	v_mad_u64_u32 v[70:71], s[0:1], s14, v72, v[2:3]
	v_add3_u32 v9, v74, v9, v73
	v_mul_lo_u32 v77, s15, v75
	v_add3_u32 v71, v74, v71, v73
	v_mad_u64_u32 v[72:73], s[0:1], s14, v75, v[2:3]
	v_mul_lo_u32 v80, s15, v78
	v_mad_u64_u32 v[74:75], s[0:1], s14, v78, v[2:3]
	v_add3_u32 v11, v77, v11, v76
	v_mul_lo_u32 v83, s15, v81
	v_add3_u32 v73, v77, v73, v76
	v_mad_u64_u32 v[76:77], s[0:1], s14, v81, v[2:3]
	v_add3_u32 v13, v80, v13, v79
	v_mul_lo_u32 v86, s15, v84
	v_add3_u32 v75, v80, v75, v79
	v_mad_u64_u32 v[78:79], s[0:1], s14, v84, v[2:3]
	v_add3_u32 v15, v83, v15, v82
	v_mul_lo_u32 v89, s15, v87
	v_mul_lo_u32 v92, s15, v90
	v_add3_u32 v77, v83, v77, v82
	v_mad_u64_u32 v[80:81], s[0:1], s14, v87, v[2:3]
	v_mad_u64_u32 v[82:83], s[0:1], s14, v90, v[2:3]
	v_add3_u32 v17, v86, v17, v85
	v_mul_lo_u32 v95, s15, v93
	v_add3_u32 v79, v86, v79, v85
	v_mad_u64_u32 v[84:85], s[0:1], s14, v93, v[2:3]
	v_add3_u32 v19, v89, v19, v88
	v_add3_u32 v21, v92, v21, v91
	v_mul_lo_u32 v98, s15, v96
	v_mul_lo_u32 v101, s15, v99
	;; [unrolled: 1-line block ×4, first 2 shown]
	v_add3_u32 v81, v89, v81, v88
	v_add3_u32 v83, v92, v83, v91
	v_mad_u64_u32 v[86:87], s[0:1], s14, v96, v[2:3]
	v_mad_u64_u32 v[88:89], s[0:1], s14, v99, v[2:3]
	;; [unrolled: 1-line block ×4, first 2 shown]
	v_add3_u32 v23, v95, v23, v94
	v_mul_lo_u32 v110, s15, v108
	v_add3_u32 v85, v95, v85, v94
	v_mad_u64_u32 v[94:95], s[0:1], s14, v108, v[2:3]
	v_add3_u32 v25, v98, v25, v97
	v_add3_u32 v27, v101, v27, v100
	;; [unrolled: 1-line block ×4, first 2 shown]
	v_mul_lo_u32 v113, s15, v111
	v_mul_lo_u32 v116, s15, v114
	;; [unrolled: 1-line block ×6, first 2 shown]
	v_add3_u32 v87, v98, v87, v97
	v_add3_u32 v89, v101, v89, v100
	v_add3_u32 v91, v104, v91, v103
	v_add3_u32 v93, v107, v93, v106
	v_mad_u64_u32 v[96:97], s[0:1], s14, v111, v[2:3]
	v_mad_u64_u32 v[98:99], s[0:1], s14, v114, v[2:3]
	;; [unrolled: 1-line block ×6, first 2 shown]
	v_add3_u32 v33, v110, v33, v109
	v_mul_lo_u32 v133, s15, v129
	v_add3_u32 v95, v110, v95, v109
	v_mad_u64_u32 v[108:109], s[0:1], s14, v129, v[2:3]
	v_add3_u32 v35, v113, v35, v112
	v_add3_u32 v37, v116, v37, v115
	;; [unrolled: 1-line block ×12, first 2 shown]
	v_mad_u64_u32 v[110:111], s[0:1], s14, v134, v[2:3]
	v_mad_u64_u32 v[112:113], s[0:1], s14, v139, v[2:3]
	;; [unrolled: 1-line block ×10, first 2 shown]
	v_add_co_u32_e32 v2, vcc, 31, v0
	v_addc_co_u32_e32 v3, vcc, 0, v166, vcc
	v_add3_u32 v47, v133, v47, v132
	v_add3_u32 v109, v133, v109, v132
	v_mul_lo_u32 v132, s15, v2
	v_mul_lo_u32 v133, s14, v3
	v_mad_u64_u32 v[2:3], s[0:1], s14, v2, 0
	v_mul_lo_u32 v141, s15, v139
	v_mul_lo_u32 v144, s15, v142
	v_add3_u32 v3, v3, v133, v132
	v_lshlrev_b64 v[2:3], 1, v[2:3]
	v_mov_b32_e32 v132, s17
	v_add_co_u32_e32 v1, vcc, s16, v2
	buffer_store_dword v1, off, s[40:43], 0 offset:16 ; 4-byte Folded Spill
	v_addc_co_u32_e32 v1, vcc, v132, v3, vcc
	buffer_store_dword v1, off, s[40:43], 0 offset:20 ; 4-byte Folded Spill
	v_add_co_u32_e32 v1, vcc, s18, v2
	v_mov_b32_e32 v2, s19
	buffer_store_dword v1, off, s[40:43], 0 offset:24 ; 4-byte Folded Spill
	v_addc_co_u32_e32 v1, vcc, v2, v3, vcc
	v_add_co_u32_e32 v2, vcc, 30, v0
	v_addc_co_u32_e32 v3, vcc, 0, v166, vcc
	v_mul_lo_u32 v132, s15, v2
	v_mul_lo_u32 v133, s14, v3
	v_mad_u64_u32 v[2:3], s[0:1], s14, v2, 0
	buffer_store_dword v1, off, s[40:43], 0 offset:28 ; 4-byte Folded Spill
	v_add3_u32 v51, v141, v51, v140
	v_add3_u32 v3, v3, v133, v132
	v_lshlrev_b64 v[2:3], 1, v[2:3]
	v_mov_b32_e32 v132, s17
	v_add_co_u32_e32 v1, vcc, s16, v2
	buffer_store_dword v1, off, s[40:43], 0 offset:32 ; 4-byte Folded Spill
	v_addc_co_u32_e32 v1, vcc, v132, v3, vcc
	buffer_store_dword v1, off, s[40:43], 0 offset:36 ; 4-byte Folded Spill
	v_add_co_u32_e32 v1, vcc, s18, v2
	v_mov_b32_e32 v2, s19
	buffer_store_dword v1, off, s[40:43], 0 offset:40 ; 4-byte Folded Spill
	v_addc_co_u32_e32 v1, vcc, v2, v3, vcc
	v_add_co_u32_e32 v2, vcc, 29, v0
	v_addc_co_u32_e32 v3, vcc, 0, v166, vcc
	v_mul_lo_u32 v132, s15, v2
	v_mul_lo_u32 v133, s14, v3
	v_mad_u64_u32 v[2:3], s[0:1], s14, v2, 0
	buffer_store_dword v1, off, s[40:43], 0 offset:44 ; 4-byte Folded Spill
	v_add3_u32 v113, v141, v113, v140
	v_add3_u32 v3, v3, v133, v132
	v_lshlrev_b64 v[2:3], 1, v[2:3]
	v_mov_b32_e32 v132, s17
	v_add_co_u32_e32 v1, vcc, s16, v2
	buffer_store_dword v1, off, s[40:43], 0 offset:48 ; 4-byte Folded Spill
	v_addc_co_u32_e32 v1, vcc, v132, v3, vcc
	buffer_store_dword v1, off, s[40:43], 0 offset:52 ; 4-byte Folded Spill
	v_add_co_u32_e32 v1, vcc, s18, v2
	v_mov_b32_e32 v2, s19
	buffer_store_dword v1, off, s[40:43], 0 offset:56 ; 4-byte Folded Spill
	v_addc_co_u32_e32 v1, vcc, v2, v3, vcc
	v_add_co_u32_e32 v2, vcc, 28, v0
	v_addc_co_u32_e32 v3, vcc, 0, v166, vcc
	v_mul_lo_u32 v132, s15, v2
	v_mul_lo_u32 v133, s14, v3
	v_mad_u64_u32 v[2:3], s[0:1], s14, v2, 0
	buffer_store_dword v1, off, s[40:43], 0 offset:60 ; 4-byte Folded Spill
	v_mul_lo_u32 v138, s15, v134
	v_add3_u32 v3, v3, v133, v132
	v_lshlrev_b64 v[2:3], 1, v[2:3]
	v_mov_b32_e32 v132, s17
	v_add_co_u32_e32 v1, vcc, s16, v2
	buffer_store_dword v1, off, s[40:43], 0 offset:64 ; 4-byte Folded Spill
	v_addc_co_u32_e32 v1, vcc, v132, v3, vcc
	buffer_store_dword v1, off, s[40:43], 0 offset:68 ; 4-byte Folded Spill
	v_add_co_u32_e32 v1, vcc, s18, v2
	v_mov_b32_e32 v2, s19
	buffer_store_dword v1, off, s[40:43], 0 offset:72 ; 4-byte Folded Spill
	v_addc_co_u32_e32 v1, vcc, v2, v3, vcc
	v_add_co_u32_e32 v2, vcc, 27, v0
	v_addc_co_u32_e32 v3, vcc, 0, v166, vcc
	v_mul_lo_u32 v132, s15, v2
	v_mul_lo_u32 v133, s14, v3
	v_mad_u64_u32 v[2:3], s[0:1], s14, v2, 0
	buffer_store_dword v1, off, s[40:43], 0 offset:76 ; 4-byte Folded Spill
	v_add3_u32 v53, v144, v53, v143
	v_add3_u32 v3, v3, v133, v132
	v_lshlrev_b64 v[2:3], 1, v[2:3]
	v_mov_b32_e32 v132, s17
	v_add_co_u32_e32 v1, vcc, s16, v2
	buffer_store_dword v1, off, s[40:43], 0 offset:80 ; 4-byte Folded Spill
	v_addc_co_u32_e32 v1, vcc, v132, v3, vcc
	buffer_store_dword v1, off, s[40:43], 0 offset:84 ; 4-byte Folded Spill
	v_add_co_u32_e32 v1, vcc, s18, v2
	v_mov_b32_e32 v2, s19
	buffer_store_dword v1, off, s[40:43], 0 offset:88 ; 4-byte Folded Spill
	v_addc_co_u32_e32 v1, vcc, v2, v3, vcc
	v_add_co_u32_e32 v2, vcc, 26, v0
	v_addc_co_u32_e32 v3, vcc, 0, v166, vcc
	v_mul_lo_u32 v132, s15, v2
	v_mul_lo_u32 v133, s14, v3
	v_mad_u64_u32 v[2:3], s[0:1], s14, v2, 0
	buffer_store_dword v1, off, s[40:43], 0 offset:92 ; 4-byte Folded Spill
	v_mul_lo_u32 v147, s15, v145
	v_add3_u32 v3, v3, v133, v132
	v_lshlrev_b64 v[2:3], 1, v[2:3]
	v_mov_b32_e32 v132, s17
	v_add_co_u32_e32 v1, vcc, s16, v2
	buffer_store_dword v1, off, s[40:43], 0 offset:96 ; 4-byte Folded Spill
	v_addc_co_u32_e32 v1, vcc, v132, v3, vcc
	buffer_store_dword v1, off, s[40:43], 0 offset:100 ; 4-byte Folded Spill
	v_add_co_u32_e32 v1, vcc, s18, v2
	v_mov_b32_e32 v2, s19
	buffer_store_dword v1, off, s[40:43], 0 offset:104 ; 4-byte Folded Spill
	v_addc_co_u32_e32 v1, vcc, v2, v3, vcc
	v_add_co_u32_e32 v2, vcc, 25, v0
	v_addc_co_u32_e32 v3, vcc, 0, v166, vcc
	v_mul_lo_u32 v132, s15, v2
	v_mul_lo_u32 v133, s14, v3
	v_mad_u64_u32 v[2:3], s[0:1], s14, v2, 0
	buffer_store_dword v1, off, s[40:43], 0 offset:108 ; 4-byte Folded Spill
	v_mul_lo_u32 v150, s15, v148
	;; [unrolled: 18-line block ×7, first 2 shown]
	v_add3_u32 v3, v3, v133, v132
	v_lshlrev_b64 v[2:3], 1, v[2:3]
	v_mov_b32_e32 v132, s17
	v_add_co_u32_e32 v1, vcc, s16, v2
	buffer_store_dword v1, off, s[40:43], 0 offset:192 ; 4-byte Folded Spill
	v_addc_co_u32_e32 v1, vcc, v132, v3, vcc
	buffer_store_dword v1, off, s[40:43], 0 offset:196 ; 4-byte Folded Spill
	v_add_co_u32_e32 v1, vcc, s18, v2
	v_mov_b32_e32 v2, s19
	buffer_store_dword v1, off, s[40:43], 0 offset:200 ; 4-byte Folded Spill
	v_addc_co_u32_e32 v1, vcc, v2, v3, vcc
	v_add_co_u32_e32 v2, vcc, 19, v0
	v_addc_co_u32_e32 v3, vcc, 0, v166, vcc
	v_mul_lo_u32 v132, s15, v2
	v_mul_lo_u32 v133, s14, v3
	v_mad_u64_u32 v[2:3], s[0:1], s14, v2, 0
	buffer_store_dword v1, off, s[40:43], 0 offset:204 ; 4-byte Folded Spill
	v_add3_u32 v115, v144, v115, v143
	v_add3_u32 v3, v3, v133, v132
	v_lshlrev_b64 v[2:3], 1, v[2:3]
	v_mov_b32_e32 v132, s17
	v_add_co_u32_e32 v1, vcc, s16, v2
	buffer_store_dword v1, off, s[40:43], 0 offset:208 ; 4-byte Folded Spill
	v_addc_co_u32_e32 v1, vcc, v132, v3, vcc
	buffer_store_dword v1, off, s[40:43], 0 offset:212 ; 4-byte Folded Spill
	v_add_co_u32_e32 v1, vcc, s18, v2
	v_mov_b32_e32 v2, s19
	buffer_store_dword v1, off, s[40:43], 0 offset:216 ; 4-byte Folded Spill
	v_addc_co_u32_e32 v1, vcc, v2, v3, vcc
	v_add_co_u32_e32 v2, vcc, 18, v0
	v_addc_co_u32_e32 v3, vcc, 0, v166, vcc
	v_mul_lo_u32 v132, s15, v2
	v_mul_lo_u32 v133, s14, v3
	v_mad_u64_u32 v[2:3], s[0:1], s14, v2, 0
	buffer_store_dword v1, off, s[40:43], 0 offset:220 ; 4-byte Folded Spill
	v_add3_u32 v49, v138, v49, v137
	;; [unrolled: 18-line block ×6, first 2 shown]
	v_add3_u32 v3, v3, v133, v132
	v_lshlrev_b64 v[2:3], 1, v[2:3]
	v_mov_b32_e32 v132, s17
	v_add_co_u32_e32 v1, vcc, s16, v2
	v_addc_co_u32_e32 v209, vcc, v132, v3, vcc
	v_add_co_u32_e32 v210, vcc, s18, v2
	v_mov_b32_e32 v2, s19
	v_addc_co_u32_e32 v211, vcc, v2, v3, vcc
	v_add_co_u32_e32 v2, vcc, 13, v0
	v_addc_co_u32_e32 v3, vcc, 0, v166, vcc
	v_mul_lo_u32 v132, s15, v2
	v_mul_lo_u32 v133, s14, v3
	v_mad_u64_u32 v[2:3], s[0:1], s14, v2, 0
	buffer_store_dword v1, off, s[40:43], 0 offset:288 ; 4-byte Folded Spill
	v_add3_u32 v63, v159, v63, v158
	v_add3_u32 v3, v3, v133, v132
	v_lshlrev_b64 v[2:3], 1, v[2:3]
	v_mov_b32_e32 v132, s17
	v_add_co_u32_e32 v212, vcc, s16, v2
	v_addc_co_u32_e32 v213, vcc, v132, v3, vcc
	v_add_co_u32_e32 v214, vcc, s18, v2
	v_mov_b32_e32 v2, s19
	v_addc_co_u32_e32 v215, vcc, v2, v3, vcc
	v_add_co_u32_e32 v2, vcc, 12, v0
	v_addc_co_u32_e32 v3, vcc, 0, v166, vcc
	v_mul_lo_u32 v132, s15, v2
	v_mul_lo_u32 v133, s14, v3
	v_mad_u64_u32 v[2:3], s[0:1], s14, v2, 0
	v_add3_u32 v65, v162, v65, v161
	v_add3_u32 v67, v165, v67, v164
	v_add3_u32 v3, v3, v133, v132
	v_lshlrev_b64 v[2:3], 1, v[2:3]
	v_mov_b32_e32 v132, s17
	v_add_co_u32_e32 v216, vcc, s16, v2
	v_addc_co_u32_e32 v217, vcc, v132, v3, vcc
	v_add_co_u32_e32 v218, vcc, s18, v2
	v_mov_b32_e32 v2, s19
	v_addc_co_u32_e32 v219, vcc, v2, v3, vcc
	v_add_co_u32_e32 v2, vcc, 11, v0
	v_addc_co_u32_e32 v3, vcc, 0, v166, vcc
	v_mul_lo_u32 v132, s15, v2
	v_mul_lo_u32 v133, s14, v3
	v_mad_u64_u32 v[2:3], s[0:1], s14, v2, 0
	v_add3_u32 v111, v138, v111, v137
	v_add3_u32 v117, v147, v117, v146
	v_add3_u32 v3, v3, v133, v132
	v_lshlrev_b64 v[2:3], 1, v[2:3]
	v_mov_b32_e32 v132, s17
	v_add_co_u32_e32 v220, vcc, s16, v2
	v_addc_co_u32_e32 v221, vcc, v132, v3, vcc
	v_add_co_u32_e32 v222, vcc, s18, v2
	v_mov_b32_e32 v2, s19
	v_addc_co_u32_e32 v223, vcc, v2, v3, vcc
	v_add_co_u32_e32 v2, vcc, 10, v0
	v_addc_co_u32_e32 v3, vcc, 0, v166, vcc
	v_mul_lo_u32 v132, s15, v2
	v_mul_lo_u32 v133, s14, v3
	v_mad_u64_u32 v[2:3], s[0:1], s14, v2, 0
	v_add3_u32 v119, v150, v119, v149
	v_add3_u32 v121, v153, v121, v152
	v_add3_u32 v3, v3, v133, v132
	v_lshlrev_b64 v[2:3], 1, v[2:3]
	v_mov_b32_e32 v132, s17
	v_add_co_u32_e32 v224, vcc, s16, v2
	v_addc_co_u32_e32 v225, vcc, v132, v3, vcc
	v_add_co_u32_e32 v226, vcc, s18, v2
	v_mov_b32_e32 v2, s19
	v_addc_co_u32_e32 v227, vcc, v2, v3, vcc
	v_add_co_u32_e32 v2, vcc, 9, v0
	v_addc_co_u32_e32 v3, vcc, 0, v166, vcc
	v_mul_lo_u32 v132, s15, v2
	v_mul_lo_u32 v133, s14, v3
	v_mad_u64_u32 v[2:3], s[0:1], s14, v2, 0
	v_add3_u32 v123, v156, v123, v155
	v_add3_u32 v125, v159, v125, v158
	v_add3_u32 v3, v3, v133, v132
	v_lshlrev_b64 v[2:3], 1, v[2:3]
	v_mov_b32_e32 v132, s17
	v_add_co_u32_e32 v228, vcc, s16, v2
	v_addc_co_u32_e32 v229, vcc, v132, v3, vcc
	v_add_co_u32_e32 v230, vcc, s18, v2
	v_mov_b32_e32 v2, s19
	v_addc_co_u32_e32 v231, vcc, v2, v3, vcc
	v_add_co_u32_e32 v2, vcc, 8, v0
	v_addc_co_u32_e32 v3, vcc, 0, v166, vcc
	v_mul_lo_u32 v132, s15, v2
	v_mul_lo_u32 v133, s14, v3
	v_mad_u64_u32 v[2:3], s[0:1], s14, v2, 0
	v_add3_u32 v127, v162, v127, v161
	v_add3_u32 v129, v165, v129, v164
	v_add3_u32 v3, v3, v133, v132
	v_lshlrev_b64 v[2:3], 1, v[2:3]
	v_mov_b32_e32 v132, s17
	v_add_co_u32_e32 v232, vcc, s16, v2
	v_addc_co_u32_e32 v233, vcc, v132, v3, vcc
	v_add_co_u32_e32 v234, vcc, s18, v2
	v_mov_b32_e32 v2, s19
	v_addc_co_u32_e32 v235, vcc, v2, v3, vcc
	v_add_co_u32_e32 v2, vcc, 7, v0
	v_addc_co_u32_e32 v3, vcc, 0, v166, vcc
	v_mul_lo_u32 v132, s15, v2
	v_mul_lo_u32 v133, s14, v3
	v_mad_u64_u32 v[2:3], s[0:1], s14, v2, 0
	v_mov_b32_e32 v146, 0
	v_add3_u32 v3, v3, v133, v132
	v_lshlrev_b64 v[2:3], 1, v[2:3]
	v_mov_b32_e32 v132, s17
	v_add_co_u32_e32 v236, vcc, s16, v2
	v_addc_co_u32_e32 v237, vcc, v132, v3, vcc
	v_add_co_u32_e32 v238, vcc, s18, v2
	v_mov_b32_e32 v2, s19
	v_addc_co_u32_e32 v239, vcc, v2, v3, vcc
	v_add_co_u32_e32 v2, vcc, 6, v0
	v_addc_co_u32_e32 v3, vcc, 0, v166, vcc
	v_mul_lo_u32 v132, s15, v2
	v_mul_lo_u32 v133, s14, v3
	v_mad_u64_u32 v[2:3], s[0:1], s14, v2, 0
	v_add3_u32 v3, v3, v133, v132
	v_lshlrev_b64 v[2:3], 1, v[2:3]
	v_mov_b32_e32 v132, s17
	v_add_co_u32_e32 v240, vcc, s16, v2
	v_addc_co_u32_e32 v241, vcc, v132, v3, vcc
	v_add_co_u32_e32 v242, vcc, s18, v2
	v_mov_b32_e32 v2, s19
	v_addc_co_u32_e32 v243, vcc, v2, v3, vcc
	v_add_co_u32_e32 v2, vcc, 5, v0
	v_addc_co_u32_e32 v3, vcc, 0, v166, vcc
	v_mul_lo_u32 v132, s15, v2
	v_mul_lo_u32 v133, s14, v3
	v_mad_u64_u32 v[2:3], s[0:1], s14, v2, 0
	;; [unrolled: 13-line block ×5, first 2 shown]
	v_add3_u32 v1, v1, v3, v2
	v_lshlrev_b64 v[0:1], 1, v[0:1]
	v_mov_b32_e32 v2, s17
	v_add_co_u32_e32 v3, vcc, s16, v0
	v_addc_co_u32_e32 v140, vcc, v2, v1, vcc
	v_add_co_u32_e32 v0, vcc, s18, v0
	v_mov_b32_e32 v2, s19
	v_addc_co_u32_e32 v1, vcc, v2, v1, vcc
	v_add_co_u32_e32 v130, vcc, s14, v130
	v_mov_b32_e32 v2, s15
	v_addc_co_u32_e32 v131, vcc, v131, v2, vcc
	v_lshlrev_b64 v[130:131], 1, v[130:131]
	v_mov_b32_e32 v2, s17
	v_add_co_u32_e32 v141, vcc, s16, v130
	v_addc_co_u32_e32 v142, vcc, v2, v131, vcc
	v_add_co_u32_e32 v143, vcc, s18, v130
	v_mov_b32_e32 v2, s19
	v_addc_co_u32_e32 v144, vcc, v2, v131, vcc
	v_mbcnt_lo_u32_b32 v2, -1, 0
	v_mbcnt_hi_u32_b32 v2, -1, v2
	v_lshlrev_b32_e32 v2, 2, v2
	v_and_b32_e32 v145, 0x100, v2
	s_mov_b64 s[16:17], s[24:25]
.LBB74_149:                             ; =>This Inner Loop Header: Depth=1
	s_add_u32 s0, s24, s26
	v_mov_b32_e32 v131, s13
	s_addc_u32 s1, 0, s27
	v_mov_b32_e32 v130, s12
	v_cmp_ge_i64_e32 vcc, s[0:1], v[130:131]
	v_add_co_u32_e64 v131, s[0:1], s24, v135
	v_addc_co_u32_e64 v132, s[0:1], 0, v136, s[0:1]
	s_mov_b64 s[0:1], -1
                                        ; implicit-def: $vgpr133
                                        ; implicit-def: $vgpr130
	s_cbranch_vccz .LBB74_219
; %bb.150:                              ;   in Loop: Header=BB74_149 Depth=1
	s_load_dword s0, s[2:3], 0xc
	buffer_load_dword v133, off, s[40:43], 0 offset:292 ; 4-byte Folded Reload
	buffer_load_dword v134, off, s[40:43], 0 offset:296 ; 4-byte Folded Reload
	;; [unrolled: 1-line block ×3, first 2 shown]
	v_mov_b32_e32 v149, 0
	v_mov_b32_e32 v148, 0
	;; [unrolled: 1-line block ×3, first 2 shown]
	s_waitcnt lgkmcnt(0)
	s_and_b32 s0, s0, 0xffff
	s_waitcnt vmcnt(0)
	v_mad_u32_u24 v2, v133, s0, v2
	v_and_b32_e32 v2, 63, v2
	v_cmp_gt_u32_e32 vcc, 32, v2
	s_and_saveexec_b64 s[0:1], vcc
	s_cbranch_execz .LBB74_154
; %bb.151:                              ;   in Loop: Header=BB74_149 Depth=1
	v_add_co_u32_e32 v133, vcc, v131, v2
	v_addc_co_u32_e32 v134, vcc, 0, v132, vcc
	v_cmp_gt_i64_e32 vcc, s[12:13], v[133:134]
	v_mov_b32_e32 v147, 0
	v_mov_b32_e32 v148, 0
	s_and_saveexec_b64 s[18:19], vcc
	s_cbranch_execz .LBB74_153
; %bb.152:                              ;   in Loop: Header=BB74_149 Depth=1
	v_lshlrev_b64 v[133:134], 2, v[133:134]
	v_mov_b32_e32 v2, s23
	v_add_co_u32_e32 v137, vcc, s22, v133
	v_addc_co_u32_e32 v138, vcc, v2, v134, vcc
	v_mov_b32_e32 v2, s21
	v_add_co_u32_e32 v133, vcc, s20, v133
	v_addc_co_u32_e32 v134, vcc, v2, v134, vcc
	global_load_dword v147, v[133:134], off
	global_load_dword v148, v[137:138], off
.LBB74_153:                             ;   in Loop: Header=BB74_149 Depth=1
	s_or_b64 exec, exec, s[18:19]
.LBB74_154:                             ;   in Loop: Header=BB74_149 Depth=1
	s_or_b64 exec, exec, s[0:1]
	v_cmp_gt_i64_e32 vcc, s[12:13], v[131:132]
	v_mov_b32_e32 v130, 0
	s_and_saveexec_b64 s[0:1], vcc
	s_cbranch_execz .LBB74_156
; %bb.155:                              ;   in Loop: Header=BB74_149 Depth=1
	buffer_load_dword v2, off, s[40:43], 0  ; 4-byte Folded Reload
	buffer_load_dword v130, off, s[40:43], 0 offset:8 ; 4-byte Folded Reload
	s_waitcnt vmcnt(1)
	v_add_co_u32_e32 v133, vcc, v2, v4
	buffer_load_dword v2, off, s[40:43], 0 offset:4 ; 4-byte Folded Reload
	s_waitcnt vmcnt(0)
	v_addc_co_u32_e32 v134, vcc, v2, v5, vcc
	global_load_ushort v2, v[133:134], off
	v_add_co_u32_e32 v133, vcc, v130, v4
	buffer_load_dword v130, off, s[40:43], 0 offset:12 ; 4-byte Folded Reload
	s_waitcnt vmcnt(1)
	v_cvt_f32_f16_e32 v149, v2
	s_waitcnt vmcnt(0)
	v_addc_co_u32_e32 v134, vcc, v130, v5, vcc
	global_load_ushort v130, v[133:134], off
	s_waitcnt vmcnt(0)
	v_cvt_f32_f16_e32 v130, v130
.LBB74_156:                             ;   in Loop: Header=BB74_149 Depth=1
	s_or_b64 exec, exec, s[0:1]
	v_add_co_u32_e32 v133, vcc, 1, v131
	v_addc_co_u32_e32 v134, vcc, 0, v132, vcc
	v_cmp_gt_i64_e32 vcc, s[12:13], v[133:134]
	v_mov_b32_e32 v133, 0
	v_mov_b32_e32 v159, 0
	v_mov_b32_e32 v163, 0
	s_and_saveexec_b64 s[0:1], vcc
	s_cbranch_execz .LBB74_158
; %bb.157:                              ;   in Loop: Header=BB74_149 Depth=1
	v_add_co_u32_e32 v137, vcc, v141, v4
	v_addc_co_u32_e32 v138, vcc, v142, v5, vcc
	global_load_ushort v2, v[137:138], off
	v_add_co_u32_e32 v137, vcc, v143, v4
	v_addc_co_u32_e32 v138, vcc, v144, v5, vcc
	global_load_ushort v134, v[137:138], off
	s_waitcnt vmcnt(1)
	v_cvt_f32_f16_e32 v159, v2
	s_waitcnt vmcnt(0)
	v_cvt_f32_f16_e32 v163, v134
.LBB74_158:                             ;   in Loop: Header=BB74_149 Depth=1
	s_or_b64 exec, exec, s[0:1]
	v_add_co_u32_e32 v137, vcc, 2, v131
	v_addc_co_u32_e32 v138, vcc, 0, v132, vcc
	v_cmp_gt_i64_e32 vcc, s[12:13], v[137:138]
	v_mov_b32_e32 v164, 0
	s_and_saveexec_b64 s[0:1], vcc
	s_cbranch_execz .LBB74_160
; %bb.159:                              ;   in Loop: Header=BB74_149 Depth=1
	v_add_co_u32_e32 v133, vcc, v3, v4
	v_addc_co_u32_e32 v134, vcc, v140, v5, vcc
	global_load_ushort v2, v[133:134], off
	v_add_co_u32_e32 v133, vcc, v0, v4
	v_addc_co_u32_e32 v134, vcc, v1, v5, vcc
	global_load_ushort v134, v[133:134], off
	s_waitcnt vmcnt(1)
	v_cvt_f32_f16_e32 v133, v2
	s_waitcnt vmcnt(0)
	v_cvt_f32_f16_e32 v164, v134
.LBB74_160:                             ;   in Loop: Header=BB74_149 Depth=1
	s_or_b64 exec, exec, s[0:1]
	v_add_co_u32_e32 v137, vcc, 3, v131
	v_addc_co_u32_e32 v138, vcc, 0, v132, vcc
	v_cmp_gt_i64_e32 vcc, s[12:13], v[137:138]
	v_mov_b32_e32 v134, 0
	v_mov_b32_e32 v161, 0
	v_mov_b32_e32 v167, 0
	s_and_saveexec_b64 s[0:1], vcc
	s_cbranch_execz .LBB74_162
; %bb.161:                              ;   in Loop: Header=BB74_149 Depth=1
	v_add_co_u32_e32 v137, vcc, v252, v4
	v_addc_co_u32_e32 v138, vcc, v253, v5, vcc
	global_load_ushort v2, v[137:138], off
	v_add_co_u32_e32 v137, vcc, v254, v4
	v_addc_co_u32_e32 v138, vcc, v255, v5, vcc
	global_load_ushort v137, v[137:138], off
	s_waitcnt vmcnt(1)
	v_cvt_f32_f16_e32 v161, v2
	s_waitcnt vmcnt(0)
	v_cvt_f32_f16_e32 v167, v137
.LBB74_162:                             ;   in Loop: Header=BB74_149 Depth=1
	s_or_b64 exec, exec, s[0:1]
	v_add_co_u32_e32 v137, vcc, 4, v131
	v_addc_co_u32_e32 v138, vcc, 0, v132, vcc
	v_cmp_gt_i64_e32 vcc, s[12:13], v[137:138]
	v_mov_b32_e32 v2, 0
	s_and_saveexec_b64 s[0:1], vcc
	s_cbranch_execz .LBB74_164
; %bb.163:                              ;   in Loop: Header=BB74_149 Depth=1
	v_add_co_u32_e32 v137, vcc, v248, v4
	v_addc_co_u32_e32 v138, vcc, v249, v5, vcc
	global_load_ushort v2, v[137:138], off
	v_add_co_u32_e32 v137, vcc, v250, v4
	v_addc_co_u32_e32 v138, vcc, v251, v5, vcc
	global_load_ushort v137, v[137:138], off
	s_waitcnt vmcnt(1)
	v_cvt_f32_f16_e32 v134, v2
	s_waitcnt vmcnt(0)
	v_cvt_f32_f16_e32 v2, v137
.LBB74_164:                             ;   in Loop: Header=BB74_149 Depth=1
	;; [unrolled: 40-line block ×6, first 2 shown]
	s_or_b64 exec, exec, s[0:1]
	v_add_co_u32_e32 v154, vcc, 13, v131
	v_addc_co_u32_e32 v155, vcc, 0, v132, vcc
	v_cmp_gt_i64_e32 vcc, s[12:13], v[154:155]
	v_mov_b32_e32 v154, 0
	v_mov_b32_e32 v139, 0
	v_mov_b32_e32 v179, 0
	s_and_saveexec_b64 s[0:1], vcc
	s_cbranch_execz .LBB74_182
; %bb.181:                              ;   in Loop: Header=BB74_149 Depth=1
	v_add_co_u32_e32 v155, vcc, v212, v4
	v_addc_co_u32_e32 v156, vcc, v213, v5, vcc
	global_load_ushort v137, v[155:156], off
	v_add_co_u32_e32 v155, vcc, v214, v4
	v_addc_co_u32_e32 v156, vcc, v215, v5, vcc
	global_load_ushort v155, v[155:156], off
	s_waitcnt vmcnt(1)
	v_cvt_f32_f16_e32 v139, v137
	s_waitcnt vmcnt(0)
	v_cvt_f32_f16_e32 v179, v155
.LBB74_182:                             ;   in Loop: Header=BB74_149 Depth=1
	s_or_b64 exec, exec, s[0:1]
	v_add_co_u32_e32 v155, vcc, 14, v131
	v_addc_co_u32_e32 v156, vcc, 0, v132, vcc
	v_cmp_gt_i64_e32 vcc, s[12:13], v[155:156]
	v_mov_b32_e32 v180, 0
	s_and_saveexec_b64 s[0:1], vcc
	s_cbranch_execz .LBB74_184
; %bb.183:                              ;   in Loop: Header=BB74_149 Depth=1
	buffer_load_dword v137, off, s[40:43], 0 offset:288 ; 4-byte Folded Reload
	s_waitcnt vmcnt(0)
	v_add_co_u32_e32 v154, vcc, v137, v4
	v_addc_co_u32_e32 v155, vcc, v209, v5, vcc
	global_load_ushort v137, v[154:155], off
	v_add_co_u32_e32 v154, vcc, v210, v4
	v_addc_co_u32_e32 v155, vcc, v211, v5, vcc
	global_load_ushort v155, v[154:155], off
	s_waitcnt vmcnt(1)
	v_cvt_f32_f16_e32 v154, v137
	s_waitcnt vmcnt(0)
	v_cvt_f32_f16_e32 v180, v155
.LBB74_184:                             ;   in Loop: Header=BB74_149 Depth=1
	s_or_b64 exec, exec, s[0:1]
	v_add_co_u32_e32 v155, vcc, 15, v131
	v_addc_co_u32_e32 v156, vcc, 0, v132, vcc
	v_cmp_gt_i64_e32 vcc, s[12:13], v[155:156]
	v_mov_b32_e32 v155, 0
	v_mov_b32_e32 v178, 0
	;; [unrolled: 1-line block ×3, first 2 shown]
	s_and_saveexec_b64 s[0:1], vcc
	s_cbranch_execz .LBB74_186
; %bb.185:                              ;   in Loop: Header=BB74_149 Depth=1
	buffer_load_dword v137, off, s[40:43], 0 offset:272 ; 4-byte Folded Reload
	s_waitcnt vmcnt(0)
	v_add_co_u32_e32 v156, vcc, v137, v4
	buffer_load_dword v137, off, s[40:43], 0 offset:276 ; 4-byte Folded Reload
	s_waitcnt vmcnt(0)
	v_addc_co_u32_e32 v157, vcc, v137, v5, vcc
	global_load_ushort v137, v[156:157], off
	s_waitcnt vmcnt(0)
	v_cvt_f32_f16_e32 v178, v137
	buffer_load_dword v156, off, s[40:43], 0 offset:280 ; 4-byte Folded Reload
	buffer_load_dword v157, off, s[40:43], 0 offset:284 ; 4-byte Folded Reload
	s_waitcnt vmcnt(1)
	v_add_co_u32_e32 v156, vcc, v156, v4
	s_waitcnt vmcnt(0)
	v_addc_co_u32_e32 v157, vcc, v157, v5, vcc
	global_load_ushort v156, v[156:157], off
	s_waitcnt vmcnt(0)
	v_cvt_f32_f16_e32 v182, v156
.LBB74_186:                             ;   in Loop: Header=BB74_149 Depth=1
	s_or_b64 exec, exec, s[0:1]
	v_add_co_u32_e32 v156, vcc, 16, v131
	v_addc_co_u32_e32 v157, vcc, 0, v132, vcc
	v_cmp_gt_i64_e32 vcc, s[12:13], v[156:157]
	v_mov_b32_e32 v183, 0
	s_and_saveexec_b64 s[0:1], vcc
	s_cbranch_execz .LBB74_188
; %bb.187:                              ;   in Loop: Header=BB74_149 Depth=1
	buffer_load_dword v137, off, s[40:43], 0 offset:256 ; 4-byte Folded Reload
	s_waitcnt vmcnt(0)
	v_add_co_u32_e32 v155, vcc, v137, v4
	buffer_load_dword v137, off, s[40:43], 0 offset:260 ; 4-byte Folded Reload
	s_waitcnt vmcnt(0)
	v_addc_co_u32_e32 v156, vcc, v137, v5, vcc
	global_load_ushort v137, v[155:156], off
	s_nop 0
	buffer_load_dword v155, off, s[40:43], 0 offset:264 ; 4-byte Folded Reload
	buffer_load_dword v156, off, s[40:43], 0 offset:268 ; 4-byte Folded Reload
	s_waitcnt vmcnt(1)
	v_add_co_u32_e32 v155, vcc, v155, v4
	s_waitcnt vmcnt(0)
	v_addc_co_u32_e32 v156, vcc, v156, v5, vcc
	global_load_ushort v156, v[155:156], off
	v_cvt_f32_f16_e32 v155, v137
	s_waitcnt vmcnt(0)
	v_cvt_f32_f16_e32 v183, v156
.LBB74_188:                             ;   in Loop: Header=BB74_149 Depth=1
	s_or_b64 exec, exec, s[0:1]
	v_add_co_u32_e32 v156, vcc, 17, v131
	v_addc_co_u32_e32 v157, vcc, 0, v132, vcc
	v_cmp_gt_i64_e32 vcc, s[12:13], v[156:157]
	v_mov_b32_e32 v156, 0
	v_mov_b32_e32 v181, 0
	;; [unrolled: 1-line block ×3, first 2 shown]
	s_and_saveexec_b64 s[0:1], vcc
	s_cbranch_execz .LBB74_190
; %bb.189:                              ;   in Loop: Header=BB74_149 Depth=1
	buffer_load_dword v137, off, s[40:43], 0 offset:240 ; 4-byte Folded Reload
	s_waitcnt vmcnt(0)
	v_add_co_u32_e32 v157, vcc, v137, v4
	buffer_load_dword v137, off, s[40:43], 0 offset:244 ; 4-byte Folded Reload
	s_waitcnt vmcnt(0)
	v_addc_co_u32_e32 v158, vcc, v137, v5, vcc
	global_load_ushort v137, v[157:158], off
	s_waitcnt vmcnt(0)
	v_cvt_f32_f16_e32 v181, v137
	buffer_load_dword v157, off, s[40:43], 0 offset:248 ; 4-byte Folded Reload
	buffer_load_dword v158, off, s[40:43], 0 offset:252 ; 4-byte Folded Reload
	s_waitcnt vmcnt(1)
	v_add_co_u32_e32 v157, vcc, v157, v4
	s_waitcnt vmcnt(0)
	v_addc_co_u32_e32 v158, vcc, v158, v5, vcc
	global_load_ushort v157, v[157:158], off
	s_waitcnt vmcnt(0)
	v_cvt_f32_f16_e32 v185, v157
.LBB74_190:                             ;   in Loop: Header=BB74_149 Depth=1
	s_or_b64 exec, exec, s[0:1]
	v_add_co_u32_e32 v157, vcc, 18, v131
	v_addc_co_u32_e32 v158, vcc, 0, v132, vcc
	v_cmp_gt_i64_e32 vcc, s[12:13], v[157:158]
	v_mov_b32_e32 v186, 0
	s_and_saveexec_b64 s[0:1], vcc
	s_cbranch_execz .LBB74_192
; %bb.191:                              ;   in Loop: Header=BB74_149 Depth=1
	buffer_load_dword v137, off, s[40:43], 0 offset:224 ; 4-byte Folded Reload
	s_waitcnt vmcnt(0)
	v_add_co_u32_e32 v156, vcc, v137, v4
	buffer_load_dword v137, off, s[40:43], 0 offset:228 ; 4-byte Folded Reload
	s_waitcnt vmcnt(0)
	v_addc_co_u32_e32 v157, vcc, v137, v5, vcc
	global_load_ushort v137, v[156:157], off
	s_nop 0
	buffer_load_dword v156, off, s[40:43], 0 offset:232 ; 4-byte Folded Reload
	buffer_load_dword v157, off, s[40:43], 0 offset:236 ; 4-byte Folded Reload
	s_waitcnt vmcnt(1)
	v_add_co_u32_e32 v156, vcc, v156, v4
	s_waitcnt vmcnt(0)
	v_addc_co_u32_e32 v157, vcc, v157, v5, vcc
	global_load_ushort v157, v[156:157], off
	v_cvt_f32_f16_e32 v156, v137
	s_waitcnt vmcnt(0)
	v_cvt_f32_f16_e32 v186, v157
.LBB74_192:                             ;   in Loop: Header=BB74_149 Depth=1
	s_or_b64 exec, exec, s[0:1]
	v_add_co_u32_e32 v157, vcc, 19, v131
	v_addc_co_u32_e32 v158, vcc, 0, v132, vcc
	v_cmp_gt_i64_e32 vcc, s[12:13], v[157:158]
	v_mov_b32_e32 v157, 0
	v_mov_b32_e32 v184, 0
	;; [unrolled: 1-line block ×3, first 2 shown]
	s_and_saveexec_b64 s[0:1], vcc
	s_cbranch_execz .LBB74_194
; %bb.193:                              ;   in Loop: Header=BB74_149 Depth=1
	buffer_load_dword v137, off, s[40:43], 0 offset:208 ; 4-byte Folded Reload
	buffer_load_dword v158, off, s[40:43], 0 offset:216 ; 4-byte Folded Reload
	s_waitcnt vmcnt(1)
	v_add_co_u32_e32 v187, vcc, v137, v4
	buffer_load_dword v137, off, s[40:43], 0 offset:212 ; 4-byte Folded Reload
	s_waitcnt vmcnt(0)
	v_addc_co_u32_e32 v188, vcc, v137, v5, vcc
	global_load_ushort v137, v[187:188], off
	v_add_co_u32_e32 v187, vcc, v158, v4
	buffer_load_dword v158, off, s[40:43], 0 offset:220 ; 4-byte Folded Reload
	s_waitcnt vmcnt(1)
	v_cvt_f32_f16_e32 v184, v137
	s_waitcnt vmcnt(0)
	v_addc_co_u32_e32 v188, vcc, v158, v5, vcc
	global_load_ushort v158, v[187:188], off
	s_waitcnt vmcnt(0)
	v_cvt_f32_f16_e32 v188, v158
.LBB74_194:                             ;   in Loop: Header=BB74_149 Depth=1
	s_or_b64 exec, exec, s[0:1]
	v_add_co_u32_e32 v189, vcc, 20, v131
	v_addc_co_u32_e32 v190, vcc, 0, v132, vcc
	v_cmp_gt_i64_e32 vcc, s[12:13], v[189:190]
	v_mov_b32_e32 v189, 0
	s_and_saveexec_b64 s[0:1], vcc
	s_cbranch_execz .LBB74_196
; %bb.195:                              ;   in Loop: Header=BB74_149 Depth=1
	buffer_load_dword v137, off, s[40:43], 0 offset:192 ; 4-byte Folded Reload
	s_waitcnt vmcnt(0)
	v_add_co_u32_e32 v157, vcc, v137, v4
	buffer_load_dword v137, off, s[40:43], 0 offset:196 ; 4-byte Folded Reload
	s_waitcnt vmcnt(0)
	v_addc_co_u32_e32 v158, vcc, v137, v5, vcc
	global_load_ushort v137, v[157:158], off
	s_nop 0
	buffer_load_dword v157, off, s[40:43], 0 offset:200 ; 4-byte Folded Reload
	buffer_load_dword v158, off, s[40:43], 0 offset:204 ; 4-byte Folded Reload
	s_waitcnt vmcnt(1)
	v_add_co_u32_e32 v157, vcc, v157, v4
	s_waitcnt vmcnt(0)
	v_addc_co_u32_e32 v158, vcc, v158, v5, vcc
	global_load_ushort v158, v[157:158], off
	v_cvt_f32_f16_e32 v157, v137
	s_waitcnt vmcnt(0)
	v_cvt_f32_f16_e32 v189, v158
.LBB74_196:                             ;   in Loop: Header=BB74_149 Depth=1
	s_or_b64 exec, exec, s[0:1]
	v_add_co_u32_e32 v190, vcc, 21, v131
	v_addc_co_u32_e32 v191, vcc, 0, v132, vcc
	v_cmp_gt_i64_e32 vcc, s[12:13], v[190:191]
	v_mov_b32_e32 v158, 0
	v_mov_b32_e32 v187, 0
	v_mov_b32_e32 v191, 0
	s_and_saveexec_b64 s[0:1], vcc
	s_cbranch_execz .LBB74_198
; %bb.197:                              ;   in Loop: Header=BB74_149 Depth=1
	buffer_load_dword v137, off, s[40:43], 0 offset:176 ; 4-byte Folded Reload
	buffer_load_dword v160, off, s[40:43], 0 offset:184 ; 4-byte Folded Reload
	s_waitcnt vmcnt(1)
	v_add_co_u32_e32 v190, vcc, v137, v4
	buffer_load_dword v137, off, s[40:43], 0 offset:180 ; 4-byte Folded Reload
	s_waitcnt vmcnt(0)
	v_addc_co_u32_e32 v191, vcc, v137, v5, vcc
	global_load_ushort v137, v[190:191], off
	v_add_co_u32_e32 v190, vcc, v160, v4
	buffer_load_dword v160, off, s[40:43], 0 offset:188 ; 4-byte Folded Reload
	s_waitcnt vmcnt(1)
	v_cvt_f32_f16_e32 v187, v137
	s_waitcnt vmcnt(0)
	v_addc_co_u32_e32 v191, vcc, v160, v5, vcc
	global_load_ushort v160, v[190:191], off
	s_waitcnt vmcnt(0)
	v_cvt_f32_f16_e32 v191, v160
.LBB74_198:                             ;   in Loop: Header=BB74_149 Depth=1
	s_or_b64 exec, exec, s[0:1]
	v_add_co_u32_e32 v192, vcc, 22, v131
	v_addc_co_u32_e32 v193, vcc, 0, v132, vcc
	v_cmp_gt_i64_e32 vcc, s[12:13], v[192:193]
	v_mov_b32_e32 v192, 0
	s_and_saveexec_b64 s[0:1], vcc
	s_cbranch_execz .LBB74_200
; %bb.199:                              ;   in Loop: Header=BB74_149 Depth=1
	buffer_load_dword v137, off, s[40:43], 0 offset:160 ; 4-byte Folded Reload
	buffer_load_dword v158, off, s[40:43], 0 offset:168 ; 4-byte Folded Reload
	s_waitcnt vmcnt(1)
	v_add_co_u32_e32 v192, vcc, v137, v4
	buffer_load_dword v137, off, s[40:43], 0 offset:164 ; 4-byte Folded Reload
	s_waitcnt vmcnt(0)
	v_addc_co_u32_e32 v193, vcc, v137, v5, vcc
	global_load_ushort v137, v[192:193], off
	v_add_co_u32_e32 v192, vcc, v158, v4
	buffer_load_dword v158, off, s[40:43], 0 offset:172 ; 4-byte Folded Reload
	s_waitcnt vmcnt(0)
	v_addc_co_u32_e32 v193, vcc, v158, v5, vcc
	global_load_ushort v160, v[192:193], off
	v_cvt_f32_f16_e32 v158, v137
	s_waitcnt vmcnt(0)
	v_cvt_f32_f16_e32 v192, v160
.LBB74_200:                             ;   in Loop: Header=BB74_149 Depth=1
	s_or_b64 exec, exec, s[0:1]
	v_add_co_u32_e32 v193, vcc, 23, v131
	v_addc_co_u32_e32 v194, vcc, 0, v132, vcc
	v_cmp_gt_i64_e32 vcc, s[12:13], v[193:194]
	v_mov_b32_e32 v160, 0
	v_mov_b32_e32 v190, 0
	v_mov_b32_e32 v194, 0
	s_and_saveexec_b64 s[0:1], vcc
	s_cbranch_execz .LBB74_202
; %bb.201:                              ;   in Loop: Header=BB74_149 Depth=1
	buffer_load_dword v137, off, s[40:43], 0 offset:144 ; 4-byte Folded Reload
	buffer_load_dword v162, off, s[40:43], 0 offset:152 ; 4-byte Folded Reload
	s_waitcnt vmcnt(1)
	v_add_co_u32_e32 v193, vcc, v137, v4
	buffer_load_dword v137, off, s[40:43], 0 offset:148 ; 4-byte Folded Reload
	s_waitcnt vmcnt(0)
	v_addc_co_u32_e32 v194, vcc, v137, v5, vcc
	global_load_ushort v137, v[193:194], off
	v_add_co_u32_e32 v193, vcc, v162, v4
	buffer_load_dword v162, off, s[40:43], 0 offset:156 ; 4-byte Folded Reload
	s_waitcnt vmcnt(1)
	v_cvt_f32_f16_e32 v190, v137
	s_waitcnt vmcnt(0)
	v_addc_co_u32_e32 v194, vcc, v162, v5, vcc
	global_load_ushort v162, v[193:194], off
	s_waitcnt vmcnt(0)
	v_cvt_f32_f16_e32 v194, v162
.LBB74_202:                             ;   in Loop: Header=BB74_149 Depth=1
	s_or_b64 exec, exec, s[0:1]
	v_add_co_u32_e32 v195, vcc, 24, v131
	v_addc_co_u32_e32 v196, vcc, 0, v132, vcc
	v_cmp_gt_i64_e32 vcc, s[12:13], v[195:196]
	v_mov_b32_e32 v195, 0
	s_and_saveexec_b64 s[0:1], vcc
	s_cbranch_execz .LBB74_204
; %bb.203:                              ;   in Loop: Header=BB74_149 Depth=1
	buffer_load_dword v137, off, s[40:43], 0 offset:128 ; 4-byte Folded Reload
	buffer_load_dword v160, off, s[40:43], 0 offset:136 ; 4-byte Folded Reload
	s_waitcnt vmcnt(1)
	v_add_co_u32_e32 v195, vcc, v137, v4
	buffer_load_dword v137, off, s[40:43], 0 offset:132 ; 4-byte Folded Reload
	s_waitcnt vmcnt(0)
	v_addc_co_u32_e32 v196, vcc, v137, v5, vcc
	global_load_ushort v137, v[195:196], off
	v_add_co_u32_e32 v195, vcc, v160, v4
	buffer_load_dword v160, off, s[40:43], 0 offset:140 ; 4-byte Folded Reload
	s_waitcnt vmcnt(0)
	v_addc_co_u32_e32 v196, vcc, v160, v5, vcc
	global_load_ushort v162, v[195:196], off
	v_cvt_f32_f16_e32 v160, v137
	s_waitcnt vmcnt(0)
	v_cvt_f32_f16_e32 v195, v162
.LBB74_204:                             ;   in Loop: Header=BB74_149 Depth=1
	;; [unrolled: 53-line block ×3, first 2 shown]
	s_or_b64 exec, exec, s[0:1]
	v_add_co_u32_e32 v199, vcc, 27, v131
	v_addc_co_u32_e32 v200, vcc, 0, v132, vcc
	v_cmp_gt_i64_e32 vcc, s[12:13], v[199:200]
	v_mov_b32_e32 v166, 0
	v_mov_b32_e32 v196, 0
	;; [unrolled: 1-line block ×3, first 2 shown]
	s_and_saveexec_b64 s[0:1], vcc
	s_cbranch_execz .LBB74_210
; %bb.209:                              ;   in Loop: Header=BB74_149 Depth=1
	buffer_load_dword v137, off, s[40:43], 0 offset:80 ; 4-byte Folded Reload
	buffer_load_dword v196, off, s[40:43], 0 offset:88 ; 4-byte Folded Reload
	s_waitcnt vmcnt(1)
	v_add_co_u32_e32 v199, vcc, v137, v4
	buffer_load_dword v137, off, s[40:43], 0 offset:84 ; 4-byte Folded Reload
	s_waitcnt vmcnt(0)
	v_addc_co_u32_e32 v200, vcc, v137, v5, vcc
	global_load_ushort v137, v[199:200], off
	v_add_co_u32_e32 v199, vcc, v196, v4
	buffer_load_dword v196, off, s[40:43], 0 offset:92 ; 4-byte Folded Reload
	s_waitcnt vmcnt(0)
	v_addc_co_u32_e32 v200, vcc, v196, v5, vcc
	global_load_ushort v199, v[199:200], off
	v_cvt_f32_f16_e32 v196, v137
	s_waitcnt vmcnt(0)
	v_cvt_f32_f16_e32 v201, v199
.LBB74_210:                             ;   in Loop: Header=BB74_149 Depth=1
	s_or_b64 exec, exec, s[0:1]
	v_add_co_u32_e32 v199, vcc, 28, v131
	v_addc_co_u32_e32 v200, vcc, 0, v132, vcc
	v_cmp_gt_i64_e32 vcc, s[12:13], v[199:200]
	v_mov_b32_e32 v202, 0
	s_and_saveexec_b64 s[0:1], vcc
	s_cbranch_execz .LBB74_212
; %bb.211:                              ;   in Loop: Header=BB74_149 Depth=1
	buffer_load_dword v137, off, s[40:43], 0 offset:64 ; 4-byte Folded Reload
	buffer_load_dword v166, off, s[40:43], 0 offset:72 ; 4-byte Folded Reload
	s_waitcnt vmcnt(1)
	v_add_co_u32_e32 v199, vcc, v137, v4
	buffer_load_dword v137, off, s[40:43], 0 offset:68 ; 4-byte Folded Reload
	s_waitcnt vmcnt(0)
	v_addc_co_u32_e32 v200, vcc, v137, v5, vcc
	global_load_ushort v137, v[199:200], off
	v_add_co_u32_e32 v199, vcc, v166, v4
	buffer_load_dword v166, off, s[40:43], 0 offset:76 ; 4-byte Folded Reload
	s_waitcnt vmcnt(0)
	v_addc_co_u32_e32 v200, vcc, v166, v5, vcc
	global_load_ushort v199, v[199:200], off
	v_cvt_f32_f16_e32 v166, v137
	s_waitcnt vmcnt(0)
	v_cvt_f32_f16_e32 v202, v199
.LBB74_212:                             ;   in Loop: Header=BB74_149 Depth=1
	s_or_b64 exec, exec, s[0:1]
	v_add_co_u32_e32 v199, vcc, 29, v131
	v_addc_co_u32_e32 v200, vcc, 0, v132, vcc
	v_cmp_gt_i64_e32 vcc, s[12:13], v[199:200]
	v_mov_b32_e32 v137, 0
	v_mov_b32_e32 v199, 0
	;; [unrolled: 1-line block ×3, first 2 shown]
	s_and_saveexec_b64 s[0:1], vcc
	s_cbranch_execz .LBB74_214
; %bb.213:                              ;   in Loop: Header=BB74_149 Depth=1
	buffer_load_dword v199, off, s[40:43], 0 offset:48 ; 4-byte Folded Reload
	buffer_load_dword v200, off, s[40:43], 0 offset:52 ; 4-byte Folded Reload
	s_waitcnt vmcnt(1)
	v_add_co_u32_e32 v199, vcc, v199, v4
	s_waitcnt vmcnt(0)
	v_addc_co_u32_e32 v200, vcc, v200, v5, vcc
	global_load_ushort v203, v[199:200], off
	s_nop 0
	buffer_load_dword v199, off, s[40:43], 0 offset:56 ; 4-byte Folded Reload
	buffer_load_dword v200, off, s[40:43], 0 offset:60 ; 4-byte Folded Reload
	s_waitcnt vmcnt(1)
	v_add_co_u32_e32 v199, vcc, v199, v4
	s_waitcnt vmcnt(0)
	v_addc_co_u32_e32 v200, vcc, v200, v5, vcc
	global_load_ushort v200, v[199:200], off
	v_cvt_f32_f16_e32 v199, v203
	s_waitcnt vmcnt(0)
	v_cvt_f32_f16_e32 v203, v200
.LBB74_214:                             ;   in Loop: Header=BB74_149 Depth=1
	s_or_b64 exec, exec, s[0:1]
	v_add_co_u32_e32 v204, vcc, 30, v131
	v_addc_co_u32_e32 v205, vcc, 0, v132, vcc
	v_cmp_gt_i64_e32 vcc, s[12:13], v[204:205]
	v_mov_b32_e32 v204, 0
	s_and_saveexec_b64 s[0:1], vcc
	s_cbranch_execz .LBB74_216
; %bb.215:                              ;   in Loop: Header=BB74_149 Depth=1
	buffer_load_dword v137, off, s[40:43], 0 offset:32 ; 4-byte Folded Reload
	buffer_load_dword v200, off, s[40:43], 0 offset:40 ; 4-byte Folded Reload
	s_waitcnt vmcnt(1)
	v_add_co_u32_e32 v204, vcc, v137, v4
	buffer_load_dword v137, off, s[40:43], 0 offset:36 ; 4-byte Folded Reload
	s_waitcnt vmcnt(0)
	v_addc_co_u32_e32 v205, vcc, v137, v5, vcc
	global_load_ushort v137, v[204:205], off
	v_add_co_u32_e32 v204, vcc, v200, v4
	buffer_load_dword v200, off, s[40:43], 0 offset:44 ; 4-byte Folded Reload
	s_waitcnt vmcnt(1)
	v_cvt_f32_f16_e32 v137, v137
	s_waitcnt vmcnt(0)
	v_addc_co_u32_e32 v205, vcc, v200, v5, vcc
	global_load_ushort v200, v[204:205], off
	s_waitcnt vmcnt(0)
	v_cvt_f32_f16_e32 v204, v200
.LBB74_216:                             ;   in Loop: Header=BB74_149 Depth=1
	s_or_b64 exec, exec, s[0:1]
	v_add_co_u32_e32 v205, vcc, 31, v131
	v_addc_co_u32_e32 v206, vcc, 0, v132, vcc
	v_cmp_gt_i64_e32 vcc, s[12:13], v[205:206]
	v_mov_b32_e32 v200, 0
	v_mov_b32_e32 v205, 0
	s_and_saveexec_b64 s[0:1], vcc
	s_cbranch_execz .LBB74_218
; %bb.217:                              ;   in Loop: Header=BB74_149 Depth=1
	buffer_load_dword v200, off, s[40:43], 0 offset:16 ; 4-byte Folded Reload
	s_waitcnt vmcnt(0)
	v_add_co_u32_e32 v205, vcc, v200, v4
	buffer_load_dword v200, off, s[40:43], 0 offset:20 ; 4-byte Folded Reload
	s_waitcnt vmcnt(0)
	v_addc_co_u32_e32 v206, vcc, v200, v5, vcc
	global_load_ushort v200, v[205:206], off
	s_waitcnt vmcnt(0)
	v_cvt_f32_f16_e32 v200, v200
	buffer_load_dword v205, off, s[40:43], 0 offset:24 ; 4-byte Folded Reload
	buffer_load_dword v206, off, s[40:43], 0 offset:28 ; 4-byte Folded Reload
	s_waitcnt vmcnt(1)
	v_add_co_u32_e32 v205, vcc, v205, v4
	s_waitcnt vmcnt(0)
	v_addc_co_u32_e32 v206, vcc, v206, v5, vcc
	global_load_ushort v205, v[205:206], off
	s_waitcnt vmcnt(0)
	v_cvt_f32_f16_e32 v205, v205
.LBB74_218:                             ;   in Loop: Header=BB74_149 Depth=1
	s_or_b64 exec, exec, s[0:1]
	s_waitcnt vmcnt(1)
	ds_bpermute_b32 v207, v145, v147
	s_waitcnt vmcnt(0)
	ds_bpermute_b32 v206, v145, v148
	s_mov_b64 s[0:1], 0
	s_waitcnt lgkmcnt(1)
	v_sub_f32_e32 v130, v130, v207
	ds_bpermute_b32 v207, v145, v147 offset:4
	v_mul_f32_e32 v130, v149, v130
	s_waitcnt lgkmcnt(1)
	v_fma_f32 v130, v130, v206, v146
	ds_bpermute_b32 v206, v145, v148 offset:4
	v_add_f32_e32 v149, v208, v149
	s_waitcnt lgkmcnt(1)
	v_sub_f32_e32 v163, v163, v207
	v_mul_f32_e32 v163, v159, v163
	v_add_f32_e32 v149, v149, v159
	s_waitcnt lgkmcnt(0)
	v_fmac_f32_e32 v130, v163, v206
	ds_bpermute_b32 v163, v145, v147 offset:8
	ds_bpermute_b32 v159, v145, v148 offset:8
	s_waitcnt lgkmcnt(1)
	v_sub_f32_e32 v163, v164, v163
	v_mul_f32_e32 v163, v133, v163
	s_waitcnt lgkmcnt(0)
	v_fmac_f32_e32 v130, v163, v159
	ds_bpermute_b32 v159, v145, v147 offset:12
	v_add_f32_e32 v133, v149, v133
	ds_bpermute_b32 v149, v145, v148 offset:12
	v_add_f32_e32 v133, v133, v161
	s_waitcnt lgkmcnt(1)
	v_sub_f32_e32 v159, v167, v159
	v_mul_f32_e32 v159, v161, v159
	s_waitcnt lgkmcnt(0)
	v_fmac_f32_e32 v130, v159, v149
	ds_bpermute_b32 v159, v145, v147 offset:16
	ds_bpermute_b32 v149, v145, v148 offset:16
	s_waitcnt lgkmcnt(1)
	v_sub_f32_e32 v2, v2, v159
	v_mul_f32_e32 v2, v134, v2
	s_waitcnt lgkmcnt(0)
	v_fmac_f32_e32 v130, v2, v149
	v_add_f32_e32 v2, v133, v134
	ds_bpermute_b32 v134, v145, v147 offset:20
	ds_bpermute_b32 v133, v145, v148 offset:20
	v_add_f32_e32 v2, v2, v165
	v_add_f32_e32 v2, v2, v150
	v_add_f32_e32 v2, v2, v168
	s_waitcnt lgkmcnt(1)
	v_sub_f32_e32 v134, v169, v134
	v_mul_f32_e32 v134, v165, v134
	s_waitcnt lgkmcnt(0)
	v_fmac_f32_e32 v130, v134, v133
	ds_bpermute_b32 v134, v145, v147 offset:24
	ds_bpermute_b32 v133, v145, v148 offset:24
	v_add_f32_e32 v2, v2, v151
	v_add_f32_e32 v2, v2, v171
	v_add_f32_e32 v2, v2, v152
	s_waitcnt lgkmcnt(1)
	v_sub_f32_e32 v134, v170, v134
	v_mul_f32_e32 v134, v150, v134
	s_waitcnt lgkmcnt(0)
	v_fmac_f32_e32 v130, v134, v133
	;; [unrolled: 10-line block ×8, first 2 shown]
	ds_bpermute_b32 v134, v145, v147 offset:52
	ds_bpermute_b32 v133, v145, v148 offset:52
	v_add_f32_e32 v2, v2, v199
	v_add_f32_e32 v2, v2, v137
	s_waitcnt lgkmcnt(1)
	v_sub_f32_e32 v134, v179, v134
	v_mul_f32_e32 v134, v139, v134
	s_waitcnt lgkmcnt(0)
	v_fmac_f32_e32 v130, v134, v133
	ds_bpermute_b32 v134, v145, v147 offset:56
	ds_bpermute_b32 v133, v145, v148 offset:56
	s_waitcnt lgkmcnt(1)
	v_sub_f32_e32 v134, v180, v134
	v_mul_f32_e32 v134, v154, v134
	s_waitcnt lgkmcnt(0)
	v_fmac_f32_e32 v130, v134, v133
	ds_bpermute_b32 v134, v145, v147 offset:60
	ds_bpermute_b32 v133, v145, v148 offset:60
	;; [unrolled: 7-line block ×18, first 2 shown]
	s_waitcnt lgkmcnt(1)
	v_sub_f32_e32 v134, v205, v134
	v_mul_f32_e32 v134, v200, v134
	s_waitcnt lgkmcnt(0)
	v_fmac_f32_e32 v130, v134, v133
	v_add_f32_e32 v133, v2, v200
.LBB74_219:                             ;   in Loop: Header=BB74_149 Depth=1
	s_and_b64 vcc, exec, s[0:1]
	s_cbranch_vccz .LBB74_225
; %bb.220:                              ;   in Loop: Header=BB74_149 Depth=1
	s_load_dword s0, s[2:3], 0x0
	buffer_load_dword v133, off, s[40:43], 0 offset:304 ; 4-byte Folded Reload
	buffer_load_dword v134, off, s[40:43], 0 offset:308 ; 4-byte Folded Reload
	v_mov_b32_e32 v2, 0
	s_waitcnt lgkmcnt(0)
	s_cmp_lt_u32 s6, s0
	s_cselect_b32 s0, 12, 18
	s_add_u32 s0, s2, s0
	s_addc_u32 s1, s3, 0
	s_waitcnt vmcnt(0)
	global_load_ushort v130, v134, s[0:1]
	s_nop 0
	buffer_load_dword v133, off, s[40:43], 0 offset:292 ; 4-byte Folded Reload
	buffer_load_dword v134, off, s[40:43], 0 offset:296 ; 4-byte Folded Reload
	;; [unrolled: 1-line block ×3, first 2 shown]
	s_waitcnt vmcnt(0)
	v_mad_u32_u24 v130, v133, v130, v134
	v_and_b32_e32 v130, 63, v130
	v_cmp_gt_u32_e32 vcc, 32, v130
	v_mov_b32_e32 v133, 0
	s_and_saveexec_b64 s[0:1], vcc
	s_cbranch_execz .LBB74_224
; %bb.221:                              ;   in Loop: Header=BB74_149 Depth=1
	v_add_co_u32_e32 v130, vcc, v131, v130
	v_addc_co_u32_e32 v131, vcc, 0, v132, vcc
	v_cmp_gt_i64_e32 vcc, s[12:13], v[130:131]
	v_mov_b32_e32 v133, 0
	v_mov_b32_e32 v2, 0
	s_and_saveexec_b64 s[18:19], vcc
	s_cbranch_execz .LBB74_223
; %bb.222:                              ;   in Loop: Header=BB74_149 Depth=1
	v_lshlrev_b64 v[130:131], 2, v[130:131]
	v_mov_b32_e32 v2, s23
	v_add_co_u32_e32 v137, vcc, s22, v130
	v_addc_co_u32_e32 v138, vcc, v2, v131, vcc
	v_mov_b32_e32 v2, s21
	v_add_co_u32_e32 v130, vcc, s20, v130
	v_addc_co_u32_e32 v131, vcc, v2, v131, vcc
	global_load_dword v133, v[130:131], off
	global_load_dword v2, v[137:138], off
.LBB74_223:                             ;   in Loop: Header=BB74_149 Depth=1
	s_or_b64 exec, exec, s[18:19]
.LBB74_224:                             ;   in Loop: Header=BB74_149 Depth=1
	s_or_b64 exec, exec, s[0:1]
	buffer_load_dword v130, off, s[40:43], 0 ; 4-byte Folded Reload
	buffer_load_dword v131, off, s[40:43], 0 offset:4 ; 4-byte Folded Reload
	s_waitcnt vmcnt(2)
	ds_bpermute_b32 v205, v145, v2
	s_waitcnt vmcnt(1)
	v_add_co_u32_e32 v130, vcc, v130, v4
	s_waitcnt vmcnt(0)
	v_addc_co_u32_e32 v131, vcc, v131, v5, vcc
	global_load_ushort v132, v[130:131], off
	s_nop 0
	buffer_load_dword v130, off, s[40:43], 0 offset:8 ; 4-byte Folded Reload
	buffer_load_dword v131, off, s[40:43], 0 offset:12 ; 4-byte Folded Reload
	s_waitcnt vmcnt(1)
	v_add_co_u32_e32 v130, vcc, v130, v4
	s_waitcnt vmcnt(0)
	v_addc_co_u32_e32 v131, vcc, v131, v5, vcc
	global_load_ushort v134, v[130:131], off
	v_add_co_u32_e32 v130, vcc, v6, v4
	v_addc_co_u32_e32 v131, vcc, v7, v5, vcc
	global_load_ushort v137, v[130:131], off
	v_add_co_u32_e32 v130, vcc, v68, v4
	v_addc_co_u32_e32 v131, vcc, v69, v5, vcc
	global_load_ushort v138, v[130:131], off
	v_add_co_u32_e32 v130, vcc, v8, v4
	v_addc_co_u32_e32 v131, vcc, v9, v5, vcc
	global_load_ushort v139, v[130:131], off
	v_add_co_u32_e32 v130, vcc, v70, v4
	v_addc_co_u32_e32 v131, vcc, v71, v5, vcc
	global_load_ushort v147, v[130:131], off
	v_add_co_u32_e32 v130, vcc, v10, v4
	v_addc_co_u32_e32 v131, vcc, v11, v5, vcc
	global_load_ushort v148, v[130:131], off
	v_add_co_u32_e32 v130, vcc, v72, v4
	v_addc_co_u32_e32 v131, vcc, v73, v5, vcc
	global_load_ushort v149, v[130:131], off
	v_add_co_u32_e32 v130, vcc, v12, v4
	v_addc_co_u32_e32 v131, vcc, v13, v5, vcc
	global_load_ushort v150, v[130:131], off
	v_add_co_u32_e32 v130, vcc, v74, v4
	v_addc_co_u32_e32 v131, vcc, v75, v5, vcc
	global_load_ushort v151, v[130:131], off
	v_add_co_u32_e32 v130, vcc, v14, v4
	v_addc_co_u32_e32 v131, vcc, v15, v5, vcc
	global_load_ushort v152, v[130:131], off
	v_add_co_u32_e32 v130, vcc, v76, v4
	v_addc_co_u32_e32 v131, vcc, v77, v5, vcc
	global_load_ushort v153, v[130:131], off
	v_add_co_u32_e32 v130, vcc, v16, v4
	v_addc_co_u32_e32 v131, vcc, v17, v5, vcc
	global_load_ushort v154, v[130:131], off
	v_add_co_u32_e32 v130, vcc, v78, v4
	v_addc_co_u32_e32 v131, vcc, v79, v5, vcc
	global_load_ushort v155, v[130:131], off
	v_add_co_u32_e32 v130, vcc, v18, v4
	v_addc_co_u32_e32 v131, vcc, v19, v5, vcc
	global_load_ushort v156, v[130:131], off
	v_add_co_u32_e32 v130, vcc, v80, v4
	v_addc_co_u32_e32 v131, vcc, v81, v5, vcc
	global_load_ushort v157, v[130:131], off
	v_add_co_u32_e32 v130, vcc, v20, v4
	v_addc_co_u32_e32 v131, vcc, v21, v5, vcc
	global_load_ushort v158, v[130:131], off
	v_add_co_u32_e32 v130, vcc, v82, v4
	v_addc_co_u32_e32 v131, vcc, v83, v5, vcc
	global_load_ushort v159, v[130:131], off
	v_add_co_u32_e32 v130, vcc, v22, v4
	v_addc_co_u32_e32 v131, vcc, v23, v5, vcc
	global_load_ushort v160, v[130:131], off
	v_add_co_u32_e32 v130, vcc, v84, v4
	v_addc_co_u32_e32 v131, vcc, v85, v5, vcc
	global_load_ushort v161, v[130:131], off
	v_add_co_u32_e32 v130, vcc, v24, v4
	v_addc_co_u32_e32 v131, vcc, v25, v5, vcc
	global_load_ushort v162, v[130:131], off
	v_add_co_u32_e32 v130, vcc, v86, v4
	v_addc_co_u32_e32 v131, vcc, v87, v5, vcc
	global_load_ushort v163, v[130:131], off
	v_add_co_u32_e32 v130, vcc, v26, v4
	v_addc_co_u32_e32 v131, vcc, v27, v5, vcc
	global_load_ushort v164, v[130:131], off
	v_add_co_u32_e32 v130, vcc, v88, v4
	v_addc_co_u32_e32 v131, vcc, v89, v5, vcc
	global_load_ushort v165, v[130:131], off
	v_add_co_u32_e32 v130, vcc, v28, v4
	v_addc_co_u32_e32 v131, vcc, v29, v5, vcc
	global_load_ushort v166, v[130:131], off
	v_add_co_u32_e32 v130, vcc, v90, v4
	v_addc_co_u32_e32 v131, vcc, v91, v5, vcc
	global_load_ushort v167, v[130:131], off
	v_add_co_u32_e32 v130, vcc, v30, v4
	v_addc_co_u32_e32 v131, vcc, v31, v5, vcc
	global_load_ushort v168, v[130:131], off
	v_add_co_u32_e32 v130, vcc, v92, v4
	v_addc_co_u32_e32 v131, vcc, v93, v5, vcc
	global_load_ushort v169, v[130:131], off
	v_add_co_u32_e32 v130, vcc, v32, v4
	v_addc_co_u32_e32 v131, vcc, v33, v5, vcc
	global_load_ushort v170, v[130:131], off
	v_add_co_u32_e32 v130, vcc, v94, v4
	v_addc_co_u32_e32 v131, vcc, v95, v5, vcc
	global_load_ushort v171, v[130:131], off
	v_add_co_u32_e32 v130, vcc, v34, v4
	v_addc_co_u32_e32 v131, vcc, v35, v5, vcc
	global_load_ushort v172, v[130:131], off
	v_add_co_u32_e32 v130, vcc, v96, v4
	v_addc_co_u32_e32 v131, vcc, v97, v5, vcc
	global_load_ushort v173, v[130:131], off
	v_add_co_u32_e32 v130, vcc, v36, v4
	v_addc_co_u32_e32 v131, vcc, v37, v5, vcc
	global_load_ushort v174, v[130:131], off
	v_add_co_u32_e32 v130, vcc, v98, v4
	v_addc_co_u32_e32 v131, vcc, v99, v5, vcc
	global_load_ushort v175, v[130:131], off
	v_add_co_u32_e32 v130, vcc, v38, v4
	v_addc_co_u32_e32 v131, vcc, v39, v5, vcc
	global_load_ushort v176, v[130:131], off
	v_add_co_u32_e32 v130, vcc, v100, v4
	v_addc_co_u32_e32 v131, vcc, v101, v5, vcc
	global_load_ushort v177, v[130:131], off
	v_add_co_u32_e32 v130, vcc, v40, v4
	v_addc_co_u32_e32 v131, vcc, v41, v5, vcc
	global_load_ushort v178, v[130:131], off
	v_add_co_u32_e32 v130, vcc, v102, v4
	v_addc_co_u32_e32 v131, vcc, v103, v5, vcc
	global_load_ushort v179, v[130:131], off
	v_add_co_u32_e32 v130, vcc, v42, v4
	v_addc_co_u32_e32 v131, vcc, v43, v5, vcc
	global_load_ushort v180, v[130:131], off
	v_add_co_u32_e32 v130, vcc, v104, v4
	v_addc_co_u32_e32 v131, vcc, v105, v5, vcc
	global_load_ushort v181, v[130:131], off
	v_add_co_u32_e32 v130, vcc, v44, v4
	v_addc_co_u32_e32 v131, vcc, v45, v5, vcc
	global_load_ushort v182, v[130:131], off
	v_add_co_u32_e32 v130, vcc, v106, v4
	v_addc_co_u32_e32 v131, vcc, v107, v5, vcc
	global_load_ushort v183, v[130:131], off
	v_add_co_u32_e32 v130, vcc, v46, v4
	v_addc_co_u32_e32 v131, vcc, v47, v5, vcc
	global_load_ushort v184, v[130:131], off
	v_add_co_u32_e32 v130, vcc, v108, v4
	v_addc_co_u32_e32 v131, vcc, v109, v5, vcc
	global_load_ushort v185, v[130:131], off
	v_add_co_u32_e32 v130, vcc, v48, v4
	v_addc_co_u32_e32 v131, vcc, v49, v5, vcc
	global_load_ushort v186, v[130:131], off
	v_add_co_u32_e32 v130, vcc, v110, v4
	v_addc_co_u32_e32 v131, vcc, v111, v5, vcc
	global_load_ushort v187, v[130:131], off
	v_add_co_u32_e32 v130, vcc, v50, v4
	v_addc_co_u32_e32 v131, vcc, v51, v5, vcc
	global_load_ushort v188, v[130:131], off
	v_add_co_u32_e32 v130, vcc, v112, v4
	v_addc_co_u32_e32 v131, vcc, v113, v5, vcc
	global_load_ushort v189, v[130:131], off
	v_add_co_u32_e32 v130, vcc, v52, v4
	v_addc_co_u32_e32 v131, vcc, v53, v5, vcc
	global_load_ushort v190, v[130:131], off
	v_add_co_u32_e32 v130, vcc, v114, v4
	v_addc_co_u32_e32 v131, vcc, v115, v5, vcc
	global_load_ushort v191, v[130:131], off
	v_add_co_u32_e32 v130, vcc, v54, v4
	v_addc_co_u32_e32 v131, vcc, v55, v5, vcc
	global_load_ushort v192, v[130:131], off
	v_add_co_u32_e32 v130, vcc, v116, v4
	v_addc_co_u32_e32 v131, vcc, v117, v5, vcc
	global_load_ushort v193, v[130:131], off
	v_add_co_u32_e32 v130, vcc, v56, v4
	v_addc_co_u32_e32 v131, vcc, v57, v5, vcc
	global_load_ushort v194, v[130:131], off
	v_add_co_u32_e32 v130, vcc, v118, v4
	v_addc_co_u32_e32 v131, vcc, v119, v5, vcc
	global_load_ushort v195, v[130:131], off
	v_add_co_u32_e32 v130, vcc, v58, v4
	v_addc_co_u32_e32 v131, vcc, v59, v5, vcc
	global_load_ushort v196, v[130:131], off
	v_add_co_u32_e32 v130, vcc, v120, v4
	v_addc_co_u32_e32 v131, vcc, v121, v5, vcc
	global_load_ushort v197, v[130:131], off
	v_add_co_u32_e32 v130, vcc, v60, v4
	v_addc_co_u32_e32 v131, vcc, v61, v5, vcc
	global_load_ushort v198, v[130:131], off
	v_add_co_u32_e32 v130, vcc, v122, v4
	v_addc_co_u32_e32 v131, vcc, v123, v5, vcc
	global_load_ushort v199, v[130:131], off
	v_add_co_u32_e32 v130, vcc, v62, v4
	v_addc_co_u32_e32 v131, vcc, v63, v5, vcc
	global_load_ushort v200, v[130:131], off
	v_add_co_u32_e32 v130, vcc, v124, v4
	v_addc_co_u32_e32 v131, vcc, v125, v5, vcc
	global_load_ushort v201, v[130:131], off
	v_add_co_u32_e32 v130, vcc, v64, v4
	v_addc_co_u32_e32 v131, vcc, v65, v5, vcc
	global_load_ushort v202, v[130:131], off
	v_add_co_u32_e32 v130, vcc, v126, v4
	v_addc_co_u32_e32 v131, vcc, v127, v5, vcc
	global_load_ushort v203, v[130:131], off
	v_add_co_u32_e32 v130, vcc, v66, v4
	v_addc_co_u32_e32 v131, vcc, v67, v5, vcc
	global_load_ushort v204, v[130:131], off
	v_add_co_u32_e32 v130, vcc, v128, v4
	v_addc_co_u32_e32 v131, vcc, v129, v5, vcc
	global_load_ushort v130, v[130:131], off
	v_cvt_f32_f16_e32 v131, v132
	s_waitcnt vmcnt(62)
	v_cvt_f32_f16_e32 v132, v134
	s_waitcnt vmcnt(61)
	;; [unrolled: 2-line block ×60, first 2 shown]
	v_cvt_f32_f16_e32 v201, v202
	ds_bpermute_b32 v202, v145, v133
	s_waitcnt vmcnt(2)
	v_cvt_f32_f16_e32 v203, v203
	s_waitcnt lgkmcnt(0)
	v_sub_f32_e32 v132, v132, v202
	ds_bpermute_b32 v202, v145, v133 offset:4
	v_mul_f32_e32 v132, v132, v131
	v_fmac_f32_e32 v146, v132, v205
	ds_bpermute_b32 v132, v145, v2 offset:4
	v_add_f32_e32 v131, v208, v131
	s_waitcnt lgkmcnt(1)
	v_sub_f32_e32 v137, v137, v202
	ds_bpermute_b32 v202, v145, v133 offset:8
	v_mul_f32_e32 v137, v137, v134
	s_waitcnt lgkmcnt(1)
	v_fmac_f32_e32 v146, v137, v132
	ds_bpermute_b32 v132, v145, v2 offset:8
	v_add_f32_e32 v131, v131, v134
	s_waitcnt lgkmcnt(1)
	v_sub_f32_e32 v134, v139, v202
	ds_bpermute_b32 v137, v145, v133 offset:12
	v_mul_f32_e32 v134, v134, v138
	s_waitcnt lgkmcnt(1)
	;; [unrolled: 8-line block ×24, first 2 shown]
	v_fmac_f32_e32 v146, v134, v132
	ds_bpermute_b32 v132, v145, v2 offset:100
	s_waitcnt vmcnt(0)
	v_cvt_f32_f16_e32 v130, v130
	s_waitcnt lgkmcnt(1)
	v_sub_f32_e32 v134, v192, v137
	ds_bpermute_b32 v137, v145, v133 offset:104
	v_mul_f32_e32 v134, v134, v191
	s_waitcnt lgkmcnt(1)
	v_fmac_f32_e32 v146, v134, v132
	ds_bpermute_b32 v132, v145, v2 offset:104
	v_add_f32_e32 v131, v131, v189
	s_waitcnt lgkmcnt(1)
	v_sub_f32_e32 v134, v194, v137
	ds_bpermute_b32 v137, v145, v133 offset:108
	v_mul_f32_e32 v134, v134, v193
	s_waitcnt lgkmcnt(1)
	v_fmac_f32_e32 v146, v134, v132
	ds_bpermute_b32 v132, v145, v2 offset:108
	v_cvt_f32_f16_e32 v204, v204
	s_waitcnt lgkmcnt(1)
	v_sub_f32_e32 v134, v196, v137
	ds_bpermute_b32 v137, v145, v133 offset:112
	v_mul_f32_e32 v134, v134, v195
	s_waitcnt lgkmcnt(1)
	v_fmac_f32_e32 v146, v134, v132
	ds_bpermute_b32 v132, v145, v2 offset:112
	v_add_f32_e32 v131, v131, v191
	s_waitcnt lgkmcnt(1)
	v_sub_f32_e32 v134, v198, v137
	ds_bpermute_b32 v137, v145, v133 offset:116
	v_mul_f32_e32 v134, v134, v197
	s_waitcnt lgkmcnt(1)
	v_fmac_f32_e32 v146, v134, v132
	ds_bpermute_b32 v132, v145, v2 offset:116
	v_add_f32_e32 v131, v131, v193
	s_waitcnt lgkmcnt(1)
	v_sub_f32_e32 v134, v200, v137
	ds_bpermute_b32 v137, v145, v133 offset:120
	v_mul_f32_e32 v134, v134, v199
	ds_bpermute_b32 v133, v145, v133 offset:124
	s_waitcnt lgkmcnt(2)
	v_fmac_f32_e32 v146, v134, v132
	ds_bpermute_b32 v132, v145, v2 offset:120
	ds_bpermute_b32 v2, v145, v2 offset:124
	v_add_f32_e32 v131, v131, v195
	s_waitcnt lgkmcnt(3)
	v_sub_f32_e32 v134, v203, v137
	v_add_f32_e32 v131, v131, v197
	v_mul_f32_e32 v134, v134, v201
	s_waitcnt lgkmcnt(2)
	v_sub_f32_e32 v130, v130, v133
	v_add_f32_e32 v131, v131, v199
	s_waitcnt lgkmcnt(1)
	v_fmac_f32_e32 v146, v134, v132
	v_mul_f32_e32 v130, v130, v204
	v_add_f32_e32 v131, v131, v201
	s_waitcnt lgkmcnt(0)
	v_fmac_f32_e32 v146, v130, v2
	v_add_f32_e32 v133, v131, v204
	v_mov_b32_e32 v130, v146
.LBB74_225:                             ;   in Loop: Header=BB74_149 Depth=1
	buffer_load_dword v2, off, s[40:43], 0  ; 4-byte Folded Reload
	buffer_load_dword v131, off, s[40:43], 0 offset:4 ; 4-byte Folded Reload
	s_add_u32 s16, s16, s7
	s_addc_u32 s17, s17, 0
	s_add_u32 s26, s26, s7
	s_addc_u32 s27, 0, s27
	s_waitcnt vmcnt(1)
	v_add_co_u32_e32 v2, vcc, s10, v2
	buffer_store_dword v2, off, s[40:43], 0 ; 4-byte Folded Spill
	v_mov_b32_e32 v2, s11
	s_waitcnt vmcnt(1)
	v_addc_co_u32_e32 v131, vcc, v131, v2, vcc
	buffer_store_dword v131, off, s[40:43], 0 offset:4 ; 4-byte Folded Spill
	buffer_load_dword v131, off, s[40:43], 0 offset:8 ; 4-byte Folded Reload
	s_waitcnt vmcnt(0)
	v_add_co_u32_e32 v131, vcc, s10, v131
	buffer_store_dword v131, off, s[40:43], 0 offset:8 ; 4-byte Folded Spill
	buffer_load_dword v131, off, s[40:43], 0 offset:12 ; 4-byte Folded Reload
	s_waitcnt vmcnt(0)
	v_addc_co_u32_e32 v131, vcc, v131, v2, vcc
	v_add_co_u32_e32 v135, vcc, s7, v135
	v_addc_co_u32_e32 v136, vcc, 0, v136, vcc
	v_add_co_u32_e32 v6, vcc, s10, v6
	;; [unrolled: 2-line block ×23, first 2 shown]
	v_addc_co_u32_e32 v49, vcc, v49, v2, vcc
	buffer_store_dword v131, off, s[40:43], 0 offset:12 ; 4-byte Folded Spill
	v_add_co_u32_e32 v50, vcc, s10, v50
	buffer_load_dword v131, off, s[40:43], 0 offset:16 ; 4-byte Folded Reload
	v_addc_co_u32_e32 v51, vcc, v51, v2, vcc
	v_add_co_u32_e32 v52, vcc, s10, v52
	v_addc_co_u32_e32 v53, vcc, v53, v2, vcc
	v_add_co_u32_e32 v54, vcc, s10, v54
	;; [unrolled: 2-line block ×39, first 2 shown]
	v_addc_co_u32_e32 v129, vcc, v129, v2, vcc
	s_waitcnt vmcnt(0)
	v_add_co_u32_e32 v131, vcc, s10, v131
	buffer_store_dword v131, off, s[40:43], 0 offset:16 ; 4-byte Folded Spill
	buffer_load_dword v131, off, s[40:43], 0 offset:20 ; 4-byte Folded Reload
	s_waitcnt vmcnt(0)
	v_addc_co_u32_e32 v131, vcc, v131, v2, vcc
	buffer_store_dword v131, off, s[40:43], 0 offset:20 ; 4-byte Folded Spill
	buffer_load_dword v131, off, s[40:43], 0 offset:24 ; 4-byte Folded Reload
	s_waitcnt vmcnt(0)
	v_add_co_u32_e32 v131, vcc, s10, v131
	buffer_store_dword v131, off, s[40:43], 0 offset:24 ; 4-byte Folded Spill
	buffer_load_dword v131, off, s[40:43], 0 offset:28 ; 4-byte Folded Reload
	s_waitcnt vmcnt(0)
	v_addc_co_u32_e32 v131, vcc, v131, v2, vcc
	buffer_store_dword v131, off, s[40:43], 0 offset:28 ; 4-byte Folded Spill
	buffer_load_dword v131, off, s[40:43], 0 offset:32 ; 4-byte Folded Reload
	;; [unrolled: 8-line block ×34, first 2 shown]
	s_waitcnt vmcnt(0)
	v_add_co_u32_e32 v131, vcc, s10, v131
	v_addc_co_u32_e32 v209, vcc, v209, v2, vcc
	v_add_co_u32_e32 v210, vcc, s10, v210
	v_addc_co_u32_e32 v211, vcc, v211, v2, vcc
	;; [unrolled: 2-line block ×27, first 2 shown]
	buffer_store_dword v131, off, s[40:43], 0 offset:288 ; 4-byte Folded Spill
	v_add_co_u32_e32 v143, vcc, s10, v143
	v_mov_b32_e32 v132, s13
	v_addc_co_u32_e32 v144, vcc, v144, v2, vcc
	v_mov_b32_e32 v131, s12
	v_cmp_ge_i64_e32 vcc, s[16:17], v[131:132]
	s_cbranch_vccnz .LBB74_227
; %bb.226:                              ;   in Loop: Header=BB74_149 Depth=1
	v_mov_b32_e32 v208, v133
	v_mov_b32_e32 v146, v130
	s_branch .LBB74_149
.LBB74_227:
	buffer_load_dword v1, off, s[40:43], 0 offset:292 ; 4-byte Folded Reload
	buffer_load_dword v2, off, s[40:43], 0 offset:296 ; 4-byte Folded Reload
	;; [unrolled: 1-line block ×3, first 2 shown]
.LBB74_228:
	s_mov_b32 s7, 0
	s_lshl_b64 s[0:1], s[6:7], 6
	s_waitcnt vmcnt(0)
	v_or_b32_e32 v4, s0, v0
	v_mov_b32_e32 v5, s1
	v_cmp_gt_i64_e32 vcc, s[14:15], v[4:5]
	s_and_saveexec_b64 s[0:1], vcc
	s_cbranch_execz .LBB74_233
; %bb.229:
	s_load_dword s0, s[4:5], 0x4c
	v_mov_b32_e32 v2, 0
	v_mov_b32_e32 v0, s8
	s_waitcnt lgkmcnt(0)
	s_lshr_b32 s0, s0, 16
	v_mad_u64_u32 v[2:3], s[0:1], s0, v0, v[1:2]
	s_load_dwordx4 s[0:3], s[4:5], 0x30
	v_lshlrev_b64 v[0:1], 1, v[4:5]
	v_mul_lo_u32 v3, v3, s14
	v_mul_lo_u32 v6, v2, s15
	s_waitcnt lgkmcnt(0)
	s_cmp_eq_u64 s[0:1], 0
	s_cbranch_scc1 .LBB74_231
; %bb.230:
	v_mad_u64_u32 v[4:5], s[4:5], v2, s14, 0
	v_cvt_f16_f32_e32 v7, v130
	v_mov_b32_e32 v8, s1
	v_add3_u32 v5, v5, v6, v3
	v_lshlrev_b64 v[4:5], 1, v[4:5]
	v_add_co_u32_e32 v4, vcc, s0, v4
	v_addc_co_u32_e32 v5, vcc, v8, v5, vcc
	v_add_co_u32_e32 v4, vcc, v4, v0
	v_addc_co_u32_e32 v5, vcc, v5, v1, vcc
	global_store_short v[4:5], v7, off
.LBB74_231:
	s_cmp_eq_u64 s[2:3], 0
	s_cbranch_scc1 .LBB74_233
; %bb.232:
	v_mad_u64_u32 v[4:5], s[0:1], v2, s14, 0
	v_cvt_f16_f32_e32 v7, v133
	v_mov_b32_e32 v8, s3
	v_add3_u32 v5, v5, v6, v3
	v_lshlrev_b64 v[2:3], 1, v[4:5]
	v_add_co_u32_e32 v2, vcc, s2, v2
	v_addc_co_u32_e32 v3, vcc, v8, v3, vcc
	v_add_co_u32_e32 v0, vcc, v2, v0
	v_addc_co_u32_e32 v1, vcc, v3, v1, vcc
	global_store_short v[0:1], v7, off
.LBB74_233:
	s_endpgm
	.section	.rodata,"a",@progbits
	.p2align	6, 0x0
	.amdhsa_kernel _ZN2at6native12_GLOBAL__N_135GammaBetaBackwardCUDAKernelTemplateIN3c104HalfEfLj64ELj1ELj32ELb1ELb0ELb0EEEvllPKT_S7_PKT0_SA_PS5_SB_
		.amdhsa_group_segment_fixed_size 0
		.amdhsa_private_segment_fixed_size 316
		.amdhsa_kernarg_size 320
		.amdhsa_user_sgpr_count 6
		.amdhsa_user_sgpr_private_segment_buffer 1
		.amdhsa_user_sgpr_dispatch_ptr 0
		.amdhsa_user_sgpr_queue_ptr 0
		.amdhsa_user_sgpr_kernarg_segment_ptr 1
		.amdhsa_user_sgpr_dispatch_id 0
		.amdhsa_user_sgpr_flat_scratch_init 0
		.amdhsa_user_sgpr_private_segment_size 0
		.amdhsa_uses_dynamic_stack 0
		.amdhsa_system_sgpr_private_segment_wavefront_offset 1
		.amdhsa_system_sgpr_workgroup_id_x 1
		.amdhsa_system_sgpr_workgroup_id_y 1
		.amdhsa_system_sgpr_workgroup_id_z 0
		.amdhsa_system_sgpr_workgroup_info 0
		.amdhsa_system_vgpr_workitem_id 1
		.amdhsa_next_free_vgpr 256
		.amdhsa_next_free_sgpr 44
		.amdhsa_reserve_vcc 1
		.amdhsa_reserve_flat_scratch 0
		.amdhsa_float_round_mode_32 0
		.amdhsa_float_round_mode_16_64 0
		.amdhsa_float_denorm_mode_32 3
		.amdhsa_float_denorm_mode_16_64 3
		.amdhsa_dx10_clamp 1
		.amdhsa_ieee_mode 1
		.amdhsa_fp16_overflow 0
		.amdhsa_exception_fp_ieee_invalid_op 0
		.amdhsa_exception_fp_denorm_src 0
		.amdhsa_exception_fp_ieee_div_zero 0
		.amdhsa_exception_fp_ieee_overflow 0
		.amdhsa_exception_fp_ieee_underflow 0
		.amdhsa_exception_fp_ieee_inexact 0
		.amdhsa_exception_int_div_zero 0
	.end_amdhsa_kernel
	.section	.text._ZN2at6native12_GLOBAL__N_135GammaBetaBackwardCUDAKernelTemplateIN3c104HalfEfLj64ELj1ELj32ELb1ELb0ELb0EEEvllPKT_S7_PKT0_SA_PS5_SB_,"axG",@progbits,_ZN2at6native12_GLOBAL__N_135GammaBetaBackwardCUDAKernelTemplateIN3c104HalfEfLj64ELj1ELj32ELb1ELb0ELb0EEEvllPKT_S7_PKT0_SA_PS5_SB_,comdat
.Lfunc_end74:
	.size	_ZN2at6native12_GLOBAL__N_135GammaBetaBackwardCUDAKernelTemplateIN3c104HalfEfLj64ELj1ELj32ELb1ELb0ELb0EEEvllPKT_S7_PKT0_SA_PS5_SB_, .Lfunc_end74-_ZN2at6native12_GLOBAL__N_135GammaBetaBackwardCUDAKernelTemplateIN3c104HalfEfLj64ELj1ELj32ELb1ELb0ELb0EEEvllPKT_S7_PKT0_SA_PS5_SB_
                                        ; -- End function
	.set _ZN2at6native12_GLOBAL__N_135GammaBetaBackwardCUDAKernelTemplateIN3c104HalfEfLj64ELj1ELj32ELb1ELb0ELb0EEEvllPKT_S7_PKT0_SA_PS5_SB_.num_vgpr, 256
	.set _ZN2at6native12_GLOBAL__N_135GammaBetaBackwardCUDAKernelTemplateIN3c104HalfEfLj64ELj1ELj32ELb1ELb0ELb0EEEvllPKT_S7_PKT0_SA_PS5_SB_.num_agpr, 0
	.set _ZN2at6native12_GLOBAL__N_135GammaBetaBackwardCUDAKernelTemplateIN3c104HalfEfLj64ELj1ELj32ELb1ELb0ELb0EEEvllPKT_S7_PKT0_SA_PS5_SB_.numbered_sgpr, 44
	.set _ZN2at6native12_GLOBAL__N_135GammaBetaBackwardCUDAKernelTemplateIN3c104HalfEfLj64ELj1ELj32ELb1ELb0ELb0EEEvllPKT_S7_PKT0_SA_PS5_SB_.num_named_barrier, 0
	.set _ZN2at6native12_GLOBAL__N_135GammaBetaBackwardCUDAKernelTemplateIN3c104HalfEfLj64ELj1ELj32ELb1ELb0ELb0EEEvllPKT_S7_PKT0_SA_PS5_SB_.private_seg_size, 316
	.set _ZN2at6native12_GLOBAL__N_135GammaBetaBackwardCUDAKernelTemplateIN3c104HalfEfLj64ELj1ELj32ELb1ELb0ELb0EEEvllPKT_S7_PKT0_SA_PS5_SB_.uses_vcc, 1
	.set _ZN2at6native12_GLOBAL__N_135GammaBetaBackwardCUDAKernelTemplateIN3c104HalfEfLj64ELj1ELj32ELb1ELb0ELb0EEEvllPKT_S7_PKT0_SA_PS5_SB_.uses_flat_scratch, 0
	.set _ZN2at6native12_GLOBAL__N_135GammaBetaBackwardCUDAKernelTemplateIN3c104HalfEfLj64ELj1ELj32ELb1ELb0ELb0EEEvllPKT_S7_PKT0_SA_PS5_SB_.has_dyn_sized_stack, 0
	.set _ZN2at6native12_GLOBAL__N_135GammaBetaBackwardCUDAKernelTemplateIN3c104HalfEfLj64ELj1ELj32ELb1ELb0ELb0EEEvllPKT_S7_PKT0_SA_PS5_SB_.has_recursion, 0
	.set _ZN2at6native12_GLOBAL__N_135GammaBetaBackwardCUDAKernelTemplateIN3c104HalfEfLj64ELj1ELj32ELb1ELb0ELb0EEEvllPKT_S7_PKT0_SA_PS5_SB_.has_indirect_call, 0
	.section	.AMDGPU.csdata,"",@progbits
; Kernel info:
; codeLenInByte = 26396
; TotalNumSgprs: 48
; NumVgprs: 256
; ScratchSize: 316
; MemoryBound: 0
; FloatMode: 240
; IeeeMode: 1
; LDSByteSize: 0 bytes/workgroup (compile time only)
; SGPRBlocks: 5
; VGPRBlocks: 63
; NumSGPRsForWavesPerEU: 48
; NumVGPRsForWavesPerEU: 256
; Occupancy: 1
; WaveLimiterHint : 0
; COMPUTE_PGM_RSRC2:SCRATCH_EN: 1
; COMPUTE_PGM_RSRC2:USER_SGPR: 6
; COMPUTE_PGM_RSRC2:TRAP_HANDLER: 0
; COMPUTE_PGM_RSRC2:TGID_X_EN: 1
; COMPUTE_PGM_RSRC2:TGID_Y_EN: 1
; COMPUTE_PGM_RSRC2:TGID_Z_EN: 0
; COMPUTE_PGM_RSRC2:TIDIG_COMP_CNT: 1
	.section	.text._ZN2at6native12_GLOBAL__N_135GammaBetaBackwardCUDAKernelTemplateIN3c104HalfEfLj64ELj1ELj8ELb1ELb1ELb0EEEvllPKT_S7_PKT0_SA_PS5_SB_,"axG",@progbits,_ZN2at6native12_GLOBAL__N_135GammaBetaBackwardCUDAKernelTemplateIN3c104HalfEfLj64ELj1ELj8ELb1ELb1ELb0EEEvllPKT_S7_PKT0_SA_PS5_SB_,comdat
	.globl	_ZN2at6native12_GLOBAL__N_135GammaBetaBackwardCUDAKernelTemplateIN3c104HalfEfLj64ELj1ELj8ELb1ELb1ELb0EEEvllPKT_S7_PKT0_SA_PS5_SB_ ; -- Begin function _ZN2at6native12_GLOBAL__N_135GammaBetaBackwardCUDAKernelTemplateIN3c104HalfEfLj64ELj1ELj8ELb1ELb1ELb0EEEvllPKT_S7_PKT0_SA_PS5_SB_
	.p2align	8
	.type	_ZN2at6native12_GLOBAL__N_135GammaBetaBackwardCUDAKernelTemplateIN3c104HalfEfLj64ELj1ELj8ELb1ELb1ELb0EEEvllPKT_S7_PKT0_SA_PS5_SB_,@function
_ZN2at6native12_GLOBAL__N_135GammaBetaBackwardCUDAKernelTemplateIN3c104HalfEfLj64ELj1ELj8ELb1ELb1ELb0EEEvllPKT_S7_PKT0_SA_PS5_SB_: ; @_ZN2at6native12_GLOBAL__N_135GammaBetaBackwardCUDAKernelTemplateIN3c104HalfEfLj64ELj1ELj8ELb1ELb1ELb0EEEvllPKT_S7_PKT0_SA_PS5_SB_
; %bb.0:
	s_load_dwordx4 s[16:19], s[4:5], 0x0
	s_lshl_b32 s24, s7, 3
	s_mov_b32 s25, 0
	v_mov_b32_e32 v2, s24
	v_mov_b32_e32 v3, s25
	s_waitcnt lgkmcnt(0)
	v_cmp_gt_i64_e32 vcc, s[16:17], v[2:3]
	s_mov_b32 s2, s7
	s_cbranch_vccnz .LBB75_2
; %bb.1:
	s_add_u32 s26, s4, 64
	s_addc_u32 s27, s5, 0
	s_mov_b64 s[0:1], 0
	s_branch .LBB75_3
.LBB75_2:
	s_mov_b64 s[0:1], -1
                                        ; implicit-def: $sgpr26_sgpr27
.LBB75_3:
	s_load_dwordx4 s[20:23], s[4:5], 0x30
	v_mov_b32_e32 v5, 0
	s_andn2_b64 vcc, exec, s[0:1]
	v_mov_b32_e32 v4, 0
	s_cbranch_vccnz .LBB75_11
; %bb.4:
	v_mbcnt_lo_u32_b32 v4, -1, 0
	v_lshlrev_b32_e32 v3, 3, v1
	v_mbcnt_hi_u32_b32 v4, -1, v4
	s_load_dword s0, s[4:5], 0x4c
	s_load_dword s3, s[4:5], 0x44
	s_load_dwordx8 s[8:15], s[4:5], 0x10
	s_add_u32 s26, s4, 64
	v_lshlrev_b32_e32 v4, 2, v4
	v_add_co_u32_e32 v3, vcc, s24, v3
	s_addc_u32 s27, s5, 0
	v_and_b32_e32 v7, 0x100, v4
	v_addc_co_u32_e64 v4, s[4:5], 0, 0, vcc
	v_mul_lo_u32 v17, s19, v3
	v_mul_lo_u32 v18, s18, v4
	v_mad_u64_u32 v[15:16], s[4:5], s18, v3, 0
	s_waitcnt lgkmcnt(0)
	s_and_b32 s0, s0, 0xffff
	v_mad_u32_u24 v2, v1, s0, v0
	v_and_b32_e32 v2, 63, v2
	v_cmp_gt_u32_e64 s[0:1], 8, v2
	v_mov_b32_e32 v6, 0
	v_lshl_or_b32 v5, s6, 6, v0
	v_add_co_u32_e32 v2, vcc, v3, v2
	v_add3_u32 v16, v16, v18, v17
	v_addc_co_u32_e32 v3, vcc, 0, v4, vcc
	v_lshlrev_b64 v[15:16], 1, v[15:16]
	v_lshlrev_b64 v[4:5], 1, v[5:6]
	s_lshl_b32 s28, s3, 3
	v_add_co_u32_e32 v15, vcc, v15, v4
	s_mul_i32 s3, s19, s28
	s_mul_hi_u32 s4, s18, s28
	s_mov_b32 s29, 0
	v_addc_co_u32_e32 v16, vcc, v16, v5, vcc
	v_lshlrev_b64 v[4:5], 2, v[2:3]
	s_add_i32 s5, s4, s3
	s_mul_i32 s4, s18, s28
	v_or_b32_e32 v8, 4, v7
	v_or_b32_e32 v9, 8, v7
	;; [unrolled: 1-line block ×7, first 2 shown]
	s_lshl_b64 s[30:31], s[28:29], 2
	s_lshl_b64 s[34:35], s[4:5], 1
	s_lshl_b64 s[36:37], s[18:19], 1
	v_mov_b32_e32 v17, v6
	s_branch .LBB75_7
.LBB75_5:                               ;   in Loop: Header=BB75_7 Depth=1
	s_or_b64 exec, exec, s[38:39]
.LBB75_6:                               ;   in Loop: Header=BB75_7 Depth=1
	s_or_b64 exec, exec, s[4:5]
	v_mov_b32_e32 v21, s11
	v_add_co_u32_e32 v20, vcc, s10, v15
	v_addc_co_u32_e32 v21, vcc, v21, v16, vcc
	v_mov_b32_e32 v26, s37
	v_add_co_u32_e32 v22, vcc, s36, v20
	v_addc_co_u32_e32 v23, vcc, v21, v26, vcc
	global_load_ushort v27, v[20:21], off
	v_mov_b32_e32 v21, s9
	v_add_co_u32_e32 v20, vcc, s8, v15
	v_addc_co_u32_e32 v21, vcc, v21, v16, vcc
	v_add_co_u32_e32 v24, vcc, s36, v20
	global_load_ushort v20, v[20:21], off
	v_addc_co_u32_e32 v25, vcc, v21, v26, vcc
	s_add_u32 s24, s24, s28
	s_addc_u32 s25, s25, 0
	v_add_co_u32_e64 v15, s[4:5], s34, v15
	s_waitcnt vmcnt(1)
	v_cvt_f32_f16_e32 v21, v27
	ds_bpermute_b32 v27, v7, v19
	s_waitcnt lgkmcnt(0)
	v_sub_f32_e32 v21, v21, v27
	global_load_ushort v27, v[22:23], off
	s_waitcnt vmcnt(1)
	v_cvt_f32_f16_e32 v20, v20
	v_add_f32_e32 v6, v6, v20
	v_mul_f32_e32 v20, v21, v20
	ds_bpermute_b32 v21, v7, v18
	s_waitcnt lgkmcnt(0)
	v_fmac_f32_e32 v17, v20, v21
	v_add_co_u32_e32 v20, vcc, s36, v22
	v_addc_co_u32_e32 v21, vcc, v23, v26, vcc
	global_load_ushort v28, v[20:21], off
	v_add_co_u32_e32 v22, vcc, s36, v24
	global_load_ushort v24, v[24:25], off
	v_addc_co_u32_e32 v23, vcc, v25, v26, vcc
	s_waitcnt vmcnt(2)
	v_cvt_f32_f16_e32 v25, v27
	ds_bpermute_b32 v27, v8, v19
	s_waitcnt lgkmcnt(0)
	v_sub_f32_e32 v25, v25, v27
	s_waitcnt vmcnt(0)
	v_cvt_f32_f16_e32 v27, v24
	v_mul_f32_e32 v24, v25, v27
	ds_bpermute_b32 v25, v8, v18
	v_add_f32_e32 v6, v6, v27
	s_waitcnt lgkmcnt(0)
	v_fmac_f32_e32 v17, v24, v25
	v_add_co_u32_e32 v24, vcc, s36, v20
	v_addc_co_u32_e32 v25, vcc, v21, v26, vcc
	v_add_co_u32_e32 v20, vcc, s36, v22
	global_load_ushort v22, v[22:23], off
	v_addc_co_u32_e32 v21, vcc, v23, v26, vcc
	v_cvt_f32_f16_e32 v23, v28
	ds_bpermute_b32 v28, v9, v19
	global_load_ushort v29, v[24:25], off
	s_waitcnt lgkmcnt(0)
	v_sub_f32_e32 v23, v23, v28
	s_waitcnt vmcnt(1)
	v_cvt_f32_f16_e32 v28, v22
	v_mul_f32_e32 v22, v23, v28
	ds_bpermute_b32 v23, v9, v18
	v_add_f32_e32 v6, v6, v28
	s_waitcnt lgkmcnt(0)
	v_fmac_f32_e32 v17, v22, v23
	v_add_co_u32_e32 v22, vcc, s36, v24
	v_addc_co_u32_e32 v23, vcc, v25, v26, vcc
	global_load_ushort v30, v[22:23], off
	v_add_co_u32_e32 v24, vcc, s36, v20
	global_load_ushort v20, v[20:21], off
	v_addc_co_u32_e32 v25, vcc, v21, v26, vcc
	s_waitcnt vmcnt(2)
	v_cvt_f32_f16_e32 v21, v29
	ds_bpermute_b32 v29, v10, v19
	s_waitcnt lgkmcnt(0)
	v_sub_f32_e32 v21, v21, v29
	s_waitcnt vmcnt(0)
	v_cvt_f32_f16_e32 v29, v20
	v_mul_f32_e32 v20, v21, v29
	ds_bpermute_b32 v21, v10, v18
	v_add_f32_e32 v6, v6, v29
	s_waitcnt lgkmcnt(0)
	v_fmac_f32_e32 v17, v20, v21
	v_add_co_u32_e32 v20, vcc, s36, v22
	v_addc_co_u32_e32 v21, vcc, v23, v26, vcc
	global_load_ushort v31, v[20:21], off
	v_add_co_u32_e32 v22, vcc, s36, v24
	global_load_ushort v24, v[24:25], off
	v_addc_co_u32_e32 v23, vcc, v25, v26, vcc
	v_cvt_f32_f16_e32 v25, v30
	ds_bpermute_b32 v30, v11, v19
	s_waitcnt lgkmcnt(0)
	v_sub_f32_e32 v25, v25, v30
	s_waitcnt vmcnt(0)
	v_cvt_f32_f16_e32 v30, v24
	v_mul_f32_e32 v24, v25, v30
	ds_bpermute_b32 v25, v11, v18
	v_add_f32_e32 v6, v6, v30
	s_waitcnt lgkmcnt(0)
	v_fmac_f32_e32 v17, v24, v25
	v_add_co_u32_e32 v24, vcc, s36, v20
	v_addc_co_u32_e32 v25, vcc, v21, v26, vcc
	v_add_co_u32_e32 v20, vcc, s36, v22
	global_load_ushort v22, v[22:23], off
	v_addc_co_u32_e32 v21, vcc, v23, v26, vcc
	v_cvt_f32_f16_e32 v23, v31
	ds_bpermute_b32 v31, v12, v19
	global_load_ushort v32, v[24:25], off
	s_waitcnt lgkmcnt(0)
	v_sub_f32_e32 v23, v23, v31
	s_waitcnt vmcnt(1)
	v_cvt_f32_f16_e32 v31, v22
	v_mul_f32_e32 v22, v23, v31
	ds_bpermute_b32 v23, v12, v18
	v_add_f32_e32 v6, v6, v31
	s_waitcnt lgkmcnt(0)
	v_fmac_f32_e32 v17, v22, v23
	v_add_co_u32_e32 v22, vcc, s36, v24
	v_addc_co_u32_e32 v23, vcc, v25, v26, vcc
	v_add_co_u32_e32 v24, vcc, s36, v20
	global_load_ushort v20, v[20:21], off
	v_addc_co_u32_e32 v25, vcc, v21, v26, vcc
	ds_bpermute_b32 v26, v13, v19
	s_waitcnt vmcnt(1)
	v_cvt_f32_f16_e32 v21, v32
	ds_bpermute_b32 v19, v14, v19
	v_add_co_u32_e32 v4, vcc, s30, v4
	s_waitcnt lgkmcnt(1)
	v_sub_f32_e32 v21, v21, v26
	ds_bpermute_b32 v26, v13, v18
	ds_bpermute_b32 v18, v14, v18
	s_waitcnt vmcnt(0)
	v_cvt_f32_f16_e32 v20, v20
	v_mul_f32_e32 v21, v21, v20
	s_waitcnt lgkmcnt(1)
	v_fmac_f32_e32 v17, v21, v26
	global_load_ushort v21, v[24:25], off
	global_load_ushort v26, v[22:23], off
	v_add_f32_e32 v6, v6, v20
	v_mov_b32_e32 v20, s35
	v_addc_co_u32_e64 v16, s[4:5], v16, v20, s[4:5]
	s_waitcnt vmcnt(1)
	v_cvt_f32_f16_e32 v21, v21
	s_waitcnt vmcnt(0)
	v_cvt_f32_f16_e32 v22, v26
	v_add_f32_e32 v6, v6, v21
	v_sub_f32_e32 v19, v22, v19
	v_mul_f32_e32 v19, v19, v21
	s_waitcnt lgkmcnt(0)
	v_fmac_f32_e32 v17, v19, v18
	v_mov_b32_e32 v18, s31
	v_addc_co_u32_e32 v5, vcc, v5, v18, vcc
	v_add_co_u32_e32 v2, vcc, s28, v2
	v_mov_b32_e32 v19, s17
	v_addc_co_u32_e32 v3, vcc, 0, v3, vcc
	v_mov_b32_e32 v18, s16
	v_cmp_lt_i64_e32 vcc, s[24:25], v[18:19]
	s_cbranch_vccz .LBB75_10
.LBB75_7:                               ; =>This Inner Loop Header: Depth=1
	v_mov_b32_e32 v18, 0
	v_mov_b32_e32 v19, 0
	s_and_saveexec_b64 s[4:5], s[0:1]
	s_cbranch_execz .LBB75_6
; %bb.8:                                ;   in Loop: Header=BB75_7 Depth=1
	v_cmp_gt_i64_e32 vcc, s[16:17], v[2:3]
	v_mov_b32_e32 v19, 0
	v_mov_b32_e32 v18, 0
	s_and_saveexec_b64 s[38:39], vcc
	s_cbranch_execz .LBB75_5
; %bb.9:                                ;   in Loop: Header=BB75_7 Depth=1
	v_mov_b32_e32 v18, s15
	v_add_co_u32_e32 v20, vcc, s14, v4
	v_addc_co_u32_e32 v21, vcc, v18, v5, vcc
	v_mov_b32_e32 v18, s13
	v_add_co_u32_e32 v22, vcc, s12, v4
	v_addc_co_u32_e32 v23, vcc, v18, v5, vcc
	global_load_dword v19, v[22:23], off
	global_load_dword v18, v[20:21], off
	s_branch .LBB75_5
.LBB75_10:
	v_cvt_f16_f32_e32 v5, v17
	v_cvt_f16_f32_e32 v4, v6
.LBB75_11:
	s_load_dword s0, s[26:27], 0xc
	v_mov_b32_e32 v2, 0
	v_mov_b32_e32 v3, s2
	s_mov_b32 s7, 0
	s_waitcnt lgkmcnt(0)
	s_lshr_b32 s0, s0, 16
	v_mad_u64_u32 v[2:3], s[0:1], s0, v3, v[1:2]
	s_lshl_b64 s[0:1], s[6:7], 6
	v_or_b32_e32 v0, s0, v0
	v_mul_lo_u32 v3, v3, s18
	v_mul_lo_u32 v6, v2, s19
	v_mov_b32_e32 v1, s1
	v_lshlrev_b64 v[0:1], 1, v[0:1]
	s_cmp_eq_u64 s[20:21], 0
	s_cbranch_scc1 .LBB75_13
; %bb.12:
	v_mad_u64_u32 v[7:8], s[0:1], v2, s18, 0
	v_mov_b32_e32 v9, s21
	v_add3_u32 v8, v8, v6, v3
	v_lshlrev_b64 v[7:8], 1, v[7:8]
	v_add_co_u32_e32 v7, vcc, s20, v7
	v_addc_co_u32_e32 v8, vcc, v9, v8, vcc
	v_add_co_u32_e32 v7, vcc, v7, v0
	v_addc_co_u32_e32 v8, vcc, v8, v1, vcc
	global_store_short v[7:8], v5, off
.LBB75_13:
	s_cmp_eq_u64 s[22:23], 0
	s_cbranch_scc1 .LBB75_15
; %bb.14:
	v_mad_u64_u32 v[7:8], s[0:1], v2, s18, 0
	v_mov_b32_e32 v5, s23
	v_add3_u32 v8, v8, v6, v3
	v_lshlrev_b64 v[2:3], 1, v[7:8]
	v_add_co_u32_e32 v2, vcc, s22, v2
	v_addc_co_u32_e32 v3, vcc, v5, v3, vcc
	v_add_co_u32_e32 v0, vcc, v2, v0
	v_addc_co_u32_e32 v1, vcc, v3, v1, vcc
	global_store_short v[0:1], v4, off
.LBB75_15:
	s_endpgm
	.section	.rodata,"a",@progbits
	.p2align	6, 0x0
	.amdhsa_kernel _ZN2at6native12_GLOBAL__N_135GammaBetaBackwardCUDAKernelTemplateIN3c104HalfEfLj64ELj1ELj8ELb1ELb1ELb0EEEvllPKT_S7_PKT0_SA_PS5_SB_
		.amdhsa_group_segment_fixed_size 0
		.amdhsa_private_segment_fixed_size 0
		.amdhsa_kernarg_size 320
		.amdhsa_user_sgpr_count 6
		.amdhsa_user_sgpr_private_segment_buffer 1
		.amdhsa_user_sgpr_dispatch_ptr 0
		.amdhsa_user_sgpr_queue_ptr 0
		.amdhsa_user_sgpr_kernarg_segment_ptr 1
		.amdhsa_user_sgpr_dispatch_id 0
		.amdhsa_user_sgpr_flat_scratch_init 0
		.amdhsa_user_sgpr_private_segment_size 0
		.amdhsa_uses_dynamic_stack 0
		.amdhsa_system_sgpr_private_segment_wavefront_offset 0
		.amdhsa_system_sgpr_workgroup_id_x 1
		.amdhsa_system_sgpr_workgroup_id_y 1
		.amdhsa_system_sgpr_workgroup_id_z 0
		.amdhsa_system_sgpr_workgroup_info 0
		.amdhsa_system_vgpr_workitem_id 1
		.amdhsa_next_free_vgpr 33
		.amdhsa_next_free_sgpr 40
		.amdhsa_reserve_vcc 1
		.amdhsa_reserve_flat_scratch 0
		.amdhsa_float_round_mode_32 0
		.amdhsa_float_round_mode_16_64 0
		.amdhsa_float_denorm_mode_32 3
		.amdhsa_float_denorm_mode_16_64 3
		.amdhsa_dx10_clamp 1
		.amdhsa_ieee_mode 1
		.amdhsa_fp16_overflow 0
		.amdhsa_exception_fp_ieee_invalid_op 0
		.amdhsa_exception_fp_denorm_src 0
		.amdhsa_exception_fp_ieee_div_zero 0
		.amdhsa_exception_fp_ieee_overflow 0
		.amdhsa_exception_fp_ieee_underflow 0
		.amdhsa_exception_fp_ieee_inexact 0
		.amdhsa_exception_int_div_zero 0
	.end_amdhsa_kernel
	.section	.text._ZN2at6native12_GLOBAL__N_135GammaBetaBackwardCUDAKernelTemplateIN3c104HalfEfLj64ELj1ELj8ELb1ELb1ELb0EEEvllPKT_S7_PKT0_SA_PS5_SB_,"axG",@progbits,_ZN2at6native12_GLOBAL__N_135GammaBetaBackwardCUDAKernelTemplateIN3c104HalfEfLj64ELj1ELj8ELb1ELb1ELb0EEEvllPKT_S7_PKT0_SA_PS5_SB_,comdat
.Lfunc_end75:
	.size	_ZN2at6native12_GLOBAL__N_135GammaBetaBackwardCUDAKernelTemplateIN3c104HalfEfLj64ELj1ELj8ELb1ELb1ELb0EEEvllPKT_S7_PKT0_SA_PS5_SB_, .Lfunc_end75-_ZN2at6native12_GLOBAL__N_135GammaBetaBackwardCUDAKernelTemplateIN3c104HalfEfLj64ELj1ELj8ELb1ELb1ELb0EEEvllPKT_S7_PKT0_SA_PS5_SB_
                                        ; -- End function
	.set _ZN2at6native12_GLOBAL__N_135GammaBetaBackwardCUDAKernelTemplateIN3c104HalfEfLj64ELj1ELj8ELb1ELb1ELb0EEEvllPKT_S7_PKT0_SA_PS5_SB_.num_vgpr, 33
	.set _ZN2at6native12_GLOBAL__N_135GammaBetaBackwardCUDAKernelTemplateIN3c104HalfEfLj64ELj1ELj8ELb1ELb1ELb0EEEvllPKT_S7_PKT0_SA_PS5_SB_.num_agpr, 0
	.set _ZN2at6native12_GLOBAL__N_135GammaBetaBackwardCUDAKernelTemplateIN3c104HalfEfLj64ELj1ELj8ELb1ELb1ELb0EEEvllPKT_S7_PKT0_SA_PS5_SB_.numbered_sgpr, 40
	.set _ZN2at6native12_GLOBAL__N_135GammaBetaBackwardCUDAKernelTemplateIN3c104HalfEfLj64ELj1ELj8ELb1ELb1ELb0EEEvllPKT_S7_PKT0_SA_PS5_SB_.num_named_barrier, 0
	.set _ZN2at6native12_GLOBAL__N_135GammaBetaBackwardCUDAKernelTemplateIN3c104HalfEfLj64ELj1ELj8ELb1ELb1ELb0EEEvllPKT_S7_PKT0_SA_PS5_SB_.private_seg_size, 0
	.set _ZN2at6native12_GLOBAL__N_135GammaBetaBackwardCUDAKernelTemplateIN3c104HalfEfLj64ELj1ELj8ELb1ELb1ELb0EEEvllPKT_S7_PKT0_SA_PS5_SB_.uses_vcc, 1
	.set _ZN2at6native12_GLOBAL__N_135GammaBetaBackwardCUDAKernelTemplateIN3c104HalfEfLj64ELj1ELj8ELb1ELb1ELb0EEEvllPKT_S7_PKT0_SA_PS5_SB_.uses_flat_scratch, 0
	.set _ZN2at6native12_GLOBAL__N_135GammaBetaBackwardCUDAKernelTemplateIN3c104HalfEfLj64ELj1ELj8ELb1ELb1ELb0EEEvllPKT_S7_PKT0_SA_PS5_SB_.has_dyn_sized_stack, 0
	.set _ZN2at6native12_GLOBAL__N_135GammaBetaBackwardCUDAKernelTemplateIN3c104HalfEfLj64ELj1ELj8ELb1ELb1ELb0EEEvllPKT_S7_PKT0_SA_PS5_SB_.has_recursion, 0
	.set _ZN2at6native12_GLOBAL__N_135GammaBetaBackwardCUDAKernelTemplateIN3c104HalfEfLj64ELj1ELj8ELb1ELb1ELb0EEEvllPKT_S7_PKT0_SA_PS5_SB_.has_indirect_call, 0
	.section	.AMDGPU.csdata,"",@progbits
; Kernel info:
; codeLenInByte = 1404
; TotalNumSgprs: 44
; NumVgprs: 33
; ScratchSize: 0
; MemoryBound: 0
; FloatMode: 240
; IeeeMode: 1
; LDSByteSize: 0 bytes/workgroup (compile time only)
; SGPRBlocks: 5
; VGPRBlocks: 8
; NumSGPRsForWavesPerEU: 44
; NumVGPRsForWavesPerEU: 33
; Occupancy: 7
; WaveLimiterHint : 0
; COMPUTE_PGM_RSRC2:SCRATCH_EN: 0
; COMPUTE_PGM_RSRC2:USER_SGPR: 6
; COMPUTE_PGM_RSRC2:TRAP_HANDLER: 0
; COMPUTE_PGM_RSRC2:TGID_X_EN: 1
; COMPUTE_PGM_RSRC2:TGID_Y_EN: 1
; COMPUTE_PGM_RSRC2:TGID_Z_EN: 0
; COMPUTE_PGM_RSRC2:TIDIG_COMP_CNT: 1
	.section	.text._ZN2at6native12_GLOBAL__N_135GammaBetaBackwardCUDAKernelTemplateIN3c104HalfEfLj64ELj1ELj8ELb1ELb0ELb0EEEvllPKT_S7_PKT0_SA_PS5_SB_,"axG",@progbits,_ZN2at6native12_GLOBAL__N_135GammaBetaBackwardCUDAKernelTemplateIN3c104HalfEfLj64ELj1ELj8ELb1ELb0ELb0EEEvllPKT_S7_PKT0_SA_PS5_SB_,comdat
	.globl	_ZN2at6native12_GLOBAL__N_135GammaBetaBackwardCUDAKernelTemplateIN3c104HalfEfLj64ELj1ELj8ELb1ELb0ELb0EEEvllPKT_S7_PKT0_SA_PS5_SB_ ; -- Begin function _ZN2at6native12_GLOBAL__N_135GammaBetaBackwardCUDAKernelTemplateIN3c104HalfEfLj64ELj1ELj8ELb1ELb0ELb0EEEvllPKT_S7_PKT0_SA_PS5_SB_
	.p2align	8
	.type	_ZN2at6native12_GLOBAL__N_135GammaBetaBackwardCUDAKernelTemplateIN3c104HalfEfLj64ELj1ELj8ELb1ELb0ELb0EEEvllPKT_S7_PKT0_SA_PS5_SB_,@function
_ZN2at6native12_GLOBAL__N_135GammaBetaBackwardCUDAKernelTemplateIN3c104HalfEfLj64ELj1ELj8ELb1ELb0ELb0EEEvllPKT_S7_PKT0_SA_PS5_SB_: ; @_ZN2at6native12_GLOBAL__N_135GammaBetaBackwardCUDAKernelTemplateIN3c104HalfEfLj64ELj1ELj8ELb1ELb0ELb0EEEvllPKT_S7_PKT0_SA_PS5_SB_
; %bb.0:
	s_mov_b32 s8, s7
	s_load_dwordx8 s[12:19], s[4:5], 0x0
	s_load_dwordx4 s[20:23], s[4:5], 0x20
	s_lshl_b32 s24, s8, 3
	s_lshl_b32 s7, s6, 6
	s_mov_b32 s25, 0
	v_mov_b32_e32 v4, s24
	s_or_b32 s0, s7, 63
	v_mov_b32_e32 v5, s25
	v_mov_b32_e32 v2, s0
	;; [unrolled: 1-line block ×3, first 2 shown]
	s_waitcnt lgkmcnt(0)
	v_cmp_gt_i64_e64 s[0:1], s[12:13], v[4:5]
	v_cmp_le_i64_e32 vcc, s[14:15], v[2:3]
	v_cndmask_b32_e64 v2, 0, 1, s[0:1]
	v_cmp_ne_u32_e64 s[0:1], 1, v2
	s_cbranch_vccz .LBB76_49
; %bb.1:
	s_and_b64 vcc, exec, s[0:1]
	v_mov_b32_e32 v56, 0
	s_cbranch_vccnz .LBB76_50
; %bb.2:
	v_lshlrev_b32_e32 v23, 3, v1
	v_add_co_u32_e32 v9, vcc, s24, v23
	v_addc_co_u32_e64 v10, s[2:3], 0, 0, vcc
	v_mul_lo_u32 v7, s15, v9
	v_mul_lo_u32 v8, s14, v10
	v_mad_u64_u32 v[5:6], s[2:3], s14, v9, 0
	v_mov_b32_e32 v2, 0
	s_load_dword s9, s[4:5], 0x44
	v_add_u32_e32 v3, s7, v0
	v_mov_b32_e32 v4, v2
	v_add3_u32 v6, v6, v8, v7
	v_cmp_gt_i64_e64 s[2:3], s[14:15], v[3:4]
	v_lshlrev_b64 v[19:20], 1, v[3:4]
	v_lshlrev_b64 v[3:4], 1, v[5:6]
	s_add_u32 s26, s4, 64
	v_mov_b32_e32 v7, s17
	v_add_co_u32_e32 v25, vcc, s16, v3
	s_addc_u32 s27, s5, 0
	s_waitcnt lgkmcnt(0)
	s_lshl_b32 s9, s9, 3
	v_addc_co_u32_e32 v26, vcc, v7, v4, vcc
	s_mul_i32 s10, s15, s9
	s_mul_hi_u32 s11, s14, s9
	v_add_co_u32_e32 v7, vcc, 7, v9
	s_add_i32 s11, s11, s10
	s_mul_i32 s10, s14, s9
	v_addc_co_u32_e32 v8, vcc, 0, v10, vcc
	s_lshl_b64 s[28:29], s[10:11], 1
	v_mul_lo_u32 v12, s15, v7
	v_mul_lo_u32 v13, s14, v8
	v_mad_u64_u32 v[7:8], s[10:11], s14, v7, 0
	v_mov_b32_e32 v11, s19
	v_add_co_u32_e32 v27, vcc, s18, v3
	v_add3_u32 v8, v8, v13, v12
	v_addc_co_u32_e32 v28, vcc, v11, v4, vcc
	v_lshlrev_b64 v[3:4], 1, v[7:8]
	v_mov_b32_e32 v7, s17
	v_add_co_u32_e32 v29, vcc, s16, v3
	v_addc_co_u32_e32 v30, vcc, v7, v4, vcc
	v_add_co_u32_e32 v7, vcc, 6, v9
	v_addc_co_u32_e32 v8, vcc, 0, v10, vcc
	v_mul_lo_u32 v12, s15, v7
	v_mul_lo_u32 v13, s14, v8
	v_mad_u64_u32 v[7:8], s[10:11], s14, v7, 0
	v_add_co_u32_e32 v31, vcc, s18, v3
	v_add3_u32 v8, v8, v13, v12
	v_addc_co_u32_e32 v32, vcc, v11, v4, vcc
	v_lshlrev_b64 v[3:4], 1, v[7:8]
	v_mov_b32_e32 v7, s17
	v_add_co_u32_e32 v33, vcc, s16, v3
	v_addc_co_u32_e32 v34, vcc, v7, v4, vcc
	v_add_co_u32_e32 v7, vcc, 5, v9
	v_addc_co_u32_e32 v8, vcc, 0, v10, vcc
	v_mul_lo_u32 v12, s15, v7
	v_mul_lo_u32 v13, s14, v8
	v_mad_u64_u32 v[7:8], s[10:11], s14, v7, 0
	;; [unrolled: 12-line block ×5, first 2 shown]
	v_add_co_u32_e32 v47, vcc, s18, v3
	v_add3_u32 v8, v8, v10, v9
	v_addc_co_u32_e32 v48, vcc, v11, v4, vcc
	v_lshlrev_b64 v[3:4], 1, v[7:8]
	v_mov_b32_e32 v7, s17
	v_add_co_u32_e32 v49, vcc, s16, v3
	v_addc_co_u32_e32 v50, vcc, v7, v4, vcc
	v_mov_b32_e32 v7, s19
	v_add_co_u32_e32 v51, vcc, s18, v3
	v_addc_co_u32_e32 v52, vcc, v7, v4, vcc
	;; [unrolled: 3-line block ×3, first 2 shown]
	v_lshlrev_b64 v[3:4], 1, v[3:4]
	v_mov_b32_e32 v5, s17
	v_add_co_u32_e32 v53, vcc, s16, v3
	v_addc_co_u32_e32 v54, vcc, v5, v4, vcc
	v_add_co_u32_e32 v55, vcc, s18, v3
	v_mbcnt_lo_u32_b32 v3, -1, 0
	v_mbcnt_hi_u32_b32 v3, -1, v3
	v_mov_b32_e32 v5, s19
	v_lshlrev_b32_e32 v3, 2, v3
	v_mov_b32_e32 v24, v2
	s_mov_b64 s[30:31], 7
	v_addc_co_u32_e32 v57, vcc, v5, v4, vcc
	v_and_b32_e32 v58, 0x100, v3
	v_mov_b32_e32 v56, 0
	v_mov_b32_e32 v59, 0
	s_mov_b64 s[34:35], s[24:25]
.LBB76_3:                               ; =>This Inner Loop Header: Depth=1
	s_add_u32 s10, s24, s30
	v_mov_b32_e32 v3, s12
	s_addc_u32 s11, 0, s31
	v_mov_b32_e32 v4, s13
	v_cmp_ge_i64_e32 vcc, s[10:11], v[3:4]
	v_add_co_u32_e64 v21, s[10:11], s24, v23
	v_addc_co_u32_e64 v22, s[10:11], 0, v24, s[10:11]
	s_mov_b64 s[10:11], -1
	s_and_b64 vcc, exec, vcc
                                        ; implicit-def: $vgpr3_vgpr4_vgpr5_vgpr6_vgpr7_vgpr8_vgpr9_vgpr10
                                        ; implicit-def: $vgpr60
                                        ; implicit-def: $vgpr11_vgpr12_vgpr13_vgpr14_vgpr15_vgpr16_vgpr17_vgpr18
                                        ; implicit-def: $vgpr4
                                        ; implicit-def: $vgpr3
                                        ; implicit-def: $vgpr5
	s_cbranch_vccz .LBB76_25
; %bb.4:                                ;   in Loop: Header=BB76_3 Depth=1
	s_load_dword s10, s[26:27], 0xc
	v_mov_b32_e32 v60, 0
	v_mov_b32_e32 v61, 0
	s_waitcnt lgkmcnt(0)
	s_and_b32 s10, s10, 0xffff
	v_mad_u32_u24 v3, v1, s10, v0
	v_and_b32_e32 v3, 63, v3
	v_cmp_gt_u32_e32 vcc, 8, v3
	s_and_saveexec_b64 s[10:11], vcc
	s_cbranch_execz .LBB76_8
; %bb.5:                                ;   in Loop: Header=BB76_3 Depth=1
	v_add_co_u32_e32 v3, vcc, v21, v3
	v_addc_co_u32_e32 v4, vcc, 0, v22, vcc
	v_cmp_gt_i64_e32 vcc, s[12:13], v[3:4]
	v_mov_b32_e32 v61, 0
	v_mov_b32_e32 v60, 0
	s_and_saveexec_b64 s[36:37], vcc
	s_cbranch_execz .LBB76_7
; %bb.6:                                ;   in Loop: Header=BB76_3 Depth=1
	v_lshlrev_b64 v[3:4], 2, v[3:4]
	v_mov_b32_e32 v6, s23
	v_add_co_u32_e32 v5, vcc, s22, v3
	v_addc_co_u32_e32 v6, vcc, v6, v4, vcc
	v_mov_b32_e32 v7, s21
	v_add_co_u32_e32 v3, vcc, s20, v3
	v_addc_co_u32_e32 v4, vcc, v7, v4, vcc
	global_load_dword v61, v[3:4], off
	global_load_dword v60, v[5:6], off
.LBB76_7:                               ;   in Loop: Header=BB76_3 Depth=1
	s_or_b64 exec, exec, s[36:37]
.LBB76_8:                               ;   in Loop: Header=BB76_3 Depth=1
	s_or_b64 exec, exec, s[10:11]
	v_mov_b32_e32 v9, v2
	v_cmp_gt_i64_e32 vcc, s[12:13], v[21:22]
	v_mov_b32_e32 v3, v2
	v_mov_b32_e32 v4, v2
	;; [unrolled: 1-line block ×15, first 2 shown]
	s_and_b64 s[36:37], s[2:3], vcc
	v_mov_b32_e32 v9, v8
	v_mov_b32_e32 v8, v7
	;; [unrolled: 1-line block ×7, first 2 shown]
	s_and_saveexec_b64 s[10:11], s[36:37]
	s_cbranch_execz .LBB76_10
; %bb.9:                                ;   in Loop: Header=BB76_3 Depth=1
	v_add_co_u32_e32 v3, vcc, v25, v19
	v_addc_co_u32_e32 v4, vcc, v26, v20, vcc
	global_load_ushort v11, v[3:4], off
	v_add_co_u32_e32 v3, vcc, v27, v19
	v_addc_co_u32_e32 v4, vcc, v28, v20, vcc
	global_load_ushort v15, v[3:4], off
	v_mov_b32_e32 v4, v2
	v_mov_b32_e32 v5, v2
	;; [unrolled: 1-line block ×13, first 2 shown]
	s_waitcnt vmcnt(1)
	v_cvt_f32_f16_e32 v3, v11
	s_waitcnt vmcnt(0)
	v_cvt_f32_f16_e32 v11, v15
	v_mov_b32_e32 v15, v2
.LBB76_10:                              ;   in Loop: Header=BB76_3 Depth=1
	s_or_b64 exec, exec, s[10:11]
	v_add_co_u32_e32 v62, vcc, 1, v21
	v_addc_co_u32_e32 v63, vcc, 0, v22, vcc
	v_cmp_gt_i64_e32 vcc, s[12:13], v[62:63]
	s_and_b64 s[36:37], s[2:3], vcc
	s_and_saveexec_b64 s[10:11], s[36:37]
	s_cbranch_execz .LBB76_12
; %bb.11:                               ;   in Loop: Header=BB76_3 Depth=1
	v_add_co_u32_e32 v62, vcc, v53, v19
	v_addc_co_u32_e32 v63, vcc, v54, v20, vcc
	global_load_ushort v4, v[62:63], off
	v_add_co_u32_e32 v62, vcc, v55, v19
	v_addc_co_u32_e32 v63, vcc, v57, v20, vcc
	global_load_ushort v12, v[62:63], off
	s_waitcnt vmcnt(1)
	v_cvt_f32_f16_e32 v4, v4
	s_waitcnt vmcnt(0)
	v_cvt_f32_f16_e32 v12, v12
.LBB76_12:                              ;   in Loop: Header=BB76_3 Depth=1
	s_or_b64 exec, exec, s[10:11]
	v_add_co_u32_e32 v62, vcc, 2, v21
	v_addc_co_u32_e32 v63, vcc, 0, v22, vcc
	v_cmp_gt_i64_e32 vcc, s[12:13], v[62:63]
	s_and_b64 s[36:37], s[2:3], vcc
	s_and_saveexec_b64 s[10:11], s[36:37]
	s_cbranch_execz .LBB76_14
; %bb.13:                               ;   in Loop: Header=BB76_3 Depth=1
	v_add_co_u32_e32 v62, vcc, v49, v19
	v_addc_co_u32_e32 v63, vcc, v50, v20, vcc
	global_load_ushort v5, v[62:63], off
	v_add_co_u32_e32 v62, vcc, v51, v19
	v_addc_co_u32_e32 v63, vcc, v52, v20, vcc
	global_load_ushort v13, v[62:63], off
	s_waitcnt vmcnt(1)
	v_cvt_f32_f16_e32 v5, v5
	s_waitcnt vmcnt(0)
	v_cvt_f32_f16_e32 v13, v13
.LBB76_14:                              ;   in Loop: Header=BB76_3 Depth=1
	s_or_b64 exec, exec, s[10:11]
	v_add_co_u32_e32 v62, vcc, 3, v21
	v_addc_co_u32_e32 v63, vcc, 0, v22, vcc
	v_cmp_gt_i64_e32 vcc, s[12:13], v[62:63]
	s_and_b64 s[36:37], s[2:3], vcc
	s_and_saveexec_b64 s[10:11], s[36:37]
	s_cbranch_execz .LBB76_16
; %bb.15:                               ;   in Loop: Header=BB76_3 Depth=1
	v_add_co_u32_e32 v62, vcc, v45, v19
	v_addc_co_u32_e32 v63, vcc, v46, v20, vcc
	global_load_ushort v6, v[62:63], off
	v_add_co_u32_e32 v62, vcc, v47, v19
	v_addc_co_u32_e32 v63, vcc, v48, v20, vcc
	global_load_ushort v14, v[62:63], off
	s_waitcnt vmcnt(1)
	v_cvt_f32_f16_e32 v6, v6
	s_waitcnt vmcnt(0)
	v_cvt_f32_f16_e32 v14, v14
.LBB76_16:                              ;   in Loop: Header=BB76_3 Depth=1
	s_or_b64 exec, exec, s[10:11]
	v_add_co_u32_e32 v62, vcc, 4, v21
	v_addc_co_u32_e32 v63, vcc, 0, v22, vcc
	v_cmp_gt_i64_e32 vcc, s[12:13], v[62:63]
	s_and_b64 s[36:37], s[2:3], vcc
	s_and_saveexec_b64 s[10:11], s[36:37]
	s_cbranch_execz .LBB76_18
; %bb.17:                               ;   in Loop: Header=BB76_3 Depth=1
	v_add_co_u32_e32 v62, vcc, v41, v19
	v_addc_co_u32_e32 v63, vcc, v42, v20, vcc
	global_load_ushort v7, v[62:63], off
	v_add_co_u32_e32 v62, vcc, v43, v19
	v_addc_co_u32_e32 v63, vcc, v44, v20, vcc
	global_load_ushort v15, v[62:63], off
	s_waitcnt vmcnt(1)
	v_cvt_f32_f16_e32 v7, v7
	s_waitcnt vmcnt(0)
	v_cvt_f32_f16_e32 v15, v15
.LBB76_18:                              ;   in Loop: Header=BB76_3 Depth=1
	s_or_b64 exec, exec, s[10:11]
	v_add_co_u32_e32 v62, vcc, 5, v21
	v_addc_co_u32_e32 v63, vcc, 0, v22, vcc
	v_cmp_gt_i64_e32 vcc, s[12:13], v[62:63]
	s_and_b64 s[36:37], s[2:3], vcc
	s_and_saveexec_b64 s[10:11], s[36:37]
	s_cbranch_execz .LBB76_20
; %bb.19:                               ;   in Loop: Header=BB76_3 Depth=1
	v_add_co_u32_e32 v62, vcc, v37, v19
	v_addc_co_u32_e32 v63, vcc, v38, v20, vcc
	global_load_ushort v8, v[62:63], off
	v_add_co_u32_e32 v62, vcc, v39, v19
	v_addc_co_u32_e32 v63, vcc, v40, v20, vcc
	global_load_ushort v16, v[62:63], off
	s_waitcnt vmcnt(1)
	v_cvt_f32_f16_e32 v8, v8
	s_waitcnt vmcnt(0)
	v_cvt_f32_f16_e32 v16, v16
.LBB76_20:                              ;   in Loop: Header=BB76_3 Depth=1
	s_or_b64 exec, exec, s[10:11]
	v_add_co_u32_e32 v62, vcc, 6, v21
	v_addc_co_u32_e32 v63, vcc, 0, v22, vcc
	v_cmp_gt_i64_e32 vcc, s[12:13], v[62:63]
	s_and_b64 s[36:37], s[2:3], vcc
	s_and_saveexec_b64 s[10:11], s[36:37]
	s_cbranch_execz .LBB76_22
; %bb.21:                               ;   in Loop: Header=BB76_3 Depth=1
	v_add_co_u32_e32 v62, vcc, v33, v19
	v_addc_co_u32_e32 v63, vcc, v34, v20, vcc
	global_load_ushort v9, v[62:63], off
	v_add_co_u32_e32 v62, vcc, v35, v19
	v_addc_co_u32_e32 v63, vcc, v36, v20, vcc
	global_load_ushort v17, v[62:63], off
	s_waitcnt vmcnt(1)
	v_cvt_f32_f16_e32 v9, v9
	s_waitcnt vmcnt(0)
	v_cvt_f32_f16_e32 v17, v17
.LBB76_22:                              ;   in Loop: Header=BB76_3 Depth=1
	s_or_b64 exec, exec, s[10:11]
	v_add_co_u32_e32 v62, vcc, 7, v21
	v_addc_co_u32_e32 v63, vcc, 0, v22, vcc
	v_cmp_gt_i64_e32 vcc, s[12:13], v[62:63]
	s_and_b64 s[36:37], s[2:3], vcc
	s_and_saveexec_b64 s[10:11], s[36:37]
	s_cbranch_execz .LBB76_24
; %bb.23:                               ;   in Loop: Header=BB76_3 Depth=1
	v_add_co_u32_e32 v62, vcc, v29, v19
	v_addc_co_u32_e32 v63, vcc, v30, v20, vcc
	global_load_ushort v10, v[62:63], off
	v_add_co_u32_e32 v62, vcc, v31, v19
	v_addc_co_u32_e32 v63, vcc, v32, v20, vcc
	global_load_ushort v18, v[62:63], off
	s_waitcnt vmcnt(1)
	v_cvt_f32_f16_e32 v10, v10
	s_waitcnt vmcnt(0)
	v_cvt_f32_f16_e32 v18, v18
.LBB76_24:                              ;   in Loop: Header=BB76_3 Depth=1
	s_or_b64 exec, exec, s[10:11]
	s_waitcnt vmcnt(1)
	ds_bpermute_b32 v62, v58, v61
	ds_bpermute_b32 v65, v58, v61 offset:4
	s_waitcnt vmcnt(0)
	ds_bpermute_b32 v63, v58, v60
	ds_bpermute_b32 v66, v58, v60 offset:4
	v_add_f32_e32 v64, v56, v3
	s_waitcnt lgkmcnt(3)
	v_sub_f32_e32 v11, v11, v62
	v_mul_f32_e32 v3, v3, v11
	s_waitcnt lgkmcnt(2)
	v_sub_f32_e32 v11, v12, v65
	ds_bpermute_b32 v12, v58, v61 offset:8
	s_waitcnt lgkmcnt(2)
	v_fma_f32 v3, v3, v63, v59
	v_mul_f32_e32 v11, v4, v11
	s_waitcnt lgkmcnt(1)
	v_fmac_f32_e32 v3, v11, v66
	ds_bpermute_b32 v11, v58, v60 offset:8
	s_waitcnt lgkmcnt(1)
	v_sub_f32_e32 v12, v13, v12
	ds_bpermute_b32 v13, v58, v61 offset:12
	v_mul_f32_e32 v12, v5, v12
	v_add_f32_e32 v4, v4, v64
	s_waitcnt lgkmcnt(1)
	v_fmac_f32_e32 v3, v12, v11
	ds_bpermute_b32 v11, v58, v60 offset:12
	v_add_f32_e32 v4, v5, v4
	s_waitcnt lgkmcnt(1)
	v_sub_f32_e32 v5, v14, v13
	ds_bpermute_b32 v12, v58, v61 offset:16
	v_mul_f32_e32 v5, v6, v5
	s_waitcnt lgkmcnt(1)
	v_fmac_f32_e32 v3, v5, v11
	ds_bpermute_b32 v5, v58, v60 offset:16
	v_add_f32_e32 v4, v6, v4
	s_waitcnt lgkmcnt(1)
	v_sub_f32_e32 v6, v15, v12
	ds_bpermute_b32 v11, v58, v61 offset:20
	v_mul_f32_e32 v6, v7, v6
	;; [unrolled: 8-line block ×3, first 2 shown]
	s_waitcnt lgkmcnt(1)
	v_fmac_f32_e32 v3, v6, v5
	ds_bpermute_b32 v6, v58, v60 offset:24
	v_add_f32_e32 v5, v8, v4
	ds_bpermute_b32 v60, v58, v60 offset:28
	ds_bpermute_b32 v4, v58, v61 offset:28
	s_waitcnt lgkmcnt(3)
	v_sub_f32_e32 v7, v17, v7
	v_mul_f32_e32 v7, v9, v7
	s_waitcnt lgkmcnt(2)
	v_fmac_f32_e32 v3, v7, v6
	v_add_f32_e32 v5, v9, v5
	s_mov_b64 s[10:11], 0
.LBB76_25:                              ;   in Loop: Header=BB76_3 Depth=1
	s_and_b64 vcc, exec, s[10:11]
	s_cbranch_vccz .LBB76_40
; %bb.26:                               ;   in Loop: Header=BB76_3 Depth=1
	s_load_dword s10, s[26:27], 0x0
	s_waitcnt lgkmcnt(0)
	v_mov_b32_e32 v60, 0
	v_mov_b32_e32 v61, 0
	s_cmp_lt_u32 s6, s10
	s_cselect_b32 s10, 12, 18
	s_add_u32 s10, s26, s10
	s_addc_u32 s11, s27, 0
	global_load_ushort v3, v2, s[10:11]
	s_waitcnt vmcnt(0)
	v_mad_u32_u24 v3, v1, v3, v0
	v_and_b32_e32 v3, 63, v3
	v_cmp_gt_u32_e32 vcc, 8, v3
	s_and_saveexec_b64 s[10:11], vcc
	s_cbranch_execz .LBB76_30
; %bb.27:                               ;   in Loop: Header=BB76_3 Depth=1
	v_add_co_u32_e32 v3, vcc, v21, v3
	v_addc_co_u32_e32 v4, vcc, 0, v22, vcc
	v_cmp_gt_i64_e32 vcc, s[12:13], v[3:4]
	v_mov_b32_e32 v61, 0
	v_mov_b32_e32 v60, 0
	s_and_saveexec_b64 s[36:37], vcc
	s_cbranch_execz .LBB76_29
; %bb.28:                               ;   in Loop: Header=BB76_3 Depth=1
	v_lshlrev_b64 v[3:4], 2, v[3:4]
	v_mov_b32_e32 v6, s23
	v_add_co_u32_e32 v5, vcc, s22, v3
	v_addc_co_u32_e32 v6, vcc, v6, v4, vcc
	v_mov_b32_e32 v7, s21
	v_add_co_u32_e32 v3, vcc, s20, v3
	v_addc_co_u32_e32 v4, vcc, v7, v4, vcc
	global_load_dword v61, v[3:4], off
	global_load_dword v60, v[5:6], off
.LBB76_29:                              ;   in Loop: Header=BB76_3 Depth=1
	s_or_b64 exec, exec, s[36:37]
.LBB76_30:                              ;   in Loop: Header=BB76_3 Depth=1
	s_or_b64 exec, exec, s[10:11]
	v_mov_b32_e32 v9, v2
	v_mov_b32_e32 v3, v2
	;; [unrolled: 1-line block ×23, first 2 shown]
	s_and_saveexec_b64 s[10:11], s[2:3]
	s_cbranch_execnz .LBB76_42
; %bb.31:                               ;   in Loop: Header=BB76_3 Depth=1
	s_or_b64 exec, exec, s[10:11]
	s_and_saveexec_b64 s[10:11], s[2:3]
	s_cbranch_execnz .LBB76_43
.LBB76_32:                              ;   in Loop: Header=BB76_3 Depth=1
	s_or_b64 exec, exec, s[10:11]
	s_and_saveexec_b64 s[10:11], s[2:3]
	s_cbranch_execnz .LBB76_44
.LBB76_33:                              ;   in Loop: Header=BB76_3 Depth=1
	s_or_b64 exec, exec, s[10:11]
	s_and_saveexec_b64 s[10:11], s[2:3]
	s_cbranch_execnz .LBB76_45
.LBB76_34:                              ;   in Loop: Header=BB76_3 Depth=1
	s_or_b64 exec, exec, s[10:11]
	s_and_saveexec_b64 s[10:11], s[2:3]
	s_cbranch_execnz .LBB76_46
.LBB76_35:                              ;   in Loop: Header=BB76_3 Depth=1
	s_or_b64 exec, exec, s[10:11]
	s_and_saveexec_b64 s[10:11], s[2:3]
	s_cbranch_execnz .LBB76_47
.LBB76_36:                              ;   in Loop: Header=BB76_3 Depth=1
	s_or_b64 exec, exec, s[10:11]
	s_and_saveexec_b64 s[10:11], s[2:3]
	s_cbranch_execnz .LBB76_48
.LBB76_37:                              ;   in Loop: Header=BB76_3 Depth=1
	s_or_b64 exec, exec, s[10:11]
	s_and_saveexec_b64 s[10:11], s[2:3]
	s_cbranch_execz .LBB76_39
.LBB76_38:                              ;   in Loop: Header=BB76_3 Depth=1
	v_add_co_u32_e32 v21, vcc, v29, v19
	v_addc_co_u32_e32 v22, vcc, v30, v20, vcc
	global_load_ushort v10, v[21:22], off
	v_add_co_u32_e32 v21, vcc, v31, v19
	v_addc_co_u32_e32 v22, vcc, v32, v20, vcc
	global_load_ushort v18, v[21:22], off
	s_waitcnt vmcnt(1)
	v_cvt_f32_f16_e32 v10, v10
	s_waitcnt vmcnt(0)
	v_cvt_f32_f16_e32 v18, v18
.LBB76_39:                              ;   in Loop: Header=BB76_3 Depth=1
	s_or_b64 exec, exec, s[10:11]
	s_waitcnt vmcnt(1)
	ds_bpermute_b32 v21, v58, v61
	s_waitcnt vmcnt(0)
	ds_bpermute_b32 v22, v58, v60
	ds_bpermute_b32 v62, v58, v61 offset:4
	ds_bpermute_b32 v63, v58, v60 offset:4
	v_add_f32_e32 v56, v56, v3
	s_waitcnt lgkmcnt(3)
	v_sub_f32_e32 v11, v11, v21
	v_mul_f32_e32 v3, v3, v11
	s_waitcnt lgkmcnt(2)
	v_fmac_f32_e32 v59, v3, v22
	s_waitcnt lgkmcnt(1)
	v_sub_f32_e32 v3, v12, v62
	ds_bpermute_b32 v11, v58, v61 offset:8
	v_mul_f32_e32 v3, v4, v3
	s_waitcnt lgkmcnt(1)
	v_fmac_f32_e32 v59, v3, v63
	ds_bpermute_b32 v3, v58, v60 offset:8
	ds_bpermute_b32 v12, v58, v61 offset:12
	s_waitcnt lgkmcnt(2)
	v_sub_f32_e32 v11, v13, v11
	v_mul_f32_e32 v11, v5, v11
	v_add_f32_e32 v4, v4, v56
	s_waitcnt lgkmcnt(1)
	v_fmac_f32_e32 v59, v11, v3
	ds_bpermute_b32 v3, v58, v60 offset:12
	v_add_f32_e32 v4, v5, v4
	s_waitcnt lgkmcnt(1)
	v_sub_f32_e32 v5, v14, v12
	ds_bpermute_b32 v11, v58, v61 offset:16
	v_mul_f32_e32 v5, v6, v5
	s_waitcnt lgkmcnt(1)
	v_fmac_f32_e32 v59, v5, v3
	ds_bpermute_b32 v3, v58, v60 offset:16
	v_add_f32_e32 v4, v6, v4
	s_waitcnt lgkmcnt(1)
	v_sub_f32_e32 v5, v15, v11
	ds_bpermute_b32 v6, v58, v61 offset:20
	v_mul_f32_e32 v5, v7, v5
	;; [unrolled: 8-line block ×3, first 2 shown]
	s_waitcnt lgkmcnt(1)
	v_fmac_f32_e32 v59, v5, v3
	ds_bpermute_b32 v5, v58, v60 offset:24
	v_add_f32_e32 v3, v8, v4
	ds_bpermute_b32 v60, v58, v60 offset:28
	ds_bpermute_b32 v4, v58, v61 offset:28
	s_waitcnt lgkmcnt(3)
	v_sub_f32_e32 v6, v17, v6
	v_mul_f32_e32 v6, v9, v6
	s_waitcnt lgkmcnt(2)
	v_fmac_f32_e32 v59, v6, v5
	v_add_f32_e32 v5, v9, v3
	v_mov_b32_e32 v3, v59
.LBB76_40:                              ;   in Loop: Header=BB76_3 Depth=1
	s_waitcnt lgkmcnt(0)
	v_sub_f32_e32 v4, v18, v4
	v_mul_f32_e32 v4, v10, v4
	v_fmac_f32_e32 v3, v4, v60
	v_mov_b32_e32 v4, s29
	v_add_co_u32_e32 v25, vcc, s28, v25
	v_addc_co_u32_e32 v26, vcc, v26, v4, vcc
	v_add_co_u32_e32 v27, vcc, s28, v27
	v_addc_co_u32_e32 v28, vcc, v28, v4, vcc
	;; [unrolled: 2-line block ×16, first 2 shown]
	v_add_f32_e32 v56, v5, v10
	s_add_u32 s34, s34, s9
	v_add_co_u32_e32 v23, vcc, s9, v23
	v_mov_b32_e32 v4, s12
	s_addc_u32 s35, s35, 0
	v_addc_co_u32_e32 v24, vcc, 0, v24, vcc
	v_mov_b32_e32 v5, s13
	v_cmp_lt_i64_e32 vcc, s[34:35], v[4:5]
	s_add_u32 s30, s30, s9
	s_addc_u32 s31, 0, s31
	s_cbranch_vccz .LBB76_50
; %bb.41:                               ;   in Loop: Header=BB76_3 Depth=1
	v_mov_b32_e32 v59, v3
	s_branch .LBB76_3
.LBB76_42:                              ;   in Loop: Header=BB76_3 Depth=1
	v_add_co_u32_e32 v3, vcc, v25, v19
	v_addc_co_u32_e32 v4, vcc, v26, v20, vcc
	global_load_ushort v11, v[3:4], off
	v_add_co_u32_e32 v3, vcc, v27, v19
	v_addc_co_u32_e32 v4, vcc, v28, v20, vcc
	global_load_ushort v15, v[3:4], off
	v_mov_b32_e32 v4, v2
	v_mov_b32_e32 v5, v2
	;; [unrolled: 1-line block ×13, first 2 shown]
	s_waitcnt vmcnt(1)
	v_cvt_f32_f16_e32 v3, v11
	s_waitcnt vmcnt(0)
	v_cvt_f32_f16_e32 v11, v15
	v_mov_b32_e32 v15, v2
	s_or_b64 exec, exec, s[10:11]
	s_and_saveexec_b64 s[10:11], s[2:3]
	s_cbranch_execz .LBB76_32
.LBB76_43:                              ;   in Loop: Header=BB76_3 Depth=1
	v_add_co_u32_e32 v21, vcc, v53, v19
	v_addc_co_u32_e32 v22, vcc, v54, v20, vcc
	global_load_ushort v4, v[21:22], off
	v_add_co_u32_e32 v21, vcc, v55, v19
	v_addc_co_u32_e32 v22, vcc, v57, v20, vcc
	global_load_ushort v12, v[21:22], off
	s_waitcnt vmcnt(1)
	v_cvt_f32_f16_e32 v4, v4
	s_waitcnt vmcnt(0)
	v_cvt_f32_f16_e32 v12, v12
	s_or_b64 exec, exec, s[10:11]
	s_and_saveexec_b64 s[10:11], s[2:3]
	s_cbranch_execz .LBB76_33
.LBB76_44:                              ;   in Loop: Header=BB76_3 Depth=1
	v_add_co_u32_e32 v21, vcc, v49, v19
	v_addc_co_u32_e32 v22, vcc, v50, v20, vcc
	global_load_ushort v5, v[21:22], off
	v_add_co_u32_e32 v21, vcc, v51, v19
	v_addc_co_u32_e32 v22, vcc, v52, v20, vcc
	global_load_ushort v13, v[21:22], off
	s_waitcnt vmcnt(1)
	v_cvt_f32_f16_e32 v5, v5
	s_waitcnt vmcnt(0)
	v_cvt_f32_f16_e32 v13, v13
	s_or_b64 exec, exec, s[10:11]
	s_and_saveexec_b64 s[10:11], s[2:3]
	s_cbranch_execz .LBB76_34
.LBB76_45:                              ;   in Loop: Header=BB76_3 Depth=1
	v_add_co_u32_e32 v21, vcc, v45, v19
	v_addc_co_u32_e32 v22, vcc, v46, v20, vcc
	global_load_ushort v6, v[21:22], off
	v_add_co_u32_e32 v21, vcc, v47, v19
	v_addc_co_u32_e32 v22, vcc, v48, v20, vcc
	global_load_ushort v14, v[21:22], off
	s_waitcnt vmcnt(1)
	v_cvt_f32_f16_e32 v6, v6
	s_waitcnt vmcnt(0)
	v_cvt_f32_f16_e32 v14, v14
	s_or_b64 exec, exec, s[10:11]
	s_and_saveexec_b64 s[10:11], s[2:3]
	s_cbranch_execz .LBB76_35
.LBB76_46:                              ;   in Loop: Header=BB76_3 Depth=1
	v_add_co_u32_e32 v21, vcc, v41, v19
	v_addc_co_u32_e32 v22, vcc, v42, v20, vcc
	global_load_ushort v7, v[21:22], off
	v_add_co_u32_e32 v21, vcc, v43, v19
	v_addc_co_u32_e32 v22, vcc, v44, v20, vcc
	global_load_ushort v15, v[21:22], off
	s_waitcnt vmcnt(1)
	v_cvt_f32_f16_e32 v7, v7
	s_waitcnt vmcnt(0)
	v_cvt_f32_f16_e32 v15, v15
	s_or_b64 exec, exec, s[10:11]
	s_and_saveexec_b64 s[10:11], s[2:3]
	s_cbranch_execz .LBB76_36
.LBB76_47:                              ;   in Loop: Header=BB76_3 Depth=1
	v_add_co_u32_e32 v21, vcc, v37, v19
	v_addc_co_u32_e32 v22, vcc, v38, v20, vcc
	global_load_ushort v8, v[21:22], off
	v_add_co_u32_e32 v21, vcc, v39, v19
	v_addc_co_u32_e32 v22, vcc, v40, v20, vcc
	global_load_ushort v16, v[21:22], off
	s_waitcnt vmcnt(1)
	v_cvt_f32_f16_e32 v8, v8
	s_waitcnt vmcnt(0)
	v_cvt_f32_f16_e32 v16, v16
	s_or_b64 exec, exec, s[10:11]
	s_and_saveexec_b64 s[10:11], s[2:3]
	s_cbranch_execz .LBB76_37
.LBB76_48:                              ;   in Loop: Header=BB76_3 Depth=1
	v_add_co_u32_e32 v21, vcc, v33, v19
	v_addc_co_u32_e32 v22, vcc, v34, v20, vcc
	global_load_ushort v9, v[21:22], off
	v_add_co_u32_e32 v21, vcc, v35, v19
	v_addc_co_u32_e32 v22, vcc, v36, v20, vcc
	global_load_ushort v17, v[21:22], off
	s_waitcnt vmcnt(1)
	v_cvt_f32_f16_e32 v9, v9
	s_waitcnt vmcnt(0)
	v_cvt_f32_f16_e32 v17, v17
	s_or_b64 exec, exec, s[10:11]
	s_and_saveexec_b64 s[10:11], s[2:3]
	s_cbranch_execnz .LBB76_38
	s_branch .LBB76_39
.LBB76_49:
                                        ; implicit-def: $vgpr3
                                        ; implicit-def: $vgpr56
	s_branch .LBB76_51
.LBB76_50:
	s_cbranch_execnz .LBB76_83
.LBB76_51:
	v_mov_b32_e32 v3, 0
	s_and_b64 vcc, exec, s[0:1]
	v_mov_b32_e32 v56, 0
	s_cbranch_vccnz .LBB76_83
; %bb.52:
	v_lshlrev_b32_e32 v51, 3, v1
	v_add_co_u32_e32 v8, vcc, s24, v51
	v_addc_co_u32_e64 v9, s[0:1], 0, 0, vcc
	v_mul_lo_u32 v4, s15, v8
	v_mul_lo_u32 v5, s14, v9
	v_mad_u64_u32 v[2:3], s[0:1], s14, v8, 0
	v_mov_b32_e32 v6, s17
	s_add_u32 s2, s4, 64
	v_add3_u32 v3, v3, v5, v4
	v_lshlrev_b64 v[4:5], 1, v[2:3]
	s_addc_u32 s3, s5, 0
	v_add_co_u32_e32 v52, vcc, s16, v4
	v_addc_co_u32_e32 v53, vcc, v6, v5, vcc
	v_mov_b32_e32 v6, s19
	v_add_co_u32_e32 v54, vcc, s18, v4
	v_addc_co_u32_e32 v55, vcc, v6, v5, vcc
	v_lshlrev_b32_e32 v4, 4, v1
	s_lshl_b64 s[0:1], s[24:25], 1
	v_mov_b32_e32 v5, s1
	v_add_co_u32_e32 v10, vcc, s0, v4
	v_addc_co_u32_e32 v11, vcc, 0, v5, vcc
	v_add_co_u32_e32 v12, vcc, 2, v10
	v_addc_co_u32_e32 v6, vcc, 0, v11, vcc
	v_mov_b32_e32 v4, s16
	v_mul_lo_u32 v14, s14, v6
	v_mov_b32_e32 v6, s18
	v_mov_b32_e32 v5, s17
	;; [unrolled: 1-line block ×3, first 2 shown]
	v_mad_u64_u32 v[19:20], s[0:1], s14, v12, v[4:5]
	v_mul_lo_u32 v15, s15, v12
	v_mad_u64_u32 v[21:22], s[0:1], s14, v12, v[6:7]
	v_add_co_u32_e32 v12, vcc, 4, v10
	v_addc_co_u32_e32 v16, vcc, 0, v11, vcc
	v_mov_b32_e32 v13, s15
	v_add_co_u32_e32 v2, vcc, s14, v2
	v_addc_co_u32_e32 v3, vcc, v3, v13, vcc
	v_mul_lo_u32 v17, s15, v12
	v_mad_u64_u32 v[23:24], s[0:1], s14, v12, v[4:5]
	v_mad_u64_u32 v[25:26], s[0:1], s14, v12, v[6:7]
	v_add_co_u32_e32 v12, vcc, 6, v10
	v_addc_co_u32_e32 v13, vcc, 0, v11, vcc
	v_add3_u32 v20, v15, v20, v14
	v_add3_u32 v22, v15, v22, v14
	v_mul_lo_u32 v13, s14, v13
	v_mul_lo_u32 v14, s15, v12
	v_mad_u64_u32 v[27:28], s[0:1], s14, v12, v[4:5]
	v_mad_u64_u32 v[29:30], s[0:1], s14, v12, v[6:7]
	v_add_co_u32_e32 v12, vcc, 8, v10
	v_mul_lo_u32 v16, s14, v16
	v_addc_co_u32_e32 v15, vcc, 0, v11, vcc
	v_mul_lo_u32 v18, s15, v12
	v_mad_u64_u32 v[31:32], s[0:1], s14, v12, v[4:5]
	v_mad_u64_u32 v[33:34], s[0:1], s14, v12, v[6:7]
	v_add_co_u32_e32 v12, vcc, 10, v10
	v_add3_u32 v28, v14, v28, v13
	v_add3_u32 v30, v14, v30, v13
	v_addc_co_u32_e32 v13, vcc, 0, v11, vcc
	v_mul_lo_u32 v14, s15, v12
	v_mad_u64_u32 v[35:36], s[0:1], s14, v12, v[4:5]
	v_mad_u64_u32 v[37:38], s[0:1], s14, v12, v[6:7]
	v_add_co_u32_e32 v12, vcc, 12, v10
	v_add3_u32 v24, v17, v24, v16
	v_add3_u32 v26, v17, v26, v16
	v_addc_co_u32_e32 v16, vcc, 0, v11, vcc
	v_add_co_u32_e32 v10, vcc, 14, v10
	v_addc_co_u32_e32 v11, vcc, 0, v11, vcc
	v_mad_u64_u32 v[39:40], s[0:1], s14, v12, v[4:5]
	v_mad_u64_u32 v[43:44], s[0:1], s14, v10, v[4:5]
	v_add_co_u32_e32 v4, vcc, 7, v8
	v_addc_co_u32_e32 v5, vcc, 0, v9, vcc
	v_mad_u64_u32 v[41:42], s[0:1], s14, v12, v[6:7]
	v_mad_u64_u32 v[45:46], s[0:1], s14, v10, v[6:7]
	v_mul_lo_u32 v6, s15, v10
	v_mul_lo_u32 v7, s14, v5
	;; [unrolled: 1-line block ×3, first 2 shown]
	v_mad_u64_u32 v[4:5], s[0:1], s14, v4, 0
	v_mul_lo_u32 v11, s14, v11
	v_mul_lo_u32 v17, s15, v12
	v_add3_u32 v5, v5, v7, v10
	v_lshlrev_b64 v[4:5], 1, v[4:5]
	v_add3_u32 v44, v6, v44, v11
	v_add3_u32 v46, v6, v46, v11
	v_mov_b32_e32 v6, s17
	v_add_co_u32_e32 v57, vcc, s16, v4
	v_addc_co_u32_e32 v58, vcc, v6, v5, vcc
	v_add_co_u32_e32 v6, vcc, 6, v8
	v_addc_co_u32_e32 v7, vcc, 0, v9, vcc
	v_mul_lo_u32 v11, s14, v7
	v_mul_lo_u32 v12, s15, v6
	v_mad_u64_u32 v[6:7], s[0:1], s14, v6, 0
	v_mov_b32_e32 v10, s19
	v_add_co_u32_e32 v59, vcc, s18, v4
	v_add3_u32 v7, v7, v11, v12
	v_addc_co_u32_e32 v60, vcc, v10, v5, vcc
	v_lshlrev_b64 v[4:5], 1, v[6:7]
	v_mov_b32_e32 v6, s17
	v_add_co_u32_e32 v61, vcc, s16, v4
	v_addc_co_u32_e32 v62, vcc, v6, v5, vcc
	v_add_co_u32_e32 v6, vcc, 5, v8
	v_addc_co_u32_e32 v7, vcc, 0, v9, vcc
	v_mul_lo_u32 v11, s14, v7
	v_mul_lo_u32 v12, s15, v6
	v_mad_u64_u32 v[6:7], s[0:1], s14, v6, 0
	v_add_co_u32_e32 v63, vcc, s18, v4
	v_add3_u32 v7, v7, v11, v12
	v_addc_co_u32_e32 v64, vcc, v10, v5, vcc
	v_lshlrev_b64 v[4:5], 1, v[6:7]
	v_mov_b32_e32 v6, s17
	v_add_co_u32_e32 v65, vcc, s16, v4
	v_addc_co_u32_e32 v66, vcc, v6, v5, vcc
	v_add_co_u32_e32 v6, vcc, 4, v8
	v_addc_co_u32_e32 v7, vcc, 0, v9, vcc
	v_mul_lo_u32 v11, s14, v7
	v_mul_lo_u32 v12, s15, v6
	v_mad_u64_u32 v[6:7], s[0:1], s14, v6, 0
	;; [unrolled: 12-line block ×4, first 2 shown]
	v_add_co_u32_e32 v75, vcc, s18, v4
	v_add3_u32 v7, v7, v8, v9
	v_addc_co_u32_e32 v76, vcc, v10, v5, vcc
	v_lshlrev_b64 v[4:5], 1, v[6:7]
	v_mov_b32_e32 v6, s17
	v_add_co_u32_e32 v77, vcc, s16, v4
	v_addc_co_u32_e32 v78, vcc, v6, v5, vcc
	v_mov_b32_e32 v6, s19
	v_add_co_u32_e32 v79, vcc, s18, v4
	v_lshlrev_b64 v[2:3], 1, v[2:3]
	v_addc_co_u32_e32 v80, vcc, v6, v5, vcc
	s_load_dword s0, s[4:5], 0x44
	v_mov_b32_e32 v4, s17
	v_add_co_u32_e32 v81, vcc, s16, v2
	v_addc_co_u32_e32 v82, vcc, v4, v3, vcc
	v_mov_b32_e32 v4, s19
	v_add_co_u32_e32 v83, vcc, s18, v2
	v_mov_b32_e32 v2, 0
	v_mul_lo_u32 v15, s14, v15
	v_mul_lo_u32 v13, s14, v13
	;; [unrolled: 1-line block ×3, first 2 shown]
	v_addc_co_u32_e32 v84, vcc, v4, v3, vcc
	v_add_u32_e32 v3, s7, v0
	v_mov_b32_e32 v4, v2
	s_waitcnt lgkmcnt(0)
	s_lshl_b32 s7, s0, 3
	v_lshlrev_b64 v[47:48], 1, v[3:4]
	v_mbcnt_lo_u32_b32 v3, -1, 0
	s_mul_i32 s0, s15, s7
	s_mul_hi_u32 s1, s14, s7
	v_mbcnt_hi_u32_b32 v3, -1, v3
	s_add_i32 s1, s1, s0
	s_mul_i32 s0, s14, s7
	v_lshlrev_b32_e32 v3, 2, v3
	v_add3_u32 v32, v18, v32, v15
	v_add3_u32 v34, v18, v34, v15
	;; [unrolled: 1-line block ×6, first 2 shown]
	s_lshl_b64 s[10:11], s[0:1], 1
	s_mov_b64 s[16:17], 7
	v_and_b32_e32 v85, 0x100, v3
	s_mov_b64 s[18:19], s[24:25]
	v_mov_b32_e32 v86, v2
	v_mov_b32_e32 v88, 0
	;; [unrolled: 1-line block ×3, first 2 shown]
.LBB76_53:                              ; =>This Inner Loop Header: Depth=1
	s_add_u32 s0, s24, s16
	v_mov_b32_e32 v3, s12
	s_addc_u32 s1, 0, s17
	v_mov_b32_e32 v4, s13
	v_cmp_ge_i64_e32 vcc, s[0:1], v[3:4]
	v_add_co_u32_e64 v49, s[0:1], s24, v51
	v_addc_co_u32_e64 v50, s[0:1], 0, v86, s[0:1]
	s_mov_b64 s[0:1], -1
                                        ; implicit-def: $vgpr56
                                        ; implicit-def: $vgpr3
	s_cbranch_vccz .LBB76_75
; %bb.54:                               ;   in Loop: Header=BB76_53 Depth=1
	s_load_dword s0, s[2:3], 0xc
	v_mov_b32_e32 v56, 0
	v_mov_b32_e32 v89, 0
	s_waitcnt lgkmcnt(0)
	s_and_b32 s0, s0, 0xffff
	v_mad_u32_u24 v3, v1, s0, v0
	v_and_b32_e32 v3, 63, v3
	v_cmp_gt_u32_e32 vcc, 8, v3
	s_and_saveexec_b64 s[0:1], vcc
	s_cbranch_execz .LBB76_58
; %bb.55:                               ;   in Loop: Header=BB76_53 Depth=1
	v_add_co_u32_e32 v3, vcc, v49, v3
	v_addc_co_u32_e32 v4, vcc, 0, v50, vcc
	v_cmp_gt_i64_e32 vcc, s[12:13], v[3:4]
	v_mov_b32_e32 v89, 0
	v_mov_b32_e32 v56, 0
	s_and_saveexec_b64 s[26:27], vcc
	s_cbranch_execz .LBB76_57
; %bb.56:                               ;   in Loop: Header=BB76_53 Depth=1
	v_lshlrev_b64 v[3:4], 2, v[3:4]
	v_mov_b32_e32 v6, s23
	v_add_co_u32_e32 v5, vcc, s22, v3
	v_addc_co_u32_e32 v6, vcc, v6, v4, vcc
	v_mov_b32_e32 v7, s21
	v_add_co_u32_e32 v3, vcc, s20, v3
	v_addc_co_u32_e32 v4, vcc, v7, v4, vcc
	global_load_dword v89, v[3:4], off
	global_load_dword v56, v[5:6], off
.LBB76_57:                              ;   in Loop: Header=BB76_53 Depth=1
	s_or_b64 exec, exec, s[26:27]
.LBB76_58:                              ;   in Loop: Header=BB76_53 Depth=1
	s_or_b64 exec, exec, s[0:1]
	v_mov_b32_e32 v9, v2
	v_mov_b32_e32 v3, v2
	;; [unrolled: 1-line block ×8, first 2 shown]
	v_cmp_gt_i64_e32 vcc, s[12:13], v[49:50]
	v_mov_b32_e32 v17, v8
	v_mov_b32_e32 v16, v7
	v_mov_b32_e32 v15, v6
	v_mov_b32_e32 v14, v5
	v_mov_b32_e32 v13, v4
	v_mov_b32_e32 v12, v3
	v_mov_b32_e32 v11, v2
	v_mov_b32_e32 v10, v9
	v_mov_b32_e32 v9, v8
	v_mov_b32_e32 v8, v7
	v_mov_b32_e32 v7, v6
	v_mov_b32_e32 v6, v5
	v_mov_b32_e32 v5, v4
	v_mov_b32_e32 v4, v3
	v_mov_b32_e32 v3, v2
	s_and_saveexec_b64 s[0:1], vcc
	s_cbranch_execz .LBB76_60
; %bb.59:                               ;   in Loop: Header=BB76_53 Depth=1
	v_add_co_u32_e32 v3, vcc, v52, v47
	v_addc_co_u32_e32 v4, vcc, v53, v48, vcc
	global_load_ushort v11, v[3:4], off
	v_add_co_u32_e32 v3, vcc, v54, v47
	v_addc_co_u32_e32 v4, vcc, v55, v48, vcc
	global_load_ushort v15, v[3:4], off
	v_mov_b32_e32 v4, v2
	v_mov_b32_e32 v5, v2
	;; [unrolled: 1-line block ×13, first 2 shown]
	s_waitcnt vmcnt(1)
	v_cvt_f32_f16_e32 v3, v11
	s_waitcnt vmcnt(0)
	v_cvt_f32_f16_e32 v11, v15
	v_mov_b32_e32 v15, v2
.LBB76_60:                              ;   in Loop: Header=BB76_53 Depth=1
	s_or_b64 exec, exec, s[0:1]
	v_add_co_u32_e32 v90, vcc, 1, v49
	v_addc_co_u32_e32 v91, vcc, 0, v50, vcc
	v_cmp_gt_i64_e32 vcc, s[12:13], v[90:91]
	s_and_saveexec_b64 s[0:1], vcc
	s_cbranch_execz .LBB76_62
; %bb.61:                               ;   in Loop: Header=BB76_53 Depth=1
	v_add_co_u32_e32 v90, vcc, v81, v47
	v_addc_co_u32_e32 v91, vcc, v82, v48, vcc
	global_load_ushort v4, v[90:91], off
	v_add_co_u32_e32 v90, vcc, v83, v47
	v_addc_co_u32_e32 v91, vcc, v84, v48, vcc
	global_load_ushort v12, v[90:91], off
	s_waitcnt vmcnt(1)
	v_cvt_f32_f16_e32 v4, v4
	s_waitcnt vmcnt(0)
	v_cvt_f32_f16_e32 v12, v12
.LBB76_62:                              ;   in Loop: Header=BB76_53 Depth=1
	s_or_b64 exec, exec, s[0:1]
	v_add_co_u32_e32 v90, vcc, 2, v49
	v_addc_co_u32_e32 v91, vcc, 0, v50, vcc
	v_cmp_gt_i64_e32 vcc, s[12:13], v[90:91]
	s_and_saveexec_b64 s[0:1], vcc
	s_cbranch_execz .LBB76_64
; %bb.63:                               ;   in Loop: Header=BB76_53 Depth=1
	v_add_co_u32_e32 v90, vcc, v77, v47
	v_addc_co_u32_e32 v91, vcc, v78, v48, vcc
	global_load_ushort v5, v[90:91], off
	v_add_co_u32_e32 v90, vcc, v79, v47
	v_addc_co_u32_e32 v91, vcc, v80, v48, vcc
	global_load_ushort v13, v[90:91], off
	s_waitcnt vmcnt(1)
	v_cvt_f32_f16_e32 v5, v5
	s_waitcnt vmcnt(0)
	v_cvt_f32_f16_e32 v13, v13
.LBB76_64:                              ;   in Loop: Header=BB76_53 Depth=1
	;; [unrolled: 18-line block ×7, first 2 shown]
	s_or_b64 exec, exec, s[0:1]
	s_waitcnt vmcnt(1)
	ds_bpermute_b32 v90, v85, v89
	ds_bpermute_b32 v93, v85, v89 offset:4
	s_waitcnt vmcnt(0)
	ds_bpermute_b32 v91, v85, v56
	ds_bpermute_b32 v94, v85, v56 offset:4
	v_add_f32_e32 v92, v88, v3
	s_waitcnt lgkmcnt(3)
	v_sub_f32_e32 v11, v11, v90
	v_mul_f32_e32 v3, v3, v11
	s_waitcnt lgkmcnt(2)
	v_sub_f32_e32 v11, v12, v93
	ds_bpermute_b32 v12, v85, v89 offset:8
	s_waitcnt lgkmcnt(2)
	v_fma_f32 v3, v3, v91, v87
	v_mul_f32_e32 v11, v4, v11
	s_waitcnt lgkmcnt(1)
	v_fmac_f32_e32 v3, v11, v94
	ds_bpermute_b32 v11, v85, v56 offset:8
	s_waitcnt lgkmcnt(1)
	v_sub_f32_e32 v12, v13, v12
	ds_bpermute_b32 v13, v85, v89 offset:12
	v_mul_f32_e32 v12, v5, v12
	v_add_f32_e32 v4, v4, v92
	s_waitcnt lgkmcnt(1)
	v_fmac_f32_e32 v3, v12, v11
	ds_bpermute_b32 v11, v85, v56 offset:12
	v_add_f32_e32 v4, v5, v4
	s_waitcnt lgkmcnt(1)
	v_sub_f32_e32 v5, v14, v13
	ds_bpermute_b32 v12, v85, v89 offset:16
	v_mul_f32_e32 v5, v6, v5
	s_waitcnt lgkmcnt(1)
	v_fmac_f32_e32 v3, v5, v11
	ds_bpermute_b32 v5, v85, v56 offset:16
	v_add_f32_e32 v4, v6, v4
	s_waitcnt lgkmcnt(1)
	v_sub_f32_e32 v6, v15, v12
	ds_bpermute_b32 v11, v85, v89 offset:20
	v_mul_f32_e32 v6, v7, v6
	s_waitcnt lgkmcnt(1)
	v_fmac_f32_e32 v3, v6, v5
	ds_bpermute_b32 v5, v85, v56 offset:20
	v_add_f32_e32 v4, v7, v4
	ds_bpermute_b32 v7, v85, v89 offset:24
	s_waitcnt lgkmcnt(2)
	v_sub_f32_e32 v6, v16, v11
	v_mul_f32_e32 v6, v8, v6
	s_waitcnt lgkmcnt(1)
	v_fmac_f32_e32 v3, v6, v5
	ds_bpermute_b32 v5, v85, v56 offset:24
	s_waitcnt lgkmcnt(1)
	v_sub_f32_e32 v6, v17, v7
	ds_bpermute_b32 v7, v85, v89 offset:28
	v_add_f32_e32 v4, v8, v4
	ds_bpermute_b32 v8, v85, v56 offset:28
	v_mul_f32_e32 v6, v9, v6
	s_waitcnt lgkmcnt(2)
	v_fmac_f32_e32 v3, v6, v5
	s_waitcnt lgkmcnt(1)
	v_sub_f32_e32 v5, v18, v7
	v_add_f32_e32 v4, v9, v4
	v_mul_f32_e32 v5, v10, v5
	s_waitcnt lgkmcnt(0)
	v_fmac_f32_e32 v3, v5, v8
	v_add_f32_e32 v56, v10, v4
	s_mov_b64 s[0:1], 0
.LBB76_75:                              ;   in Loop: Header=BB76_53 Depth=1
	s_and_b64 vcc, exec, s[0:1]
	s_cbranch_vccz .LBB76_81
; %bb.76:                               ;   in Loop: Header=BB76_53 Depth=1
	s_load_dword s0, s[2:3], 0x0
	v_mov_b32_e32 v5, 0
	v_mov_b32_e32 v6, 0
	s_waitcnt lgkmcnt(0)
	s_cmp_lt_u32 s6, s0
	s_cselect_b32 s0, 12, 18
	s_add_u32 s0, s2, s0
	s_addc_u32 s1, s3, 0
	global_load_ushort v3, v2, s[0:1]
	s_waitcnt vmcnt(0)
	v_mad_u32_u24 v3, v1, v3, v0
	v_and_b32_e32 v3, 63, v3
	v_cmp_gt_u32_e32 vcc, 8, v3
	s_and_saveexec_b64 s[0:1], vcc
	s_cbranch_execz .LBB76_80
; %bb.77:                               ;   in Loop: Header=BB76_53 Depth=1
	v_add_co_u32_e32 v3, vcc, v49, v3
	v_addc_co_u32_e32 v4, vcc, 0, v50, vcc
	v_cmp_gt_i64_e32 vcc, s[12:13], v[3:4]
	v_mov_b32_e32 v6, 0
	v_mov_b32_e32 v5, 0
	s_and_saveexec_b64 s[26:27], vcc
	s_cbranch_execz .LBB76_79
; %bb.78:                               ;   in Loop: Header=BB76_53 Depth=1
	v_lshlrev_b64 v[3:4], 2, v[3:4]
	v_mov_b32_e32 v5, s23
	v_add_co_u32_e32 v7, vcc, s22, v3
	v_addc_co_u32_e32 v8, vcc, v5, v4, vcc
	v_mov_b32_e32 v5, s21
	v_add_co_u32_e32 v3, vcc, s20, v3
	v_addc_co_u32_e32 v4, vcc, v5, v4, vcc
	global_load_dword v6, v[3:4], off
	global_load_dword v5, v[7:8], off
.LBB76_79:                              ;   in Loop: Header=BB76_53 Depth=1
	s_or_b64 exec, exec, s[26:27]
.LBB76_80:                              ;   in Loop: Header=BB76_53 Depth=1
	s_or_b64 exec, exec, s[0:1]
	v_add_co_u32_e32 v3, vcc, v52, v47
	v_addc_co_u32_e32 v4, vcc, v53, v48, vcc
	global_load_ushort v7, v[3:4], off
	v_add_co_u32_e32 v3, vcc, v54, v47
	v_addc_co_u32_e32 v4, vcc, v55, v48, vcc
	global_load_ushort v8, v[3:4], off
	;; [unrolled: 3-line block ×16, first 2 shown]
	s_waitcnt vmcnt(16)
	ds_bpermute_b32 v89, v85, v5
	s_waitcnt vmcnt(15)
	v_cvt_f32_f16_e32 v4, v7
	s_waitcnt vmcnt(14)
	v_cvt_f32_f16_e32 v7, v8
	;; [unrolled: 2-line block ×13, first 2 shown]
	ds_bpermute_b32 v49, v85, v6
	s_waitcnt vmcnt(2)
	v_cvt_f32_f16_e32 v50, v50
	s_waitcnt lgkmcnt(0)
	v_sub_f32_e32 v7, v7, v49
	ds_bpermute_b32 v49, v85, v6 offset:4
	v_mul_f32_e32 v7, v7, v4
	v_fmac_f32_e32 v87, v7, v89
	ds_bpermute_b32 v7, v85, v5 offset:4
	v_add_f32_e32 v4, v88, v4
	s_waitcnt lgkmcnt(1)
	v_sub_f32_e32 v9, v9, v49
	ds_bpermute_b32 v49, v85, v6 offset:8
	v_mul_f32_e32 v9, v9, v8
	s_waitcnt lgkmcnt(1)
	v_fmac_f32_e32 v87, v9, v7
	ds_bpermute_b32 v7, v85, v5 offset:8
	v_add_f32_e32 v4, v4, v8
	s_waitcnt lgkmcnt(1)
	v_sub_f32_e32 v8, v11, v49
	ds_bpermute_b32 v9, v85, v6 offset:12
	v_mul_f32_e32 v8, v8, v10
	s_waitcnt lgkmcnt(1)
	v_fmac_f32_e32 v87, v8, v7
	ds_bpermute_b32 v7, v85, v5 offset:12
	s_waitcnt vmcnt(0)
	v_cvt_f32_f16_e32 v3, v3
	s_waitcnt lgkmcnt(1)
	v_sub_f32_e32 v8, v13, v9
	ds_bpermute_b32 v9, v85, v6 offset:16
	v_mul_f32_e32 v8, v8, v12
	s_waitcnt lgkmcnt(1)
	v_fmac_f32_e32 v87, v8, v7
	ds_bpermute_b32 v7, v85, v5 offset:16
	v_cvt_f32_f16_e32 v56, v56
	s_waitcnt lgkmcnt(1)
	v_sub_f32_e32 v8, v15, v9
	ds_bpermute_b32 v9, v85, v6 offset:20
	v_mul_f32_e32 v8, v8, v14
	s_waitcnt lgkmcnt(1)
	v_fmac_f32_e32 v87, v8, v7
	ds_bpermute_b32 v7, v85, v5 offset:20
	v_add_f32_e32 v4, v4, v10
	s_waitcnt lgkmcnt(1)
	v_sub_f32_e32 v8, v17, v9
	ds_bpermute_b32 v9, v85, v6 offset:24
	v_mul_f32_e32 v8, v8, v16
	ds_bpermute_b32 v6, v85, v6 offset:28
	s_waitcnt lgkmcnt(2)
	v_fmac_f32_e32 v87, v8, v7
	ds_bpermute_b32 v7, v85, v5 offset:24
	ds_bpermute_b32 v5, v85, v5 offset:28
	v_add_f32_e32 v4, v4, v12
	s_waitcnt lgkmcnt(3)
	v_sub_f32_e32 v8, v50, v9
	v_add_f32_e32 v4, v4, v14
	v_mul_f32_e32 v8, v8, v18
	s_waitcnt lgkmcnt(2)
	v_sub_f32_e32 v3, v3, v6
	v_add_f32_e32 v4, v4, v16
	s_waitcnt lgkmcnt(1)
	v_fmac_f32_e32 v87, v8, v7
	v_mul_f32_e32 v3, v3, v56
	v_add_f32_e32 v4, v4, v18
	s_waitcnt lgkmcnt(0)
	v_fmac_f32_e32 v87, v3, v5
	v_add_f32_e32 v56, v4, v56
	v_mov_b32_e32 v3, v87
.LBB76_81:                              ;   in Loop: Header=BB76_53 Depth=1
	v_mov_b32_e32 v4, s11
	v_add_co_u32_e32 v52, vcc, s10, v52
	v_addc_co_u32_e32 v53, vcc, v53, v4, vcc
	v_add_co_u32_e32 v54, vcc, s10, v54
	v_addc_co_u32_e32 v55, vcc, v55, v4, vcc
	;; [unrolled: 2-line block ×30, first 2 shown]
	v_add_co_u32_e32 v83, vcc, s10, v83
	s_add_u32 s18, s18, s7
	v_addc_co_u32_e32 v84, vcc, v84, v4, vcc
	v_mov_b32_e32 v4, s12
	s_addc_u32 s19, s19, 0
	v_mov_b32_e32 v5, s13
	v_cmp_ge_i64_e32 vcc, s[18:19], v[4:5]
	s_add_u32 s16, s16, s7
	s_addc_u32 s17, 0, s17
	s_cbranch_vccnz .LBB76_83
; %bb.82:                               ;   in Loop: Header=BB76_53 Depth=1
	v_mov_b32_e32 v88, v56
	v_mov_b32_e32 v87, v3
	s_branch .LBB76_53
.LBB76_83:
	s_mov_b32 s7, 0
	s_lshl_b64 s[0:1], s[6:7], 6
	v_or_b32_e32 v6, s0, v0
	v_mov_b32_e32 v7, s1
	v_cmp_gt_i64_e32 vcc, s[14:15], v[6:7]
	s_and_saveexec_b64 s[0:1], vcc
	s_cbranch_execz .LBB76_88
; %bb.84:
	s_load_dword s0, s[4:5], 0x4c
	v_mov_b32_e32 v2, 0
	v_mov_b32_e32 v0, s8
	s_waitcnt lgkmcnt(0)
	s_lshr_b32 s0, s0, 16
	v_mad_u64_u32 v[4:5], s[0:1], s0, v0, v[1:2]
	s_load_dwordx4 s[0:3], s[4:5], 0x30
	v_lshlrev_b64 v[0:1], 1, v[6:7]
	v_mul_lo_u32 v2, v5, s14
	v_mul_lo_u32 v5, v4, s15
	s_waitcnt lgkmcnt(0)
	s_cmp_eq_u64 s[0:1], 0
	s_cbranch_scc1 .LBB76_86
; %bb.85:
	v_mad_u64_u32 v[6:7], s[4:5], v4, s14, 0
	v_cvt_f16_f32_e32 v3, v3
	v_mov_b32_e32 v8, s1
	v_add3_u32 v7, v7, v5, v2
	v_lshlrev_b64 v[6:7], 1, v[6:7]
	v_add_co_u32_e32 v6, vcc, s0, v6
	v_addc_co_u32_e32 v7, vcc, v8, v7, vcc
	v_add_co_u32_e32 v6, vcc, v6, v0
	v_addc_co_u32_e32 v7, vcc, v7, v1, vcc
	global_store_short v[6:7], v3, off
.LBB76_86:
	s_cmp_eq_u64 s[2:3], 0
	s_cbranch_scc1 .LBB76_88
; %bb.87:
	v_mad_u64_u32 v[3:4], s[0:1], v4, s14, 0
	v_cvt_f16_f32_e32 v6, v56
	v_mov_b32_e32 v7, s3
	v_add3_u32 v4, v4, v5, v2
	v_lshlrev_b64 v[2:3], 1, v[3:4]
	v_add_co_u32_e32 v2, vcc, s2, v2
	v_addc_co_u32_e32 v3, vcc, v7, v3, vcc
	v_add_co_u32_e32 v0, vcc, v2, v0
	v_addc_co_u32_e32 v1, vcc, v3, v1, vcc
	global_store_short v[0:1], v6, off
.LBB76_88:
	s_endpgm
	.section	.rodata,"a",@progbits
	.p2align	6, 0x0
	.amdhsa_kernel _ZN2at6native12_GLOBAL__N_135GammaBetaBackwardCUDAKernelTemplateIN3c104HalfEfLj64ELj1ELj8ELb1ELb0ELb0EEEvllPKT_S7_PKT0_SA_PS5_SB_
		.amdhsa_group_segment_fixed_size 0
		.amdhsa_private_segment_fixed_size 0
		.amdhsa_kernarg_size 320
		.amdhsa_user_sgpr_count 6
		.amdhsa_user_sgpr_private_segment_buffer 1
		.amdhsa_user_sgpr_dispatch_ptr 0
		.amdhsa_user_sgpr_queue_ptr 0
		.amdhsa_user_sgpr_kernarg_segment_ptr 1
		.amdhsa_user_sgpr_dispatch_id 0
		.amdhsa_user_sgpr_flat_scratch_init 0
		.amdhsa_user_sgpr_private_segment_size 0
		.amdhsa_uses_dynamic_stack 0
		.amdhsa_system_sgpr_private_segment_wavefront_offset 0
		.amdhsa_system_sgpr_workgroup_id_x 1
		.amdhsa_system_sgpr_workgroup_id_y 1
		.amdhsa_system_sgpr_workgroup_id_z 0
		.amdhsa_system_sgpr_workgroup_info 0
		.amdhsa_system_vgpr_workitem_id 1
		.amdhsa_next_free_vgpr 95
		.amdhsa_next_free_sgpr 38
		.amdhsa_reserve_vcc 1
		.amdhsa_reserve_flat_scratch 0
		.amdhsa_float_round_mode_32 0
		.amdhsa_float_round_mode_16_64 0
		.amdhsa_float_denorm_mode_32 3
		.amdhsa_float_denorm_mode_16_64 3
		.amdhsa_dx10_clamp 1
		.amdhsa_ieee_mode 1
		.amdhsa_fp16_overflow 0
		.amdhsa_exception_fp_ieee_invalid_op 0
		.amdhsa_exception_fp_denorm_src 0
		.amdhsa_exception_fp_ieee_div_zero 0
		.amdhsa_exception_fp_ieee_overflow 0
		.amdhsa_exception_fp_ieee_underflow 0
		.amdhsa_exception_fp_ieee_inexact 0
		.amdhsa_exception_int_div_zero 0
	.end_amdhsa_kernel
	.section	.text._ZN2at6native12_GLOBAL__N_135GammaBetaBackwardCUDAKernelTemplateIN3c104HalfEfLj64ELj1ELj8ELb1ELb0ELb0EEEvllPKT_S7_PKT0_SA_PS5_SB_,"axG",@progbits,_ZN2at6native12_GLOBAL__N_135GammaBetaBackwardCUDAKernelTemplateIN3c104HalfEfLj64ELj1ELj8ELb1ELb0ELb0EEEvllPKT_S7_PKT0_SA_PS5_SB_,comdat
.Lfunc_end76:
	.size	_ZN2at6native12_GLOBAL__N_135GammaBetaBackwardCUDAKernelTemplateIN3c104HalfEfLj64ELj1ELj8ELb1ELb0ELb0EEEvllPKT_S7_PKT0_SA_PS5_SB_, .Lfunc_end76-_ZN2at6native12_GLOBAL__N_135GammaBetaBackwardCUDAKernelTemplateIN3c104HalfEfLj64ELj1ELj8ELb1ELb0ELb0EEEvllPKT_S7_PKT0_SA_PS5_SB_
                                        ; -- End function
	.set _ZN2at6native12_GLOBAL__N_135GammaBetaBackwardCUDAKernelTemplateIN3c104HalfEfLj64ELj1ELj8ELb1ELb0ELb0EEEvllPKT_S7_PKT0_SA_PS5_SB_.num_vgpr, 95
	.set _ZN2at6native12_GLOBAL__N_135GammaBetaBackwardCUDAKernelTemplateIN3c104HalfEfLj64ELj1ELj8ELb1ELb0ELb0EEEvllPKT_S7_PKT0_SA_PS5_SB_.num_agpr, 0
	.set _ZN2at6native12_GLOBAL__N_135GammaBetaBackwardCUDAKernelTemplateIN3c104HalfEfLj64ELj1ELj8ELb1ELb0ELb0EEEvllPKT_S7_PKT0_SA_PS5_SB_.numbered_sgpr, 38
	.set _ZN2at6native12_GLOBAL__N_135GammaBetaBackwardCUDAKernelTemplateIN3c104HalfEfLj64ELj1ELj8ELb1ELb0ELb0EEEvllPKT_S7_PKT0_SA_PS5_SB_.num_named_barrier, 0
	.set _ZN2at6native12_GLOBAL__N_135GammaBetaBackwardCUDAKernelTemplateIN3c104HalfEfLj64ELj1ELj8ELb1ELb0ELb0EEEvllPKT_S7_PKT0_SA_PS5_SB_.private_seg_size, 0
	.set _ZN2at6native12_GLOBAL__N_135GammaBetaBackwardCUDAKernelTemplateIN3c104HalfEfLj64ELj1ELj8ELb1ELb0ELb0EEEvllPKT_S7_PKT0_SA_PS5_SB_.uses_vcc, 1
	.set _ZN2at6native12_GLOBAL__N_135GammaBetaBackwardCUDAKernelTemplateIN3c104HalfEfLj64ELj1ELj8ELb1ELb0ELb0EEEvllPKT_S7_PKT0_SA_PS5_SB_.uses_flat_scratch, 0
	.set _ZN2at6native12_GLOBAL__N_135GammaBetaBackwardCUDAKernelTemplateIN3c104HalfEfLj64ELj1ELj8ELb1ELb0ELb0EEEvllPKT_S7_PKT0_SA_PS5_SB_.has_dyn_sized_stack, 0
	.set _ZN2at6native12_GLOBAL__N_135GammaBetaBackwardCUDAKernelTemplateIN3c104HalfEfLj64ELj1ELj8ELb1ELb0ELb0EEEvllPKT_S7_PKT0_SA_PS5_SB_.has_recursion, 0
	.set _ZN2at6native12_GLOBAL__N_135GammaBetaBackwardCUDAKernelTemplateIN3c104HalfEfLj64ELj1ELj8ELb1ELb0ELb0EEEvllPKT_S7_PKT0_SA_PS5_SB_.has_indirect_call, 0
	.section	.AMDGPU.csdata,"",@progbits
; Kernel info:
; codeLenInByte = 7116
; TotalNumSgprs: 42
; NumVgprs: 95
; ScratchSize: 0
; MemoryBound: 0
; FloatMode: 240
; IeeeMode: 1
; LDSByteSize: 0 bytes/workgroup (compile time only)
; SGPRBlocks: 5
; VGPRBlocks: 23
; NumSGPRsForWavesPerEU: 42
; NumVGPRsForWavesPerEU: 95
; Occupancy: 2
; WaveLimiterHint : 0
; COMPUTE_PGM_RSRC2:SCRATCH_EN: 0
; COMPUTE_PGM_RSRC2:USER_SGPR: 6
; COMPUTE_PGM_RSRC2:TRAP_HANDLER: 0
; COMPUTE_PGM_RSRC2:TGID_X_EN: 1
; COMPUTE_PGM_RSRC2:TGID_Y_EN: 1
; COMPUTE_PGM_RSRC2:TGID_Z_EN: 0
; COMPUTE_PGM_RSRC2:TIDIG_COMP_CNT: 1
	.section	.text._ZN2at6native12_GLOBAL__N_135GammaBetaBackwardCUDAKernelTemplateIN3c104HalfEfLj64ELj8ELj64ELb0ELb1ELb0EEEvllPKT_S7_PKT0_SA_PS5_SB_,"axG",@progbits,_ZN2at6native12_GLOBAL__N_135GammaBetaBackwardCUDAKernelTemplateIN3c104HalfEfLj64ELj8ELj64ELb0ELb1ELb0EEEvllPKT_S7_PKT0_SA_PS5_SB_,comdat
	.globl	_ZN2at6native12_GLOBAL__N_135GammaBetaBackwardCUDAKernelTemplateIN3c104HalfEfLj64ELj8ELj64ELb0ELb1ELb0EEEvllPKT_S7_PKT0_SA_PS5_SB_ ; -- Begin function _ZN2at6native12_GLOBAL__N_135GammaBetaBackwardCUDAKernelTemplateIN3c104HalfEfLj64ELj8ELj64ELb0ELb1ELb0EEEvllPKT_S7_PKT0_SA_PS5_SB_
	.p2align	8
	.type	_ZN2at6native12_GLOBAL__N_135GammaBetaBackwardCUDAKernelTemplateIN3c104HalfEfLj64ELj8ELj64ELb0ELb1ELb0EEEvllPKT_S7_PKT0_SA_PS5_SB_,@function
_ZN2at6native12_GLOBAL__N_135GammaBetaBackwardCUDAKernelTemplateIN3c104HalfEfLj64ELj8ELj64ELb0ELb1ELb0EEEvllPKT_S7_PKT0_SA_PS5_SB_: ; @_ZN2at6native12_GLOBAL__N_135GammaBetaBackwardCUDAKernelTemplateIN3c104HalfEfLj64ELj8ELj64ELb0ELb1ELb0EEEvllPKT_S7_PKT0_SA_PS5_SB_
; %bb.0:
	s_load_dwordx4 s[20:23], s[4:5], 0x0
	s_lshl_b32 s24, s7, 6
	s_mov_b32 s25, 0
	v_mov_b32_e32 v2, s24
	v_mov_b32_e32 v3, s25
	s_waitcnt lgkmcnt(0)
	v_cmp_gt_i64_e32 vcc, s[20:21], v[2:3]
	s_cbranch_vccnz .LBB77_2
; %bb.1:
	s_mov_b64 s[0:1], 0
	s_branch .LBB77_3
.LBB77_2:
	s_mov_b64 s[0:1], -1
.LBB77_3:
	s_load_dwordx4 s[16:19], s[4:5], 0x30
	v_mov_b32_e32 v16, 0
	s_andn2_b64 vcc, exec, s[0:1]
	v_mbcnt_lo_u32_b32 v7, -1, 0
	v_mov_b32_e32 v6, 0
	s_cbranch_vccnz .LBB77_10
; %bb.4:
	s_load_dword s0, s[4:5], 0x4c
	s_load_dword s2, s[4:5], 0x44
	s_load_dwordx8 s[8:15], s[4:5], 0x10
	v_lshlrev_b32_e32 v2, 3, v1
	v_mbcnt_hi_u32_b32 v4, -1, v7
	v_lshlrev_b32_e32 v4, 2, v4
	v_add_co_u32_e32 v2, vcc, s24, v2
	v_and_b32_e32 v8, 0x100, v4
	s_waitcnt lgkmcnt(0)
	s_lshl_b32 s4, s2, 6
	v_addc_co_u32_e64 v4, s[2:3], 0, 0, vcc
	v_mul_lo_u32 v18, s23, v2
	v_mul_lo_u32 v19, s22, v4
	v_mad_u64_u32 v[16:17], s[2:3], s22, v2, 0
	s_and_b32 s0, s0, 0xffff
	v_mad_u32_u24 v3, v1, s0, v0
	v_and_b32_e32 v3, 63, v3
	v_mov_b32_e32 v6, 0
	v_lshl_add_u32 v5, s6, 6, v0
	v_add_co_u32_e32 v2, vcc, v2, v3
	v_add3_u32 v17, v17, v19, v18
	v_cmp_gt_u32_e64 s[0:1], 8, v3
	v_addc_co_u32_e32 v3, vcc, 0, v4, vcc
	v_lshlrev_b64 v[17:18], 1, v[16:17]
	v_lshlrev_b64 v[4:5], 1, v[5:6]
	s_mul_i32 s2, s23, s4
	v_add_co_u32_e32 v17, vcc, v17, v4
	s_mul_hi_u32 s3, s22, s4
	s_mov_b32 s5, 0
	v_addc_co_u32_e32 v18, vcc, v18, v5, vcc
	v_lshlrev_b64 v[4:5], 2, v[2:3]
	s_add_i32 s3, s3, s2
	s_mul_i32 s2, s22, s4
	v_or_b32_e32 v9, 4, v8
	v_or_b32_e32 v10, 8, v8
	;; [unrolled: 1-line block ×7, first 2 shown]
	s_lshl_b64 s[26:27], s[4:5], 2
	s_lshl_b64 s[28:29], s[2:3], 1
	;; [unrolled: 1-line block ×3, first 2 shown]
	v_mov_b32_e32 v16, v6
	s_branch .LBB77_7
.LBB77_5:                               ;   in Loop: Header=BB77_7 Depth=1
	s_or_b64 exec, exec, s[30:31]
.LBB77_6:                               ;   in Loop: Header=BB77_7 Depth=1
	s_or_b64 exec, exec, s[2:3]
	v_mov_b32_e32 v21, s11
	v_add_co_u32_e32 v22, vcc, s10, v17
	v_addc_co_u32_e32 v23, vcc, v21, v18, vcc
	v_mov_b32_e32 v21, s23
	v_add_co_u32_e32 v24, vcc, s22, v22
	v_addc_co_u32_e32 v25, vcc, v23, v21, vcc
	global_load_ushort v28, v[22:23], off
	v_mov_b32_e32 v23, s9
	v_add_co_u32_e32 v22, vcc, s8, v17
	v_addc_co_u32_e32 v23, vcc, v23, v18, vcc
	v_add_co_u32_e32 v26, vcc, s22, v22
	global_load_ushort v22, v[22:23], off
	v_addc_co_u32_e32 v27, vcc, v23, v21, vcc
	s_add_u32 s24, s24, s4
	s_addc_u32 s25, s25, 0
	v_add_co_u32_e64 v17, s[2:3], s28, v17
	s_waitcnt vmcnt(1)
	v_cvt_f32_f16_e32 v23, v28
	ds_bpermute_b32 v28, v8, v20
	s_waitcnt lgkmcnt(0)
	v_sub_f32_e32 v23, v23, v28
	global_load_ushort v28, v[24:25], off
	s_waitcnt vmcnt(1)
	v_cvt_f32_f16_e32 v22, v22
	v_add_f32_e32 v6, v6, v22
	v_mul_f32_e32 v22, v23, v22
	ds_bpermute_b32 v23, v8, v19
	s_waitcnt lgkmcnt(0)
	v_fmac_f32_e32 v16, v22, v23
	v_add_co_u32_e32 v22, vcc, s22, v24
	v_addc_co_u32_e32 v23, vcc, v25, v21, vcc
	global_load_ushort v29, v[22:23], off
	v_add_co_u32_e32 v24, vcc, s22, v26
	global_load_ushort v26, v[26:27], off
	v_addc_co_u32_e32 v25, vcc, v27, v21, vcc
	s_waitcnt vmcnt(2)
	v_cvt_f32_f16_e32 v27, v28
	ds_bpermute_b32 v28, v9, v20
	s_waitcnt lgkmcnt(0)
	v_sub_f32_e32 v27, v27, v28
	s_waitcnt vmcnt(0)
	v_cvt_f32_f16_e32 v28, v26
	v_mul_f32_e32 v26, v27, v28
	ds_bpermute_b32 v27, v9, v19
	v_add_f32_e32 v6, v6, v28
	s_waitcnt lgkmcnt(0)
	v_fmac_f32_e32 v16, v26, v27
	v_add_co_u32_e32 v26, vcc, s22, v22
	v_addc_co_u32_e32 v27, vcc, v23, v21, vcc
	v_add_co_u32_e32 v22, vcc, s22, v24
	global_load_ushort v24, v[24:25], off
	v_addc_co_u32_e32 v23, vcc, v25, v21, vcc
	v_cvt_f32_f16_e32 v25, v29
	ds_bpermute_b32 v29, v10, v20
	global_load_ushort v30, v[26:27], off
	s_waitcnt lgkmcnt(0)
	v_sub_f32_e32 v25, v25, v29
	s_waitcnt vmcnt(1)
	v_cvt_f32_f16_e32 v29, v24
	v_mul_f32_e32 v24, v25, v29
	ds_bpermute_b32 v25, v10, v19
	v_add_f32_e32 v6, v6, v29
	s_waitcnt lgkmcnt(0)
	v_fmac_f32_e32 v16, v24, v25
	v_add_co_u32_e32 v24, vcc, s22, v26
	v_addc_co_u32_e32 v25, vcc, v27, v21, vcc
	global_load_ushort v31, v[24:25], off
	v_add_co_u32_e32 v26, vcc, s22, v22
	global_load_ushort v22, v[22:23], off
	v_addc_co_u32_e32 v27, vcc, v23, v21, vcc
	s_waitcnt vmcnt(2)
	v_cvt_f32_f16_e32 v23, v30
	ds_bpermute_b32 v30, v11, v20
	s_waitcnt lgkmcnt(0)
	v_sub_f32_e32 v23, v23, v30
	s_waitcnt vmcnt(0)
	v_cvt_f32_f16_e32 v30, v22
	v_mul_f32_e32 v22, v23, v30
	ds_bpermute_b32 v23, v11, v19
	v_add_f32_e32 v6, v6, v30
	s_waitcnt lgkmcnt(0)
	v_fmac_f32_e32 v16, v22, v23
	v_add_co_u32_e32 v22, vcc, s22, v24
	v_addc_co_u32_e32 v23, vcc, v25, v21, vcc
	global_load_ushort v32, v[22:23], off
	v_add_co_u32_e32 v24, vcc, s22, v26
	global_load_ushort v26, v[26:27], off
	v_addc_co_u32_e32 v25, vcc, v27, v21, vcc
	v_cvt_f32_f16_e32 v27, v31
	ds_bpermute_b32 v31, v12, v20
	s_waitcnt lgkmcnt(0)
	v_sub_f32_e32 v27, v27, v31
	s_waitcnt vmcnt(0)
	v_cvt_f32_f16_e32 v31, v26
	v_mul_f32_e32 v26, v27, v31
	ds_bpermute_b32 v27, v12, v19
	v_add_f32_e32 v6, v6, v31
	s_waitcnt lgkmcnt(0)
	v_fmac_f32_e32 v16, v26, v27
	v_add_co_u32_e32 v26, vcc, s22, v22
	v_addc_co_u32_e32 v27, vcc, v23, v21, vcc
	v_add_co_u32_e32 v22, vcc, s22, v24
	global_load_ushort v24, v[24:25], off
	v_addc_co_u32_e32 v23, vcc, v25, v21, vcc
	v_cvt_f32_f16_e32 v25, v32
	ds_bpermute_b32 v32, v13, v20
	global_load_ushort v33, v[26:27], off
	s_waitcnt lgkmcnt(0)
	v_sub_f32_e32 v25, v25, v32
	s_waitcnt vmcnt(1)
	v_cvt_f32_f16_e32 v32, v24
	v_mul_f32_e32 v24, v25, v32
	ds_bpermute_b32 v25, v13, v19
	v_add_f32_e32 v6, v6, v32
	s_waitcnt lgkmcnt(0)
	v_fmac_f32_e32 v16, v24, v25
	v_add_co_u32_e32 v24, vcc, s22, v26
	v_addc_co_u32_e32 v25, vcc, v27, v21, vcc
	v_add_co_u32_e32 v26, vcc, s22, v22
	v_addc_co_u32_e32 v27, vcc, v23, v21, vcc
	global_load_ushort v21, v[22:23], off
	ds_bpermute_b32 v23, v14, v20
	s_waitcnt vmcnt(1)
	v_cvt_f32_f16_e32 v22, v33
	ds_bpermute_b32 v20, v15, v20
	v_add_co_u32_e32 v4, vcc, s26, v4
	s_waitcnt lgkmcnt(1)
	v_sub_f32_e32 v22, v22, v23
	ds_bpermute_b32 v23, v14, v19
	ds_bpermute_b32 v19, v15, v19
	s_waitcnt vmcnt(0)
	v_cvt_f32_f16_e32 v21, v21
	v_mul_f32_e32 v22, v22, v21
	s_waitcnt lgkmcnt(1)
	v_fmac_f32_e32 v16, v22, v23
	global_load_ushort v22, v[26:27], off
	global_load_ushort v23, v[24:25], off
	v_add_f32_e32 v6, v6, v21
	v_mov_b32_e32 v21, s29
	v_addc_co_u32_e64 v18, s[2:3], v18, v21, s[2:3]
	s_waitcnt vmcnt(1)
	v_cvt_f32_f16_e32 v22, v22
	s_waitcnt vmcnt(0)
	v_cvt_f32_f16_e32 v23, v23
	v_add_f32_e32 v6, v6, v22
	v_sub_f32_e32 v20, v23, v20
	v_mul_f32_e32 v20, v20, v22
	s_waitcnt lgkmcnt(0)
	v_fmac_f32_e32 v16, v20, v19
	v_mov_b32_e32 v19, s27
	v_addc_co_u32_e32 v5, vcc, v5, v19, vcc
	v_add_co_u32_e32 v2, vcc, s4, v2
	v_mov_b32_e32 v19, s20
	v_addc_co_u32_e32 v3, vcc, 0, v3, vcc
	v_mov_b32_e32 v20, s21
	v_cmp_lt_i64_e32 vcc, s[24:25], v[19:20]
	s_cbranch_vccz .LBB77_10
.LBB77_7:                               ; =>This Inner Loop Header: Depth=1
	v_mov_b32_e32 v19, 0
	v_mov_b32_e32 v20, 0
	s_and_saveexec_b64 s[2:3], s[0:1]
	s_cbranch_execz .LBB77_6
; %bb.8:                                ;   in Loop: Header=BB77_7 Depth=1
	v_cmp_gt_i64_e32 vcc, s[20:21], v[2:3]
	v_mov_b32_e32 v20, 0
	v_mov_b32_e32 v19, 0
	s_and_saveexec_b64 s[30:31], vcc
	s_cbranch_execz .LBB77_5
; %bb.9:                                ;   in Loop: Header=BB77_7 Depth=1
	v_mov_b32_e32 v19, s15
	v_add_co_u32_e32 v21, vcc, s14, v4
	v_addc_co_u32_e32 v22, vcc, v19, v5, vcc
	v_mov_b32_e32 v19, s13
	v_add_co_u32_e32 v23, vcc, s12, v4
	v_addc_co_u32_e32 v24, vcc, v19, v5, vcc
	global_load_dword v20, v[23:24], off
	global_load_dword v19, v[21:22], off
	s_branch .LBB77_5
.LBB77_10:
	s_movk_i32 s0, 0x41
	v_mad_u32_u24 v2, v1, s0, v0
	v_lshl_add_u32 v2, v2, 2, 0
	ds_write_b32 v2, v16
	ds_write_b32 v2, v6 offset:2080
	v_lshrrev_b32_e32 v2, 6, v0
	v_add_u32_e32 v2, v2, v1
	v_cmp_gt_u32_e32 vcc, 64, v2
	s_waitcnt lgkmcnt(0)
	s_barrier
	s_and_saveexec_b64 s[0:1], vcc
	s_cbranch_execz .LBB77_74
; %bb.11:
	v_and_b32_e32 v1, 63, v0
	v_cmp_gt_u32_e64 s[0:1], 8, v1
	v_mul_u32_u24_e32 v3, 0x41, v1
                                        ; implicit-def: $vgpr1
                                        ; implicit-def: $vgpr5
	s_and_saveexec_b64 s[2:3], s[0:1]
	s_cbranch_execz .LBB77_13
; %bb.12:
	v_add_u32_e32 v1, v2, v3
	v_lshl_add_u32 v1, v1, 2, 0
	ds_read_b32 v5, v1
	ds_read_b32 v1, v1 offset:2080
.LBB77_13:
	s_or_b64 exec, exec, s[2:3]
	v_mbcnt_hi_u32_b32 v6, -1, v7
	v_and_b32_e32 v4, 64, v6
	v_add_u32_e32 v7, 64, v4
	v_xor_b32_e32 v4, 4, v6
	v_cmp_lt_i32_e32 vcc, v4, v7
	v_cndmask_b32_e32 v4, v6, v4, vcc
	v_lshlrev_b32_e32 v4, 2, v4
	s_waitcnt lgkmcnt(1)
	ds_bpermute_b32 v8, v4, v5
	s_waitcnt lgkmcnt(1)
	ds_bpermute_b32 v9, v4, v1
	v_cmp_eq_u32_e64 s[2:3], 0, v0
	s_mov_b32 s7, 0
	s_lshl_b64 s[4:5], s[6:7], 6
	s_waitcnt lgkmcnt(1)
	v_add_f32_e32 v8, v5, v8
	v_xor_b32_e32 v5, 2, v6
	v_cmp_lt_i32_e32 vcc, v5, v7
	v_cndmask_b32_e32 v5, v6, v5, vcc
	v_lshlrev_b32_e32 v5, 2, v5
	s_waitcnt lgkmcnt(0)
	v_add_f32_e32 v1, v1, v9
	ds_bpermute_b32 v9, v5, v8
	ds_bpermute_b32 v10, v5, v1
	s_cmp_lg_u64 s[16:17], 0
	s_cselect_b64 s[8:9], -1, 0
	s_cmp_lg_u64 s[18:19], 0
	s_waitcnt lgkmcnt(1)
	v_add_f32_e32 v0, v8, v9
	v_xor_b32_e32 v8, 1, v6
	v_cmp_lt_i32_e32 vcc, v8, v7
	v_cndmask_b32_e32 v6, v6, v8, vcc
	s_waitcnt lgkmcnt(0)
	v_add_f32_e32 v1, v1, v10
	v_lshlrev_b32_e32 v6, 2, v6
	ds_bpermute_b32 v7, v6, v0
	ds_bpermute_b32 v8, v6, v1
	s_cselect_b64 s[6:7], -1, 0
	s_waitcnt lgkmcnt(1)
	v_add_f32_e32 v7, v0, v7
	s_waitcnt lgkmcnt(0)
	v_add_f32_e32 v8, v1, v8
	s_and_saveexec_b64 s[10:11], s[2:3]
	s_cbranch_execz .LBB77_18
; %bb.14:
	v_mov_b32_e32 v1, s5
	v_or_b32_e32 v0, s4, v2
	v_lshlrev_b64 v[0:1], 1, v[0:1]
	s_andn2_b64 vcc, exec, s[8:9]
	s_cbranch_vccnz .LBB77_16
; %bb.15:
	v_cvt_f16_f32_e32 v11, v7
	v_mov_b32_e32 v10, s17
	v_add_co_u32_e32 v9, vcc, s16, v0
	v_addc_co_u32_e32 v10, vcc, v10, v1, vcc
	global_store_short v[9:10], v11, off
.LBB77_16:
	s_andn2_b64 vcc, exec, s[6:7]
	s_cbranch_vccnz .LBB77_18
; %bb.17:
	v_cvt_f16_f32_e32 v10, v8
	v_mov_b32_e32 v9, s19
	v_add_co_u32_e32 v0, vcc, s18, v0
	v_addc_co_u32_e32 v1, vcc, v9, v1, vcc
	global_store_short v[0:1], v10, off
.LBB77_18:
	s_or_b64 exec, exec, s[10:11]
	v_cmp_gt_u32_e32 vcc, 56, v2
	s_and_b64 exec, exec, vcc
	s_cbranch_execz .LBB77_74
; %bb.19:
	s_and_saveexec_b64 s[10:11], s[0:1]
	s_cbranch_execz .LBB77_21
; %bb.20:
	v_add_u32_e32 v0, v2, v3
	v_lshl_add_u32 v0, v0, 2, 0
	ds_read_b32 v7, v0 offset:32
	ds_read_b32 v8, v0 offset:2112
.LBB77_21:
	s_or_b64 exec, exec, s[10:11]
	s_waitcnt lgkmcnt(1)
	ds_bpermute_b32 v0, v4, v7
	s_waitcnt lgkmcnt(1)
	ds_bpermute_b32 v1, v4, v8
	s_waitcnt lgkmcnt(1)
	v_add_f32_e32 v0, v7, v0
	s_waitcnt lgkmcnt(0)
	v_add_f32_e32 v1, v8, v1
	ds_bpermute_b32 v7, v5, v0
	ds_bpermute_b32 v8, v5, v1
	s_waitcnt lgkmcnt(1)
	v_add_f32_e32 v0, v0, v7
	s_waitcnt lgkmcnt(0)
	v_add_f32_e32 v1, v1, v8
	ds_bpermute_b32 v7, v6, v0
	ds_bpermute_b32 v8, v6, v1
	s_waitcnt lgkmcnt(1)
	v_add_f32_e32 v0, v0, v7
	s_waitcnt lgkmcnt(0)
	v_add_f32_e32 v1, v1, v8
	s_and_saveexec_b64 s[10:11], s[2:3]
	s_cbranch_execz .LBB77_26
; %bb.22:
	s_andn2_b64 vcc, exec, s[8:9]
	s_cbranch_vccnz .LBB77_24
; %bb.23:
	v_mov_b32_e32 v8, s5
	v_add_co_u32_e32 v7, vcc, s4, v2
	v_addc_co_u32_e32 v8, vcc, 0, v8, vcc
	v_lshlrev_b64 v[7:8], 1, v[7:8]
	v_cvt_f16_f32_e32 v10, v0
	v_mov_b32_e32 v9, s17
	v_add_co_u32_e32 v7, vcc, s16, v7
	v_addc_co_u32_e32 v8, vcc, v9, v8, vcc
	global_store_short v[7:8], v10, off offset:16
.LBB77_24:
	s_andn2_b64 vcc, exec, s[6:7]
	s_cbranch_vccnz .LBB77_26
; %bb.25:
	v_mov_b32_e32 v8, s5
	v_add_co_u32_e32 v7, vcc, s4, v2
	v_addc_co_u32_e32 v8, vcc, 0, v8, vcc
	v_lshlrev_b64 v[7:8], 1, v[7:8]
	v_cvt_f16_f32_e32 v10, v1
	v_mov_b32_e32 v9, s19
	v_add_co_u32_e32 v7, vcc, s18, v7
	v_addc_co_u32_e32 v8, vcc, v9, v8, vcc
	global_store_short v[7:8], v10, off offset:16
.LBB77_26:
	s_or_b64 exec, exec, s[10:11]
	v_cmp_gt_u32_e32 vcc, 48, v2
	s_and_b64 exec, exec, vcc
	s_cbranch_execz .LBB77_74
; %bb.27:
	s_and_saveexec_b64 s[10:11], s[0:1]
	s_cbranch_execz .LBB77_29
; %bb.28:
	v_add_u32_e32 v0, v2, v3
	v_lshl_add_u32 v1, v0, 2, 0
	ds_read_b32 v0, v1 offset:64
	ds_read_b32 v1, v1 offset:2144
.LBB77_29:
	s_or_b64 exec, exec, s[10:11]
	s_waitcnt lgkmcnt(1)
	ds_bpermute_b32 v7, v4, v0
	s_waitcnt lgkmcnt(1)
	ds_bpermute_b32 v8, v4, v1
	s_waitcnt lgkmcnt(1)
	v_add_f32_e32 v0, v0, v7
	s_waitcnt lgkmcnt(0)
	v_add_f32_e32 v1, v1, v8
	ds_bpermute_b32 v7, v5, v0
	ds_bpermute_b32 v8, v5, v1
	s_waitcnt lgkmcnt(1)
	v_add_f32_e32 v0, v0, v7
	s_waitcnt lgkmcnt(0)
	v_add_f32_e32 v1, v1, v8
	ds_bpermute_b32 v7, v6, v0
	ds_bpermute_b32 v8, v6, v1
	s_waitcnt lgkmcnt(1)
	v_add_f32_e32 v0, v0, v7
	s_waitcnt lgkmcnt(0)
	v_add_f32_e32 v1, v1, v8
	s_and_saveexec_b64 s[10:11], s[2:3]
	s_cbranch_execz .LBB77_34
; %bb.30:
	s_andn2_b64 vcc, exec, s[8:9]
	s_cbranch_vccnz .LBB77_32
; %bb.31:
	v_mov_b32_e32 v8, s5
	v_add_co_u32_e32 v7, vcc, s4, v2
	v_addc_co_u32_e32 v8, vcc, 0, v8, vcc
	v_lshlrev_b64 v[7:8], 1, v[7:8]
	v_cvt_f16_f32_e32 v10, v0
	v_mov_b32_e32 v9, s17
	v_add_co_u32_e32 v7, vcc, s16, v7
	v_addc_co_u32_e32 v8, vcc, v9, v8, vcc
	global_store_short v[7:8], v10, off offset:32
.LBB77_32:
	s_andn2_b64 vcc, exec, s[6:7]
	s_cbranch_vccnz .LBB77_34
; %bb.33:
	v_mov_b32_e32 v8, s5
	v_add_co_u32_e32 v7, vcc, s4, v2
	v_addc_co_u32_e32 v8, vcc, 0, v8, vcc
	v_lshlrev_b64 v[7:8], 1, v[7:8]
	v_cvt_f16_f32_e32 v10, v1
	v_mov_b32_e32 v9, s19
	v_add_co_u32_e32 v7, vcc, s18, v7
	v_addc_co_u32_e32 v8, vcc, v9, v8, vcc
	global_store_short v[7:8], v10, off offset:32
.LBB77_34:
	;; [unrolled: 63-line block ×6, first 2 shown]
	s_or_b64 exec, exec, s[10:11]
	v_cmp_gt_u32_e32 vcc, 8, v2
	s_and_b64 exec, exec, vcc
	s_cbranch_execz .LBB77_74
; %bb.67:
	s_and_saveexec_b64 s[10:11], s[0:1]
	s_cbranch_execz .LBB77_69
; %bb.68:
	v_add_u32_e32 v0, v2, v3
	v_lshl_add_u32 v1, v0, 2, 0
	ds_read_b32 v0, v1 offset:224
	ds_read_b32 v1, v1 offset:2304
.LBB77_69:
	s_or_b64 exec, exec, s[10:11]
	s_waitcnt lgkmcnt(1)
	ds_bpermute_b32 v3, v4, v0
	s_waitcnt lgkmcnt(1)
	ds_bpermute_b32 v4, v4, v1
	s_waitcnt lgkmcnt(1)
	v_add_f32_e32 v0, v0, v3
	s_waitcnt lgkmcnt(0)
	v_add_f32_e32 v1, v1, v4
	ds_bpermute_b32 v3, v5, v0
	ds_bpermute_b32 v4, v5, v1
	s_waitcnt lgkmcnt(1)
	v_add_f32_e32 v3, v0, v3
	s_waitcnt lgkmcnt(0)
	v_add_f32_e32 v0, v1, v4
	ds_bpermute_b32 v4, v6, v3
	ds_bpermute_b32 v1, v6, v0
	s_and_b64 exec, exec, s[2:3]
	s_cbranch_execz .LBB77_74
; %bb.70:
	s_andn2_b64 vcc, exec, s[8:9]
	s_cbranch_vccnz .LBB77_72
; %bb.71:
	s_waitcnt lgkmcnt(1)
	v_add_f32_e32 v5, v3, v4
	v_mov_b32_e32 v4, s5
	v_add_co_u32_e32 v3, vcc, s4, v2
	v_addc_co_u32_e32 v4, vcc, 0, v4, vcc
	v_lshlrev_b64 v[3:4], 1, v[3:4]
	v_cvt_f16_f32_e32 v5, v5
	v_mov_b32_e32 v6, s17
	v_add_co_u32_e32 v3, vcc, s16, v3
	v_addc_co_u32_e32 v4, vcc, v6, v4, vcc
	global_store_short v[3:4], v5, off offset:112
.LBB77_72:
	s_andn2_b64 vcc, exec, s[6:7]
	s_cbranch_vccnz .LBB77_74
; %bb.73:
	s_waitcnt lgkmcnt(0)
	v_add_f32_e32 v3, v0, v1
	v_mov_b32_e32 v1, s5
	v_add_co_u32_e32 v0, vcc, s4, v2
	v_addc_co_u32_e32 v1, vcc, 0, v1, vcc
	v_lshlrev_b64 v[0:1], 1, v[0:1]
	v_cvt_f16_f32_e32 v3, v3
	v_mov_b32_e32 v2, s19
	v_add_co_u32_e32 v0, vcc, s18, v0
	v_addc_co_u32_e32 v1, vcc, v2, v1, vcc
	global_store_short v[0:1], v3, off offset:112
.LBB77_74:
	s_endpgm
	.section	.rodata,"a",@progbits
	.p2align	6, 0x0
	.amdhsa_kernel _ZN2at6native12_GLOBAL__N_135GammaBetaBackwardCUDAKernelTemplateIN3c104HalfEfLj64ELj8ELj64ELb0ELb1ELb0EEEvllPKT_S7_PKT0_SA_PS5_SB_
		.amdhsa_group_segment_fixed_size 0
		.amdhsa_private_segment_fixed_size 0
		.amdhsa_kernarg_size 320
		.amdhsa_user_sgpr_count 6
		.amdhsa_user_sgpr_private_segment_buffer 1
		.amdhsa_user_sgpr_dispatch_ptr 0
		.amdhsa_user_sgpr_queue_ptr 0
		.amdhsa_user_sgpr_kernarg_segment_ptr 1
		.amdhsa_user_sgpr_dispatch_id 0
		.amdhsa_user_sgpr_flat_scratch_init 0
		.amdhsa_user_sgpr_private_segment_size 0
		.amdhsa_uses_dynamic_stack 0
		.amdhsa_system_sgpr_private_segment_wavefront_offset 0
		.amdhsa_system_sgpr_workgroup_id_x 1
		.amdhsa_system_sgpr_workgroup_id_y 1
		.amdhsa_system_sgpr_workgroup_id_z 0
		.amdhsa_system_sgpr_workgroup_info 0
		.amdhsa_system_vgpr_workitem_id 1
		.amdhsa_next_free_vgpr 34
		.amdhsa_next_free_sgpr 32
		.amdhsa_reserve_vcc 1
		.amdhsa_reserve_flat_scratch 0
		.amdhsa_float_round_mode_32 0
		.amdhsa_float_round_mode_16_64 0
		.amdhsa_float_denorm_mode_32 3
		.amdhsa_float_denorm_mode_16_64 3
		.amdhsa_dx10_clamp 1
		.amdhsa_ieee_mode 1
		.amdhsa_fp16_overflow 0
		.amdhsa_exception_fp_ieee_invalid_op 0
		.amdhsa_exception_fp_denorm_src 0
		.amdhsa_exception_fp_ieee_div_zero 0
		.amdhsa_exception_fp_ieee_overflow 0
		.amdhsa_exception_fp_ieee_underflow 0
		.amdhsa_exception_fp_ieee_inexact 0
		.amdhsa_exception_int_div_zero 0
	.end_amdhsa_kernel
	.section	.text._ZN2at6native12_GLOBAL__N_135GammaBetaBackwardCUDAKernelTemplateIN3c104HalfEfLj64ELj8ELj64ELb0ELb1ELb0EEEvllPKT_S7_PKT0_SA_PS5_SB_,"axG",@progbits,_ZN2at6native12_GLOBAL__N_135GammaBetaBackwardCUDAKernelTemplateIN3c104HalfEfLj64ELj8ELj64ELb0ELb1ELb0EEEvllPKT_S7_PKT0_SA_PS5_SB_,comdat
.Lfunc_end77:
	.size	_ZN2at6native12_GLOBAL__N_135GammaBetaBackwardCUDAKernelTemplateIN3c104HalfEfLj64ELj8ELj64ELb0ELb1ELb0EEEvllPKT_S7_PKT0_SA_PS5_SB_, .Lfunc_end77-_ZN2at6native12_GLOBAL__N_135GammaBetaBackwardCUDAKernelTemplateIN3c104HalfEfLj64ELj8ELj64ELb0ELb1ELb0EEEvllPKT_S7_PKT0_SA_PS5_SB_
                                        ; -- End function
	.set _ZN2at6native12_GLOBAL__N_135GammaBetaBackwardCUDAKernelTemplateIN3c104HalfEfLj64ELj8ELj64ELb0ELb1ELb0EEEvllPKT_S7_PKT0_SA_PS5_SB_.num_vgpr, 34
	.set _ZN2at6native12_GLOBAL__N_135GammaBetaBackwardCUDAKernelTemplateIN3c104HalfEfLj64ELj8ELj64ELb0ELb1ELb0EEEvllPKT_S7_PKT0_SA_PS5_SB_.num_agpr, 0
	.set _ZN2at6native12_GLOBAL__N_135GammaBetaBackwardCUDAKernelTemplateIN3c104HalfEfLj64ELj8ELj64ELb0ELb1ELb0EEEvllPKT_S7_PKT0_SA_PS5_SB_.numbered_sgpr, 32
	.set _ZN2at6native12_GLOBAL__N_135GammaBetaBackwardCUDAKernelTemplateIN3c104HalfEfLj64ELj8ELj64ELb0ELb1ELb0EEEvllPKT_S7_PKT0_SA_PS5_SB_.num_named_barrier, 0
	.set _ZN2at6native12_GLOBAL__N_135GammaBetaBackwardCUDAKernelTemplateIN3c104HalfEfLj64ELj8ELj64ELb0ELb1ELb0EEEvllPKT_S7_PKT0_SA_PS5_SB_.private_seg_size, 0
	.set _ZN2at6native12_GLOBAL__N_135GammaBetaBackwardCUDAKernelTemplateIN3c104HalfEfLj64ELj8ELj64ELb0ELb1ELb0EEEvllPKT_S7_PKT0_SA_PS5_SB_.uses_vcc, 1
	.set _ZN2at6native12_GLOBAL__N_135GammaBetaBackwardCUDAKernelTemplateIN3c104HalfEfLj64ELj8ELj64ELb0ELb1ELb0EEEvllPKT_S7_PKT0_SA_PS5_SB_.uses_flat_scratch, 0
	.set _ZN2at6native12_GLOBAL__N_135GammaBetaBackwardCUDAKernelTemplateIN3c104HalfEfLj64ELj8ELj64ELb0ELb1ELb0EEEvllPKT_S7_PKT0_SA_PS5_SB_.has_dyn_sized_stack, 0
	.set _ZN2at6native12_GLOBAL__N_135GammaBetaBackwardCUDAKernelTemplateIN3c104HalfEfLj64ELj8ELj64ELb0ELb1ELb0EEEvllPKT_S7_PKT0_SA_PS5_SB_.has_recursion, 0
	.set _ZN2at6native12_GLOBAL__N_135GammaBetaBackwardCUDAKernelTemplateIN3c104HalfEfLj64ELj8ELj64ELb0ELb1ELb0EEEvllPKT_S7_PKT0_SA_PS5_SB_.has_indirect_call, 0
	.section	.AMDGPU.csdata,"",@progbits
; Kernel info:
; codeLenInByte = 3500
; TotalNumSgprs: 36
; NumVgprs: 34
; ScratchSize: 0
; MemoryBound: 0
; FloatMode: 240
; IeeeMode: 1
; LDSByteSize: 0 bytes/workgroup (compile time only)
; SGPRBlocks: 4
; VGPRBlocks: 8
; NumSGPRsForWavesPerEU: 36
; NumVGPRsForWavesPerEU: 34
; Occupancy: 7
; WaveLimiterHint : 0
; COMPUTE_PGM_RSRC2:SCRATCH_EN: 0
; COMPUTE_PGM_RSRC2:USER_SGPR: 6
; COMPUTE_PGM_RSRC2:TRAP_HANDLER: 0
; COMPUTE_PGM_RSRC2:TGID_X_EN: 1
; COMPUTE_PGM_RSRC2:TGID_Y_EN: 1
; COMPUTE_PGM_RSRC2:TGID_Z_EN: 0
; COMPUTE_PGM_RSRC2:TIDIG_COMP_CNT: 1
	.section	.text._ZN2at6native12_GLOBAL__N_135GammaBetaBackwardCUDAKernelTemplateIN3c104HalfEfLj64ELj8ELj64ELb0ELb0ELb0EEEvllPKT_S7_PKT0_SA_PS5_SB_,"axG",@progbits,_ZN2at6native12_GLOBAL__N_135GammaBetaBackwardCUDAKernelTemplateIN3c104HalfEfLj64ELj8ELj64ELb0ELb0ELb0EEEvllPKT_S7_PKT0_SA_PS5_SB_,comdat
	.globl	_ZN2at6native12_GLOBAL__N_135GammaBetaBackwardCUDAKernelTemplateIN3c104HalfEfLj64ELj8ELj64ELb0ELb0ELb0EEEvllPKT_S7_PKT0_SA_PS5_SB_ ; -- Begin function _ZN2at6native12_GLOBAL__N_135GammaBetaBackwardCUDAKernelTemplateIN3c104HalfEfLj64ELj8ELj64ELb0ELb0ELb0EEEvllPKT_S7_PKT0_SA_PS5_SB_
	.p2align	8
	.type	_ZN2at6native12_GLOBAL__N_135GammaBetaBackwardCUDAKernelTemplateIN3c104HalfEfLj64ELj8ELj64ELb0ELb0ELb0EEEvllPKT_S7_PKT0_SA_PS5_SB_,@function
_ZN2at6native12_GLOBAL__N_135GammaBetaBackwardCUDAKernelTemplateIN3c104HalfEfLj64ELj8ELj64ELb0ELb0ELb0EEEvllPKT_S7_PKT0_SA_PS5_SB_: ; @_ZN2at6native12_GLOBAL__N_135GammaBetaBackwardCUDAKernelTemplateIN3c104HalfEfLj64ELj8ELj64ELb0ELb0ELb0EEEvllPKT_S7_PKT0_SA_PS5_SB_
; %bb.0:
	s_load_dwordx8 s[12:19], s[4:5], 0x0
	s_load_dwordx4 s[20:23], s[4:5], 0x20
	s_lshl_b32 s10, s7, 6
	s_lshl_b32 s33, s6, 6
	s_mov_b32 s11, 0
	v_mov_b32_e32 v4, s10
	s_or_b32 s0, s33, 63
	v_mov_b32_e32 v5, s11
	v_mov_b32_e32 v2, s0
	;; [unrolled: 1-line block ×3, first 2 shown]
	s_waitcnt lgkmcnt(0)
	v_cmp_gt_i64_e64 s[0:1], s[12:13], v[4:5]
	v_cmp_le_i64_e32 vcc, s[14:15], v[2:3]
	v_cndmask_b32_e64 v2, 0, 1, s[0:1]
	v_cmp_ne_u32_e64 s[0:1], 1, v2
	s_cbranch_vccz .LBB78_49
; %bb.1:
	s_and_b64 vcc, exec, s[0:1]
	v_mov_b32_e32 v54, 0
	s_cbranch_vccnz .LBB78_50
; %bb.2:
	v_lshlrev_b32_e32 v21, 3, v1
	v_add_co_u32_e32 v9, vcc, s10, v21
	v_addc_co_u32_e64 v10, s[2:3], 0, 0, vcc
	v_mul_lo_u32 v7, s15, v9
	v_mul_lo_u32 v8, s14, v10
	v_mad_u64_u32 v[5:6], s[2:3], s14, v9, 0
	v_mov_b32_e32 v2, 0
	s_load_dword s7, s[4:5], 0x44
	v_add_u32_e32 v3, s33, v0
	v_mov_b32_e32 v4, v2
	v_add3_u32 v6, v6, v8, v7
	v_cmp_gt_i64_e64 s[2:3], s[14:15], v[3:4]
	v_lshlrev_b64 v[19:20], 1, v[3:4]
	v_lshlrev_b64 v[3:4], 1, v[5:6]
	s_add_u32 s24, s4, 64
	v_mov_b32_e32 v7, s17
	v_add_co_u32_e32 v22, vcc, s16, v3
	s_addc_u32 s25, s5, 0
	s_waitcnt lgkmcnt(0)
	s_lshl_b32 s7, s7, 6
	v_addc_co_u32_e32 v23, vcc, v7, v4, vcc
	s_mul_i32 s8, s15, s7
	s_mul_hi_u32 s9, s14, s7
	v_add_co_u32_e32 v7, vcc, 7, v9
	s_add_i32 s9, s9, s8
	s_mul_i32 s8, s14, s7
	v_addc_co_u32_e32 v8, vcc, 0, v10, vcc
	s_lshl_b64 s[26:27], s[8:9], 1
	v_mul_lo_u32 v12, s15, v7
	v_mul_lo_u32 v13, s14, v8
	v_mad_u64_u32 v[7:8], s[8:9], s14, v7, 0
	v_mov_b32_e32 v11, s19
	v_add_co_u32_e32 v24, vcc, s18, v3
	v_add3_u32 v8, v8, v13, v12
	v_addc_co_u32_e32 v25, vcc, v11, v4, vcc
	v_lshlrev_b64 v[3:4], 1, v[7:8]
	v_mov_b32_e32 v7, s17
	v_add_co_u32_e32 v26, vcc, s16, v3
	v_addc_co_u32_e32 v27, vcc, v7, v4, vcc
	v_add_co_u32_e32 v7, vcc, 6, v9
	v_addc_co_u32_e32 v8, vcc, 0, v10, vcc
	v_mul_lo_u32 v12, s15, v7
	v_mul_lo_u32 v13, s14, v8
	v_mad_u64_u32 v[7:8], s[8:9], s14, v7, 0
	v_add_co_u32_e32 v28, vcc, s18, v3
	v_add3_u32 v8, v8, v13, v12
	v_addc_co_u32_e32 v29, vcc, v11, v4, vcc
	v_lshlrev_b64 v[3:4], 1, v[7:8]
	v_mov_b32_e32 v7, s17
	v_add_co_u32_e32 v30, vcc, s16, v3
	v_addc_co_u32_e32 v31, vcc, v7, v4, vcc
	v_add_co_u32_e32 v7, vcc, 5, v9
	v_addc_co_u32_e32 v8, vcc, 0, v10, vcc
	v_mul_lo_u32 v12, s15, v7
	v_mul_lo_u32 v13, s14, v8
	v_mad_u64_u32 v[7:8], s[8:9], s14, v7, 0
	;; [unrolled: 12-line block ×5, first 2 shown]
	v_add_co_u32_e32 v44, vcc, s18, v3
	v_add3_u32 v8, v8, v10, v9
	v_addc_co_u32_e32 v45, vcc, v11, v4, vcc
	v_lshlrev_b64 v[3:4], 1, v[7:8]
	v_mov_b32_e32 v7, s17
	v_add_co_u32_e32 v46, vcc, s16, v3
	v_addc_co_u32_e32 v47, vcc, v7, v4, vcc
	v_mov_b32_e32 v7, s19
	v_add_co_u32_e32 v48, vcc, s18, v3
	v_addc_co_u32_e32 v49, vcc, v7, v4, vcc
	;; [unrolled: 3-line block ×3, first 2 shown]
	v_lshlrev_b64 v[3:4], 1, v[3:4]
	v_mov_b32_e32 v5, s17
	v_add_co_u32_e32 v50, vcc, s16, v3
	v_addc_co_u32_e32 v51, vcc, v5, v4, vcc
	v_add_co_u32_e32 v52, vcc, s18, v3
	v_mbcnt_lo_u32_b32 v3, -1, 0
	v_mbcnt_hi_u32_b32 v3, -1, v3
	v_mov_b32_e32 v5, s19
	s_add_u32 s28, s10, 63
	v_lshlrev_b32_e32 v3, 2, v3
	v_addc_co_u32_e32 v53, vcc, v5, v4, vcc
	s_addc_u32 s29, 0, 0
	v_and_b32_e32 v55, 0x100, v3
	v_mov_b32_e32 v54, 0
	v_mov_b32_e32 v56, 0
	s_mov_b64 s[30:31], s[10:11]
.LBB78_3:                               ; =>This Inner Loop Header: Depth=1
	v_mov_b32_e32 v3, s12
	v_mov_b32_e32 v4, s13
	v_cmp_ge_i64_e32 vcc, s[28:29], v[3:4]
	v_mov_b32_e32 v3, s29
	v_add_co_u32_e64 v57, s[8:9], s28, v21
	v_addc_co_u32_e64 v58, s[8:9], 0, v3, s[8:9]
	s_mov_b64 s[8:9], -1
	s_and_b64 vcc, exec, vcc
                                        ; implicit-def: $vgpr3_vgpr4_vgpr5_vgpr6_vgpr7_vgpr8_vgpr9_vgpr10
                                        ; implicit-def: $vgpr59
                                        ; implicit-def: $vgpr11_vgpr12_vgpr13_vgpr14_vgpr15_vgpr16_vgpr17_vgpr18
                                        ; implicit-def: $vgpr4
                                        ; implicit-def: $vgpr3
                                        ; implicit-def: $vgpr5
	s_cbranch_vccz .LBB78_25
; %bb.4:                                ;   in Loop: Header=BB78_3 Depth=1
	s_load_dword s8, s[24:25], 0xc
	v_mov_b32_e32 v59, 0
	v_mov_b32_e32 v60, 0
	s_waitcnt lgkmcnt(0)
	s_and_b32 s8, s8, 0xffff
	v_mad_u32_u24 v3, v1, s8, v0
	v_and_b32_e32 v3, 63, v3
	v_cmp_gt_u32_e32 vcc, 8, v3
	s_and_saveexec_b64 s[8:9], vcc
	s_cbranch_execz .LBB78_8
; %bb.5:                                ;   in Loop: Header=BB78_3 Depth=1
	v_add_co_u32_e32 v3, vcc, v57, v3
	v_addc_co_u32_e32 v4, vcc, 0, v58, vcc
	v_add_co_u32_e32 v3, vcc, 0xffffffc1, v3
	v_addc_co_u32_e32 v4, vcc, -1, v4, vcc
	v_cmp_gt_i64_e32 vcc, s[12:13], v[3:4]
	v_mov_b32_e32 v60, 0
	v_mov_b32_e32 v59, 0
	s_and_saveexec_b64 s[34:35], vcc
	s_cbranch_execz .LBB78_7
; %bb.6:                                ;   in Loop: Header=BB78_3 Depth=1
	v_lshlrev_b64 v[3:4], 2, v[3:4]
	v_mov_b32_e32 v6, s23
	v_add_co_u32_e32 v5, vcc, s22, v3
	v_addc_co_u32_e32 v6, vcc, v6, v4, vcc
	v_mov_b32_e32 v7, s21
	v_add_co_u32_e32 v3, vcc, s20, v3
	v_addc_co_u32_e32 v4, vcc, v7, v4, vcc
	global_load_dword v60, v[3:4], off
	global_load_dword v59, v[5:6], off
.LBB78_7:                               ;   in Loop: Header=BB78_3 Depth=1
	s_or_b64 exec, exec, s[34:35]
.LBB78_8:                               ;   in Loop: Header=BB78_3 Depth=1
	s_or_b64 exec, exec, s[8:9]
	v_add_co_u32_e32 v3, vcc, 0xffffffc1, v57
	v_addc_co_u32_e32 v4, vcc, -1, v58, vcc
	v_mov_b32_e32 v9, v2
	v_cmp_gt_i64_e32 vcc, s[12:13], v[3:4]
	v_mov_b32_e32 v3, v2
	v_mov_b32_e32 v4, v2
	;; [unrolled: 1-line block ×15, first 2 shown]
	s_and_b64 s[34:35], s[2:3], vcc
	v_mov_b32_e32 v9, v8
	v_mov_b32_e32 v8, v7
	;; [unrolled: 1-line block ×7, first 2 shown]
	s_and_saveexec_b64 s[8:9], s[34:35]
	s_cbranch_execz .LBB78_10
; %bb.9:                                ;   in Loop: Header=BB78_3 Depth=1
	v_add_co_u32_e32 v3, vcc, v22, v19
	v_addc_co_u32_e32 v4, vcc, v23, v20, vcc
	global_load_ushort v11, v[3:4], off
	v_add_co_u32_e32 v3, vcc, v24, v19
	v_addc_co_u32_e32 v4, vcc, v25, v20, vcc
	global_load_ushort v15, v[3:4], off
	v_mov_b32_e32 v4, v2
	v_mov_b32_e32 v5, v2
	;; [unrolled: 1-line block ×13, first 2 shown]
	s_waitcnt vmcnt(1)
	v_cvt_f32_f16_e32 v3, v11
	s_waitcnt vmcnt(0)
	v_cvt_f32_f16_e32 v11, v15
	v_mov_b32_e32 v15, v2
.LBB78_10:                              ;   in Loop: Header=BB78_3 Depth=1
	s_or_b64 exec, exec, s[8:9]
	v_add_co_u32_e32 v61, vcc, 0xffffffc2, v57
	v_addc_co_u32_e32 v62, vcc, -1, v58, vcc
	v_cmp_gt_i64_e32 vcc, s[12:13], v[61:62]
	s_and_b64 s[34:35], s[2:3], vcc
	s_and_saveexec_b64 s[8:9], s[34:35]
	s_cbranch_execz .LBB78_12
; %bb.11:                               ;   in Loop: Header=BB78_3 Depth=1
	v_add_co_u32_e32 v61, vcc, v50, v19
	v_addc_co_u32_e32 v62, vcc, v51, v20, vcc
	global_load_ushort v4, v[61:62], off
	v_add_co_u32_e32 v61, vcc, v52, v19
	v_addc_co_u32_e32 v62, vcc, v53, v20, vcc
	global_load_ushort v12, v[61:62], off
	s_waitcnt vmcnt(1)
	v_cvt_f32_f16_e32 v4, v4
	s_waitcnt vmcnt(0)
	v_cvt_f32_f16_e32 v12, v12
.LBB78_12:                              ;   in Loop: Header=BB78_3 Depth=1
	s_or_b64 exec, exec, s[8:9]
	v_add_co_u32_e32 v61, vcc, 0xffffffc3, v57
	v_addc_co_u32_e32 v62, vcc, -1, v58, vcc
	v_cmp_gt_i64_e32 vcc, s[12:13], v[61:62]
	s_and_b64 s[34:35], s[2:3], vcc
	s_and_saveexec_b64 s[8:9], s[34:35]
	s_cbranch_execz .LBB78_14
; %bb.13:                               ;   in Loop: Header=BB78_3 Depth=1
	v_add_co_u32_e32 v61, vcc, v46, v19
	v_addc_co_u32_e32 v62, vcc, v47, v20, vcc
	global_load_ushort v5, v[61:62], off
	v_add_co_u32_e32 v61, vcc, v48, v19
	v_addc_co_u32_e32 v62, vcc, v49, v20, vcc
	global_load_ushort v13, v[61:62], off
	s_waitcnt vmcnt(1)
	v_cvt_f32_f16_e32 v5, v5
	s_waitcnt vmcnt(0)
	v_cvt_f32_f16_e32 v13, v13
.LBB78_14:                              ;   in Loop: Header=BB78_3 Depth=1
	;; [unrolled: 19-line block ×7, first 2 shown]
	s_or_b64 exec, exec, s[8:9]
	s_waitcnt vmcnt(1)
	ds_bpermute_b32 v61, v55, v60
	ds_bpermute_b32 v64, v55, v60 offset:4
	s_waitcnt vmcnt(0)
	ds_bpermute_b32 v62, v55, v59
	ds_bpermute_b32 v65, v55, v59 offset:4
	v_add_f32_e32 v63, v54, v3
	s_waitcnt lgkmcnt(3)
	v_sub_f32_e32 v11, v11, v61
	v_mul_f32_e32 v3, v3, v11
	s_waitcnt lgkmcnt(2)
	v_sub_f32_e32 v11, v12, v64
	ds_bpermute_b32 v12, v55, v60 offset:8
	s_waitcnt lgkmcnt(2)
	v_fma_f32 v3, v3, v62, v56
	v_mul_f32_e32 v11, v4, v11
	s_waitcnt lgkmcnt(1)
	v_fmac_f32_e32 v3, v11, v65
	ds_bpermute_b32 v11, v55, v59 offset:8
	s_waitcnt lgkmcnt(1)
	v_sub_f32_e32 v12, v13, v12
	ds_bpermute_b32 v13, v55, v60 offset:12
	v_mul_f32_e32 v12, v5, v12
	v_add_f32_e32 v4, v4, v63
	s_waitcnt lgkmcnt(1)
	v_fmac_f32_e32 v3, v12, v11
	ds_bpermute_b32 v11, v55, v59 offset:12
	v_add_f32_e32 v4, v5, v4
	s_waitcnt lgkmcnt(1)
	v_sub_f32_e32 v5, v14, v13
	ds_bpermute_b32 v12, v55, v60 offset:16
	v_mul_f32_e32 v5, v6, v5
	s_waitcnt lgkmcnt(1)
	v_fmac_f32_e32 v3, v5, v11
	ds_bpermute_b32 v5, v55, v59 offset:16
	v_add_f32_e32 v4, v6, v4
	s_waitcnt lgkmcnt(1)
	v_sub_f32_e32 v6, v15, v12
	ds_bpermute_b32 v11, v55, v60 offset:20
	v_mul_f32_e32 v6, v7, v6
	;; [unrolled: 8-line block ×3, first 2 shown]
	s_waitcnt lgkmcnt(1)
	v_fmac_f32_e32 v3, v6, v5
	ds_bpermute_b32 v6, v55, v59 offset:24
	v_add_f32_e32 v5, v8, v4
	ds_bpermute_b32 v59, v55, v59 offset:28
	ds_bpermute_b32 v4, v55, v60 offset:28
	s_waitcnt lgkmcnt(3)
	v_sub_f32_e32 v7, v17, v7
	v_mul_f32_e32 v7, v9, v7
	s_waitcnt lgkmcnt(2)
	v_fmac_f32_e32 v3, v7, v6
	v_add_f32_e32 v5, v9, v5
	s_mov_b64 s[8:9], 0
.LBB78_25:                              ;   in Loop: Header=BB78_3 Depth=1
	s_and_b64 vcc, exec, s[8:9]
	s_cbranch_vccz .LBB78_40
; %bb.26:                               ;   in Loop: Header=BB78_3 Depth=1
	s_load_dword s8, s[24:25], 0x0
	s_waitcnt lgkmcnt(0)
	v_mov_b32_e32 v59, 0
	v_mov_b32_e32 v60, 0
	s_cmp_lt_u32 s6, s8
	s_cselect_b32 s8, 12, 18
	s_add_u32 s8, s24, s8
	s_addc_u32 s9, s25, 0
	global_load_ushort v3, v2, s[8:9]
	s_waitcnt vmcnt(0)
	v_mad_u32_u24 v3, v1, v3, v0
	v_and_b32_e32 v3, 63, v3
	v_cmp_gt_u32_e32 vcc, 8, v3
	s_and_saveexec_b64 s[8:9], vcc
	s_cbranch_execz .LBB78_30
; %bb.27:                               ;   in Loop: Header=BB78_3 Depth=1
	v_add_co_u32_e32 v3, vcc, v57, v3
	v_addc_co_u32_e32 v4, vcc, 0, v58, vcc
	v_add_co_u32_e32 v3, vcc, 0xffffffc1, v3
	v_addc_co_u32_e32 v4, vcc, -1, v4, vcc
	v_cmp_gt_i64_e32 vcc, s[12:13], v[3:4]
	v_mov_b32_e32 v60, 0
	v_mov_b32_e32 v59, 0
	s_and_saveexec_b64 s[34:35], vcc
	s_cbranch_execz .LBB78_29
; %bb.28:                               ;   in Loop: Header=BB78_3 Depth=1
	v_lshlrev_b64 v[3:4], 2, v[3:4]
	v_mov_b32_e32 v6, s23
	v_add_co_u32_e32 v5, vcc, s22, v3
	v_addc_co_u32_e32 v6, vcc, v6, v4, vcc
	v_mov_b32_e32 v7, s21
	v_add_co_u32_e32 v3, vcc, s20, v3
	v_addc_co_u32_e32 v4, vcc, v7, v4, vcc
	global_load_dword v60, v[3:4], off
	global_load_dword v59, v[5:6], off
.LBB78_29:                              ;   in Loop: Header=BB78_3 Depth=1
	s_or_b64 exec, exec, s[34:35]
.LBB78_30:                              ;   in Loop: Header=BB78_3 Depth=1
	s_or_b64 exec, exec, s[8:9]
	v_mov_b32_e32 v9, v2
	v_mov_b32_e32 v3, v2
	;; [unrolled: 1-line block ×23, first 2 shown]
	s_and_saveexec_b64 s[8:9], s[2:3]
	s_cbranch_execnz .LBB78_42
; %bb.31:                               ;   in Loop: Header=BB78_3 Depth=1
	s_or_b64 exec, exec, s[8:9]
	s_and_saveexec_b64 s[8:9], s[2:3]
	s_cbranch_execnz .LBB78_43
.LBB78_32:                              ;   in Loop: Header=BB78_3 Depth=1
	s_or_b64 exec, exec, s[8:9]
	s_and_saveexec_b64 s[8:9], s[2:3]
	s_cbranch_execnz .LBB78_44
.LBB78_33:                              ;   in Loop: Header=BB78_3 Depth=1
	s_or_b64 exec, exec, s[8:9]
	s_and_saveexec_b64 s[8:9], s[2:3]
	s_cbranch_execnz .LBB78_45
.LBB78_34:                              ;   in Loop: Header=BB78_3 Depth=1
	s_or_b64 exec, exec, s[8:9]
	s_and_saveexec_b64 s[8:9], s[2:3]
	s_cbranch_execnz .LBB78_46
.LBB78_35:                              ;   in Loop: Header=BB78_3 Depth=1
	s_or_b64 exec, exec, s[8:9]
	s_and_saveexec_b64 s[8:9], s[2:3]
	s_cbranch_execnz .LBB78_47
.LBB78_36:                              ;   in Loop: Header=BB78_3 Depth=1
	s_or_b64 exec, exec, s[8:9]
	s_and_saveexec_b64 s[8:9], s[2:3]
	s_cbranch_execnz .LBB78_48
.LBB78_37:                              ;   in Loop: Header=BB78_3 Depth=1
	s_or_b64 exec, exec, s[8:9]
	s_and_saveexec_b64 s[8:9], s[2:3]
	s_cbranch_execz .LBB78_39
.LBB78_38:                              ;   in Loop: Header=BB78_3 Depth=1
	v_add_co_u32_e32 v57, vcc, v26, v19
	v_addc_co_u32_e32 v58, vcc, v27, v20, vcc
	global_load_ushort v10, v[57:58], off
	v_add_co_u32_e32 v57, vcc, v28, v19
	v_addc_co_u32_e32 v58, vcc, v29, v20, vcc
	global_load_ushort v18, v[57:58], off
	s_waitcnt vmcnt(1)
	v_cvt_f32_f16_e32 v10, v10
	s_waitcnt vmcnt(0)
	v_cvt_f32_f16_e32 v18, v18
.LBB78_39:                              ;   in Loop: Header=BB78_3 Depth=1
	s_or_b64 exec, exec, s[8:9]
	s_waitcnt vmcnt(1)
	ds_bpermute_b32 v57, v55, v60
	s_waitcnt vmcnt(0)
	ds_bpermute_b32 v58, v55, v59
	ds_bpermute_b32 v61, v55, v60 offset:4
	ds_bpermute_b32 v62, v55, v59 offset:4
	v_add_f32_e32 v54, v54, v3
	s_waitcnt lgkmcnt(3)
	v_sub_f32_e32 v11, v11, v57
	v_mul_f32_e32 v3, v3, v11
	s_waitcnt lgkmcnt(2)
	v_fmac_f32_e32 v56, v3, v58
	s_waitcnt lgkmcnt(1)
	v_sub_f32_e32 v3, v12, v61
	ds_bpermute_b32 v11, v55, v60 offset:8
	v_mul_f32_e32 v3, v4, v3
	s_waitcnt lgkmcnt(1)
	v_fmac_f32_e32 v56, v3, v62
	ds_bpermute_b32 v3, v55, v59 offset:8
	ds_bpermute_b32 v12, v55, v60 offset:12
	s_waitcnt lgkmcnt(2)
	v_sub_f32_e32 v11, v13, v11
	v_mul_f32_e32 v11, v5, v11
	v_add_f32_e32 v4, v4, v54
	s_waitcnt lgkmcnt(1)
	v_fmac_f32_e32 v56, v11, v3
	ds_bpermute_b32 v3, v55, v59 offset:12
	v_add_f32_e32 v4, v5, v4
	s_waitcnt lgkmcnt(1)
	v_sub_f32_e32 v5, v14, v12
	ds_bpermute_b32 v11, v55, v60 offset:16
	v_mul_f32_e32 v5, v6, v5
	s_waitcnt lgkmcnt(1)
	v_fmac_f32_e32 v56, v5, v3
	ds_bpermute_b32 v3, v55, v59 offset:16
	v_add_f32_e32 v4, v6, v4
	s_waitcnt lgkmcnt(1)
	v_sub_f32_e32 v5, v15, v11
	ds_bpermute_b32 v6, v55, v60 offset:20
	v_mul_f32_e32 v5, v7, v5
	;; [unrolled: 8-line block ×3, first 2 shown]
	s_waitcnt lgkmcnt(1)
	v_fmac_f32_e32 v56, v5, v3
	ds_bpermute_b32 v5, v55, v59 offset:24
	v_add_f32_e32 v3, v8, v4
	ds_bpermute_b32 v59, v55, v59 offset:28
	ds_bpermute_b32 v4, v55, v60 offset:28
	s_waitcnt lgkmcnt(3)
	v_sub_f32_e32 v6, v17, v6
	v_mul_f32_e32 v6, v9, v6
	s_waitcnt lgkmcnt(2)
	v_fmac_f32_e32 v56, v6, v5
	v_add_f32_e32 v5, v9, v3
	v_mov_b32_e32 v3, v56
.LBB78_40:                              ;   in Loop: Header=BB78_3 Depth=1
	s_waitcnt lgkmcnt(0)
	v_sub_f32_e32 v4, v18, v4
	v_mul_f32_e32 v4, v10, v4
	v_fmac_f32_e32 v3, v4, v59
	v_mov_b32_e32 v4, s27
	v_add_co_u32_e32 v22, vcc, s26, v22
	v_addc_co_u32_e32 v23, vcc, v23, v4, vcc
	v_add_co_u32_e32 v24, vcc, s26, v24
	v_addc_co_u32_e32 v25, vcc, v25, v4, vcc
	;; [unrolled: 2-line block ×15, first 2 shown]
	v_add_co_u32_e32 v52, vcc, s26, v52
	v_add_f32_e32 v54, v5, v10
	s_add_u32 s30, s30, s7
	v_addc_co_u32_e32 v53, vcc, v53, v4, vcc
	v_mov_b32_e32 v4, s12
	s_addc_u32 s31, s31, 0
	v_mov_b32_e32 v5, s13
	v_cmp_lt_i64_e32 vcc, s[30:31], v[4:5]
	s_add_u32 s28, s28, s7
	s_addc_u32 s29, s29, 0
	s_cbranch_vccz .LBB78_50
; %bb.41:                               ;   in Loop: Header=BB78_3 Depth=1
	v_mov_b32_e32 v56, v3
	s_branch .LBB78_3
.LBB78_42:                              ;   in Loop: Header=BB78_3 Depth=1
	v_add_co_u32_e32 v3, vcc, v22, v19
	v_addc_co_u32_e32 v4, vcc, v23, v20, vcc
	global_load_ushort v11, v[3:4], off
	v_add_co_u32_e32 v3, vcc, v24, v19
	v_addc_co_u32_e32 v4, vcc, v25, v20, vcc
	global_load_ushort v15, v[3:4], off
	v_mov_b32_e32 v4, v2
	v_mov_b32_e32 v5, v2
	;; [unrolled: 1-line block ×13, first 2 shown]
	s_waitcnt vmcnt(1)
	v_cvt_f32_f16_e32 v3, v11
	s_waitcnt vmcnt(0)
	v_cvt_f32_f16_e32 v11, v15
	v_mov_b32_e32 v15, v2
	s_or_b64 exec, exec, s[8:9]
	s_and_saveexec_b64 s[8:9], s[2:3]
	s_cbranch_execz .LBB78_32
.LBB78_43:                              ;   in Loop: Header=BB78_3 Depth=1
	v_add_co_u32_e32 v57, vcc, v50, v19
	v_addc_co_u32_e32 v58, vcc, v51, v20, vcc
	global_load_ushort v4, v[57:58], off
	v_add_co_u32_e32 v57, vcc, v52, v19
	v_addc_co_u32_e32 v58, vcc, v53, v20, vcc
	global_load_ushort v12, v[57:58], off
	s_waitcnt vmcnt(1)
	v_cvt_f32_f16_e32 v4, v4
	s_waitcnt vmcnt(0)
	v_cvt_f32_f16_e32 v12, v12
	s_or_b64 exec, exec, s[8:9]
	s_and_saveexec_b64 s[8:9], s[2:3]
	s_cbranch_execz .LBB78_33
.LBB78_44:                              ;   in Loop: Header=BB78_3 Depth=1
	v_add_co_u32_e32 v57, vcc, v46, v19
	v_addc_co_u32_e32 v58, vcc, v47, v20, vcc
	global_load_ushort v5, v[57:58], off
	v_add_co_u32_e32 v57, vcc, v48, v19
	v_addc_co_u32_e32 v58, vcc, v49, v20, vcc
	global_load_ushort v13, v[57:58], off
	s_waitcnt vmcnt(1)
	v_cvt_f32_f16_e32 v5, v5
	s_waitcnt vmcnt(0)
	v_cvt_f32_f16_e32 v13, v13
	s_or_b64 exec, exec, s[8:9]
	s_and_saveexec_b64 s[8:9], s[2:3]
	s_cbranch_execz .LBB78_34
.LBB78_45:                              ;   in Loop: Header=BB78_3 Depth=1
	v_add_co_u32_e32 v57, vcc, v42, v19
	v_addc_co_u32_e32 v58, vcc, v43, v20, vcc
	global_load_ushort v6, v[57:58], off
	v_add_co_u32_e32 v57, vcc, v44, v19
	v_addc_co_u32_e32 v58, vcc, v45, v20, vcc
	global_load_ushort v14, v[57:58], off
	s_waitcnt vmcnt(1)
	v_cvt_f32_f16_e32 v6, v6
	s_waitcnt vmcnt(0)
	v_cvt_f32_f16_e32 v14, v14
	s_or_b64 exec, exec, s[8:9]
	s_and_saveexec_b64 s[8:9], s[2:3]
	s_cbranch_execz .LBB78_35
.LBB78_46:                              ;   in Loop: Header=BB78_3 Depth=1
	v_add_co_u32_e32 v57, vcc, v38, v19
	v_addc_co_u32_e32 v58, vcc, v39, v20, vcc
	global_load_ushort v7, v[57:58], off
	v_add_co_u32_e32 v57, vcc, v40, v19
	v_addc_co_u32_e32 v58, vcc, v41, v20, vcc
	global_load_ushort v15, v[57:58], off
	s_waitcnt vmcnt(1)
	v_cvt_f32_f16_e32 v7, v7
	s_waitcnt vmcnt(0)
	v_cvt_f32_f16_e32 v15, v15
	s_or_b64 exec, exec, s[8:9]
	s_and_saveexec_b64 s[8:9], s[2:3]
	s_cbranch_execz .LBB78_36
.LBB78_47:                              ;   in Loop: Header=BB78_3 Depth=1
	v_add_co_u32_e32 v57, vcc, v34, v19
	v_addc_co_u32_e32 v58, vcc, v35, v20, vcc
	global_load_ushort v8, v[57:58], off
	v_add_co_u32_e32 v57, vcc, v36, v19
	v_addc_co_u32_e32 v58, vcc, v37, v20, vcc
	global_load_ushort v16, v[57:58], off
	s_waitcnt vmcnt(1)
	v_cvt_f32_f16_e32 v8, v8
	s_waitcnt vmcnt(0)
	v_cvt_f32_f16_e32 v16, v16
	s_or_b64 exec, exec, s[8:9]
	s_and_saveexec_b64 s[8:9], s[2:3]
	s_cbranch_execz .LBB78_37
.LBB78_48:                              ;   in Loop: Header=BB78_3 Depth=1
	v_add_co_u32_e32 v57, vcc, v30, v19
	v_addc_co_u32_e32 v58, vcc, v31, v20, vcc
	global_load_ushort v9, v[57:58], off
	v_add_co_u32_e32 v57, vcc, v32, v19
	v_addc_co_u32_e32 v58, vcc, v33, v20, vcc
	global_load_ushort v17, v[57:58], off
	s_waitcnt vmcnt(1)
	v_cvt_f32_f16_e32 v9, v9
	s_waitcnt vmcnt(0)
	v_cvt_f32_f16_e32 v17, v17
	s_or_b64 exec, exec, s[8:9]
	s_and_saveexec_b64 s[8:9], s[2:3]
	s_cbranch_execnz .LBB78_38
	s_branch .LBB78_39
.LBB78_49:
                                        ; implicit-def: $vgpr3
                                        ; implicit-def: $vgpr54
	s_branch .LBB78_51
.LBB78_50:
	s_cbranch_execnz .LBB78_83
.LBB78_51:
	v_mov_b32_e32 v3, 0
	s_and_b64 vcc, exec, s[0:1]
	v_mov_b32_e32 v54, 0
	s_cbranch_vccnz .LBB78_83
; %bb.52:
	v_lshlrev_b32_e32 v49, 3, v1
	v_add_co_u32_e32 v6, vcc, s10, v49
	v_addc_co_u32_e64 v7, s[0:1], 0, 0, vcc
	s_load_dword s7, s[4:5], 0x44
	v_mul_lo_u32 v2, s15, v6
	v_mul_lo_u32 v3, s14, v7
	v_mad_u64_u32 v[4:5], s[0:1], s14, v6, 0
	s_add_u32 s2, s4, 64
	s_addc_u32 s3, s5, 0
	v_add3_u32 v5, v5, v3, v2
	s_waitcnt lgkmcnt(0)
	s_lshl_b32 s7, s7, 6
	v_lshlrev_b64 v[2:3], 1, v[4:5]
	s_mul_i32 s0, s15, s7
	s_mul_hi_u32 s1, s14, s7
	v_mov_b32_e32 v8, s17
	v_add_co_u32_e32 v50, vcc, s16, v2
	s_add_i32 s1, s1, s0
	s_mul_i32 s0, s14, s7
	v_addc_co_u32_e32 v51, vcc, v8, v3, vcc
	s_lshl_b64 s[8:9], s[0:1], 1
	v_mov_b32_e32 v8, s19
	v_add_co_u32_e32 v52, vcc, s18, v2
	s_add_u32 s24, s10, 63
	v_addc_co_u32_e32 v53, vcc, v8, v3, vcc
	s_addc_u32 s25, 0, 0
	v_lshlrev_b32_e32 v2, 4, v1
	s_lshl_b64 s[0:1], s[10:11], 1
	v_mov_b32_e32 v3, s1
	v_add_co_u32_e32 v8, vcc, s0, v2
	v_addc_co_u32_e32 v9, vcc, 0, v3, vcc
	v_add_co_u32_e32 v12, vcc, 2, v8
	v_addc_co_u32_e32 v10, vcc, 0, v9, vcc
	v_mov_b32_e32 v2, s16
	v_mul_lo_u32 v14, s14, v10
	v_mov_b32_e32 v10, s18
	v_mov_b32_e32 v3, s17
	;; [unrolled: 1-line block ×3, first 2 shown]
	v_mad_u64_u32 v[19:20], s[0:1], s14, v12, v[2:3]
	v_mul_lo_u32 v15, s15, v12
	v_mad_u64_u32 v[21:22], s[0:1], s14, v12, v[10:11]
	v_add_co_u32_e32 v12, vcc, 4, v8
	v_addc_co_u32_e32 v16, vcc, 0, v9, vcc
	v_mov_b32_e32 v13, s15
	v_add_co_u32_e32 v4, vcc, s14, v4
	v_addc_co_u32_e32 v5, vcc, v5, v13, vcc
	v_mul_lo_u32 v17, s15, v12
	v_mad_u64_u32 v[23:24], s[0:1], s14, v12, v[2:3]
	v_mad_u64_u32 v[25:26], s[0:1], s14, v12, v[10:11]
	v_add_co_u32_e32 v12, vcc, 6, v8
	v_addc_co_u32_e32 v13, vcc, 0, v9, vcc
	v_add3_u32 v20, v15, v20, v14
	v_add3_u32 v22, v15, v22, v14
	v_mul_lo_u32 v13, s14, v13
	v_mul_lo_u32 v14, s15, v12
	v_mad_u64_u32 v[27:28], s[0:1], s14, v12, v[2:3]
	v_mad_u64_u32 v[29:30], s[0:1], s14, v12, v[10:11]
	v_add_co_u32_e32 v12, vcc, 8, v8
	v_mul_lo_u32 v16, s14, v16
	v_addc_co_u32_e32 v15, vcc, 0, v9, vcc
	v_mul_lo_u32 v18, s15, v12
	v_mad_u64_u32 v[31:32], s[0:1], s14, v12, v[2:3]
	v_mad_u64_u32 v[33:34], s[0:1], s14, v12, v[10:11]
	v_add_co_u32_e32 v12, vcc, 10, v8
	v_add3_u32 v28, v14, v28, v13
	v_add3_u32 v30, v14, v30, v13
	v_addc_co_u32_e32 v13, vcc, 0, v9, vcc
	v_mul_lo_u32 v14, s15, v12
	v_mad_u64_u32 v[35:36], s[0:1], s14, v12, v[2:3]
	v_mad_u64_u32 v[37:38], s[0:1], s14, v12, v[10:11]
	v_add_co_u32_e32 v12, vcc, 12, v8
	v_add3_u32 v24, v17, v24, v16
	v_add3_u32 v26, v17, v26, v16
	v_addc_co_u32_e32 v16, vcc, 0, v9, vcc
	v_add_co_u32_e32 v8, vcc, 14, v8
	v_addc_co_u32_e32 v9, vcc, 0, v9, vcc
	v_mad_u64_u32 v[39:40], s[0:1], s14, v12, v[2:3]
	v_mad_u64_u32 v[43:44], s[0:1], s14, v8, v[2:3]
	v_add_co_u32_e32 v2, vcc, 7, v6
	v_addc_co_u32_e32 v3, vcc, 0, v7, vcc
	v_mad_u64_u32 v[41:42], s[0:1], s14, v12, v[10:11]
	v_mad_u64_u32 v[45:46], s[0:1], s14, v8, v[10:11]
	v_mul_lo_u32 v10, s14, v3
	v_mul_lo_u32 v11, s15, v2
	v_mad_u64_u32 v[2:3], s[0:1], s14, v2, 0
	v_mul_lo_u32 v9, s14, v9
	v_mul_lo_u32 v8, s15, v8
	v_add3_u32 v3, v3, v10, v11
	v_lshlrev_b64 v[2:3], 1, v[2:3]
	v_mul_lo_u32 v17, s15, v12
	v_add3_u32 v44, v8, v44, v9
	v_add3_u32 v46, v8, v46, v9
	v_mov_b32_e32 v8, s17
	v_add_co_u32_e32 v55, vcc, s16, v2
	v_addc_co_u32_e32 v56, vcc, v8, v3, vcc
	v_add_co_u32_e32 v8, vcc, 6, v6
	v_addc_co_u32_e32 v9, vcc, 0, v7, vcc
	v_mul_lo_u32 v11, s14, v9
	v_mul_lo_u32 v12, s15, v8
	v_mad_u64_u32 v[8:9], s[0:1], s14, v8, 0
	v_mov_b32_e32 v10, s19
	v_add_co_u32_e32 v57, vcc, s18, v2
	v_add3_u32 v9, v9, v11, v12
	v_addc_co_u32_e32 v58, vcc, v10, v3, vcc
	v_lshlrev_b64 v[2:3], 1, v[8:9]
	v_mov_b32_e32 v8, s17
	v_add_co_u32_e32 v59, vcc, s16, v2
	v_addc_co_u32_e32 v60, vcc, v8, v3, vcc
	v_add_co_u32_e32 v8, vcc, 5, v6
	v_addc_co_u32_e32 v9, vcc, 0, v7, vcc
	v_mul_lo_u32 v11, s14, v9
	v_mul_lo_u32 v12, s15, v8
	v_mad_u64_u32 v[8:9], s[0:1], s14, v8, 0
	v_add_co_u32_e32 v61, vcc, s18, v2
	v_add3_u32 v9, v9, v11, v12
	v_addc_co_u32_e32 v62, vcc, v10, v3, vcc
	v_lshlrev_b64 v[2:3], 1, v[8:9]
	v_mov_b32_e32 v8, s17
	v_add_co_u32_e32 v63, vcc, s16, v2
	v_addc_co_u32_e32 v64, vcc, v8, v3, vcc
	v_add_co_u32_e32 v8, vcc, 4, v6
	v_addc_co_u32_e32 v9, vcc, 0, v7, vcc
	v_mul_lo_u32 v11, s14, v9
	v_mul_lo_u32 v12, s15, v8
	v_mad_u64_u32 v[8:9], s[0:1], s14, v8, 0
	;; [unrolled: 12-line block ×4, first 2 shown]
	v_mov_b32_e32 v8, s19
	v_add_co_u32_e32 v73, vcc, s18, v2
	v_add3_u32 v7, v7, v9, v10
	v_addc_co_u32_e32 v74, vcc, v8, v3, vcc
	v_lshlrev_b64 v[2:3], 1, v[6:7]
	v_mov_b32_e32 v6, s17
	v_add_co_u32_e32 v75, vcc, s16, v2
	v_addc_co_u32_e32 v76, vcc, v6, v3, vcc
	v_mov_b32_e32 v6, s19
	v_add_co_u32_e32 v77, vcc, s18, v2
	v_addc_co_u32_e32 v78, vcc, v6, v3, vcc
	v_lshlrev_b64 v[2:3], 1, v[4:5]
	v_mov_b32_e32 v4, s17
	v_add_co_u32_e32 v79, vcc, s16, v2
	v_addc_co_u32_e32 v80, vcc, v4, v3, vcc
	v_mov_b32_e32 v4, s19
	v_add_co_u32_e32 v81, vcc, s18, v2
	v_mov_b32_e32 v2, 0
	v_mul_lo_u32 v15, s14, v15
	v_mul_lo_u32 v13, s14, v13
	v_mul_lo_u32 v16, s14, v16
	v_addc_co_u32_e32 v82, vcc, v4, v3, vcc
	v_add_u32_e32 v3, s33, v0
	v_mov_b32_e32 v4, v2
	v_lshlrev_b64 v[47:48], 1, v[3:4]
	v_mbcnt_lo_u32_b32 v3, -1, 0
	v_mbcnt_hi_u32_b32 v3, -1, v3
	v_lshlrev_b32_e32 v3, 2, v3
	v_add3_u32 v32, v18, v32, v15
	v_add3_u32 v34, v18, v34, v15
	;; [unrolled: 1-line block ×6, first 2 shown]
	v_and_b32_e32 v83, 0x100, v3
	v_mov_b32_e32 v85, 0
	v_mov_b32_e32 v84, 0
.LBB78_53:                              ; =>This Inner Loop Header: Depth=1
	v_mov_b32_e32 v3, s12
	v_mov_b32_e32 v4, s13
	v_cmp_ge_i64_e32 vcc, s[24:25], v[3:4]
	v_mov_b32_e32 v3, s25
	v_add_co_u32_e64 v86, s[0:1], s24, v49
	v_addc_co_u32_e64 v87, s[0:1], 0, v3, s[0:1]
	s_mov_b64 s[0:1], -1
                                        ; implicit-def: $vgpr54
                                        ; implicit-def: $vgpr3
	s_cbranch_vccz .LBB78_75
; %bb.54:                               ;   in Loop: Header=BB78_53 Depth=1
	s_load_dword s0, s[2:3], 0xc
	v_mov_b32_e32 v54, 0
	v_mov_b32_e32 v88, 0
	s_waitcnt lgkmcnt(0)
	s_and_b32 s0, s0, 0xffff
	v_mad_u32_u24 v3, v1, s0, v0
	v_and_b32_e32 v3, 63, v3
	v_cmp_gt_u32_e32 vcc, 8, v3
	s_and_saveexec_b64 s[0:1], vcc
	s_cbranch_execz .LBB78_58
; %bb.55:                               ;   in Loop: Header=BB78_53 Depth=1
	v_add_co_u32_e32 v3, vcc, v86, v3
	v_addc_co_u32_e32 v4, vcc, 0, v87, vcc
	v_add_co_u32_e32 v3, vcc, 0xffffffc1, v3
	v_addc_co_u32_e32 v4, vcc, -1, v4, vcc
	v_cmp_gt_i64_e32 vcc, s[12:13], v[3:4]
	v_mov_b32_e32 v88, 0
	v_mov_b32_e32 v54, 0
	s_and_saveexec_b64 s[16:17], vcc
	s_cbranch_execz .LBB78_57
; %bb.56:                               ;   in Loop: Header=BB78_53 Depth=1
	v_lshlrev_b64 v[3:4], 2, v[3:4]
	v_mov_b32_e32 v6, s23
	v_add_co_u32_e32 v5, vcc, s22, v3
	v_addc_co_u32_e32 v6, vcc, v6, v4, vcc
	v_mov_b32_e32 v7, s21
	v_add_co_u32_e32 v3, vcc, s20, v3
	v_addc_co_u32_e32 v4, vcc, v7, v4, vcc
	global_load_dword v88, v[3:4], off
	global_load_dword v54, v[5:6], off
.LBB78_57:                              ;   in Loop: Header=BB78_53 Depth=1
	s_or_b64 exec, exec, s[16:17]
.LBB78_58:                              ;   in Loop: Header=BB78_53 Depth=1
	s_or_b64 exec, exec, s[0:1]
	v_add_co_u32_e32 v3, vcc, 0xffffffc1, v86
	v_addc_co_u32_e32 v4, vcc, -1, v87, vcc
	v_mov_b32_e32 v9, v2
	v_cmp_gt_i64_e32 vcc, s[12:13], v[3:4]
	v_mov_b32_e32 v3, v2
	v_mov_b32_e32 v4, v2
	;; [unrolled: 1-line block ×22, first 2 shown]
	s_and_saveexec_b64 s[0:1], vcc
	s_cbranch_execz .LBB78_60
; %bb.59:                               ;   in Loop: Header=BB78_53 Depth=1
	v_add_co_u32_e32 v3, vcc, v50, v47
	v_addc_co_u32_e32 v4, vcc, v51, v48, vcc
	global_load_ushort v11, v[3:4], off
	v_add_co_u32_e32 v3, vcc, v52, v47
	v_addc_co_u32_e32 v4, vcc, v53, v48, vcc
	global_load_ushort v15, v[3:4], off
	v_mov_b32_e32 v4, v2
	v_mov_b32_e32 v5, v2
	;; [unrolled: 1-line block ×13, first 2 shown]
	s_waitcnt vmcnt(1)
	v_cvt_f32_f16_e32 v3, v11
	s_waitcnt vmcnt(0)
	v_cvt_f32_f16_e32 v11, v15
	v_mov_b32_e32 v15, v2
.LBB78_60:                              ;   in Loop: Header=BB78_53 Depth=1
	s_or_b64 exec, exec, s[0:1]
	v_add_co_u32_e32 v89, vcc, 0xffffffc2, v86
	v_addc_co_u32_e32 v90, vcc, -1, v87, vcc
	v_cmp_gt_i64_e32 vcc, s[12:13], v[89:90]
	s_and_saveexec_b64 s[0:1], vcc
	s_cbranch_execz .LBB78_62
; %bb.61:                               ;   in Loop: Header=BB78_53 Depth=1
	v_add_co_u32_e32 v89, vcc, v79, v47
	v_addc_co_u32_e32 v90, vcc, v80, v48, vcc
	global_load_ushort v4, v[89:90], off
	v_add_co_u32_e32 v89, vcc, v81, v47
	v_addc_co_u32_e32 v90, vcc, v82, v48, vcc
	global_load_ushort v12, v[89:90], off
	s_waitcnt vmcnt(1)
	v_cvt_f32_f16_e32 v4, v4
	s_waitcnt vmcnt(0)
	v_cvt_f32_f16_e32 v12, v12
.LBB78_62:                              ;   in Loop: Header=BB78_53 Depth=1
	s_or_b64 exec, exec, s[0:1]
	v_add_co_u32_e32 v89, vcc, 0xffffffc3, v86
	v_addc_co_u32_e32 v90, vcc, -1, v87, vcc
	v_cmp_gt_i64_e32 vcc, s[12:13], v[89:90]
	s_and_saveexec_b64 s[0:1], vcc
	s_cbranch_execz .LBB78_64
; %bb.63:                               ;   in Loop: Header=BB78_53 Depth=1
	v_add_co_u32_e32 v89, vcc, v75, v47
	v_addc_co_u32_e32 v90, vcc, v76, v48, vcc
	global_load_ushort v5, v[89:90], off
	v_add_co_u32_e32 v89, vcc, v77, v47
	v_addc_co_u32_e32 v90, vcc, v78, v48, vcc
	global_load_ushort v13, v[89:90], off
	s_waitcnt vmcnt(1)
	v_cvt_f32_f16_e32 v5, v5
	s_waitcnt vmcnt(0)
	v_cvt_f32_f16_e32 v13, v13
.LBB78_64:                              ;   in Loop: Header=BB78_53 Depth=1
	;; [unrolled: 18-line block ×7, first 2 shown]
	s_or_b64 exec, exec, s[0:1]
	s_waitcnt vmcnt(1)
	ds_bpermute_b32 v89, v83, v88
	ds_bpermute_b32 v92, v83, v88 offset:4
	s_waitcnt vmcnt(0)
	ds_bpermute_b32 v90, v83, v54
	ds_bpermute_b32 v93, v83, v54 offset:4
	v_add_f32_e32 v91, v85, v3
	s_waitcnt lgkmcnt(3)
	v_sub_f32_e32 v11, v11, v89
	v_mul_f32_e32 v3, v3, v11
	s_waitcnt lgkmcnt(2)
	v_sub_f32_e32 v11, v12, v92
	ds_bpermute_b32 v12, v83, v88 offset:8
	s_waitcnt lgkmcnt(2)
	v_fma_f32 v3, v3, v90, v84
	v_mul_f32_e32 v11, v4, v11
	s_waitcnt lgkmcnt(1)
	v_fmac_f32_e32 v3, v11, v93
	ds_bpermute_b32 v11, v83, v54 offset:8
	s_waitcnt lgkmcnt(1)
	v_sub_f32_e32 v12, v13, v12
	ds_bpermute_b32 v13, v83, v88 offset:12
	v_mul_f32_e32 v12, v5, v12
	v_add_f32_e32 v4, v4, v91
	s_waitcnt lgkmcnt(1)
	v_fmac_f32_e32 v3, v12, v11
	ds_bpermute_b32 v11, v83, v54 offset:12
	v_add_f32_e32 v4, v5, v4
	s_waitcnt lgkmcnt(1)
	v_sub_f32_e32 v5, v14, v13
	ds_bpermute_b32 v12, v83, v88 offset:16
	v_mul_f32_e32 v5, v6, v5
	s_waitcnt lgkmcnt(1)
	v_fmac_f32_e32 v3, v5, v11
	ds_bpermute_b32 v5, v83, v54 offset:16
	v_add_f32_e32 v4, v6, v4
	s_waitcnt lgkmcnt(1)
	v_sub_f32_e32 v6, v15, v12
	ds_bpermute_b32 v11, v83, v88 offset:20
	v_mul_f32_e32 v6, v7, v6
	s_waitcnt lgkmcnt(1)
	v_fmac_f32_e32 v3, v6, v5
	ds_bpermute_b32 v5, v83, v54 offset:20
	v_add_f32_e32 v4, v7, v4
	ds_bpermute_b32 v7, v83, v88 offset:24
	s_waitcnt lgkmcnt(2)
	v_sub_f32_e32 v6, v16, v11
	v_mul_f32_e32 v6, v8, v6
	s_waitcnt lgkmcnt(1)
	v_fmac_f32_e32 v3, v6, v5
	ds_bpermute_b32 v5, v83, v54 offset:24
	s_waitcnt lgkmcnt(1)
	v_sub_f32_e32 v6, v17, v7
	ds_bpermute_b32 v7, v83, v88 offset:28
	v_add_f32_e32 v4, v8, v4
	ds_bpermute_b32 v8, v83, v54 offset:28
	v_mul_f32_e32 v6, v9, v6
	s_waitcnt lgkmcnt(2)
	v_fmac_f32_e32 v3, v6, v5
	s_waitcnt lgkmcnt(1)
	v_sub_f32_e32 v5, v18, v7
	v_add_f32_e32 v4, v9, v4
	v_mul_f32_e32 v5, v10, v5
	s_waitcnt lgkmcnt(0)
	v_fmac_f32_e32 v3, v5, v8
	v_add_f32_e32 v54, v10, v4
	s_mov_b64 s[0:1], 0
.LBB78_75:                              ;   in Loop: Header=BB78_53 Depth=1
	s_and_b64 vcc, exec, s[0:1]
	s_cbranch_vccz .LBB78_81
; %bb.76:                               ;   in Loop: Header=BB78_53 Depth=1
	s_load_dword s0, s[2:3], 0x0
	v_mov_b32_e32 v5, 0
	v_mov_b32_e32 v6, 0
	s_waitcnt lgkmcnt(0)
	s_cmp_lt_u32 s6, s0
	s_cselect_b32 s0, 12, 18
	s_add_u32 s0, s2, s0
	s_addc_u32 s1, s3, 0
	global_load_ushort v3, v2, s[0:1]
	s_waitcnt vmcnt(0)
	v_mad_u32_u24 v3, v1, v3, v0
	v_and_b32_e32 v3, 63, v3
	v_cmp_gt_u32_e32 vcc, 8, v3
	s_and_saveexec_b64 s[0:1], vcc
	s_cbranch_execz .LBB78_80
; %bb.77:                               ;   in Loop: Header=BB78_53 Depth=1
	v_add_co_u32_e32 v3, vcc, v86, v3
	v_addc_co_u32_e32 v4, vcc, 0, v87, vcc
	v_add_co_u32_e32 v3, vcc, 0xffffffc1, v3
	v_addc_co_u32_e32 v4, vcc, -1, v4, vcc
	v_cmp_gt_i64_e32 vcc, s[12:13], v[3:4]
	v_mov_b32_e32 v6, 0
	v_mov_b32_e32 v5, 0
	s_and_saveexec_b64 s[16:17], vcc
	s_cbranch_execz .LBB78_79
; %bb.78:                               ;   in Loop: Header=BB78_53 Depth=1
	v_lshlrev_b64 v[3:4], 2, v[3:4]
	v_mov_b32_e32 v5, s23
	v_add_co_u32_e32 v7, vcc, s22, v3
	v_addc_co_u32_e32 v8, vcc, v5, v4, vcc
	v_mov_b32_e32 v5, s21
	v_add_co_u32_e32 v3, vcc, s20, v3
	v_addc_co_u32_e32 v4, vcc, v5, v4, vcc
	global_load_dword v6, v[3:4], off
	global_load_dword v5, v[7:8], off
.LBB78_79:                              ;   in Loop: Header=BB78_53 Depth=1
	s_or_b64 exec, exec, s[16:17]
.LBB78_80:                              ;   in Loop: Header=BB78_53 Depth=1
	s_or_b64 exec, exec, s[0:1]
	v_add_co_u32_e32 v3, vcc, v50, v47
	v_addc_co_u32_e32 v4, vcc, v51, v48, vcc
	global_load_ushort v7, v[3:4], off
	v_add_co_u32_e32 v3, vcc, v52, v47
	v_addc_co_u32_e32 v4, vcc, v53, v48, vcc
	global_load_ushort v8, v[3:4], off
	;; [unrolled: 3-line block ×16, first 2 shown]
	s_waitcnt vmcnt(16)
	ds_bpermute_b32 v88, v83, v5
	s_waitcnt vmcnt(15)
	v_cvt_f32_f16_e32 v4, v7
	s_waitcnt vmcnt(14)
	v_cvt_f32_f16_e32 v7, v8
	;; [unrolled: 2-line block ×13, first 2 shown]
	ds_bpermute_b32 v54, v83, v6
	s_waitcnt vmcnt(2)
	v_cvt_f32_f16_e32 v86, v86
	s_waitcnt lgkmcnt(0)
	v_sub_f32_e32 v7, v7, v54
	ds_bpermute_b32 v54, v83, v6 offset:4
	v_mul_f32_e32 v7, v7, v4
	v_fmac_f32_e32 v84, v7, v88
	ds_bpermute_b32 v7, v83, v5 offset:4
	v_add_f32_e32 v4, v85, v4
	s_waitcnt lgkmcnt(1)
	v_sub_f32_e32 v9, v9, v54
	ds_bpermute_b32 v54, v83, v6 offset:8
	v_mul_f32_e32 v9, v9, v8
	s_waitcnt lgkmcnt(1)
	v_fmac_f32_e32 v84, v9, v7
	ds_bpermute_b32 v7, v83, v5 offset:8
	v_add_f32_e32 v4, v4, v8
	s_waitcnt lgkmcnt(1)
	v_sub_f32_e32 v8, v11, v54
	ds_bpermute_b32 v9, v83, v6 offset:12
	v_mul_f32_e32 v8, v8, v10
	s_waitcnt lgkmcnt(1)
	v_fmac_f32_e32 v84, v8, v7
	ds_bpermute_b32 v7, v83, v5 offset:12
	s_waitcnt vmcnt(0)
	v_cvt_f32_f16_e32 v3, v3
	s_waitcnt lgkmcnt(1)
	v_sub_f32_e32 v8, v13, v9
	ds_bpermute_b32 v9, v83, v6 offset:16
	v_mul_f32_e32 v8, v8, v12
	s_waitcnt lgkmcnt(1)
	v_fmac_f32_e32 v84, v8, v7
	ds_bpermute_b32 v7, v83, v5 offset:16
	v_cvt_f32_f16_e32 v87, v87
	s_waitcnt lgkmcnt(1)
	v_sub_f32_e32 v8, v15, v9
	ds_bpermute_b32 v9, v83, v6 offset:20
	v_mul_f32_e32 v8, v8, v14
	s_waitcnt lgkmcnt(1)
	v_fmac_f32_e32 v84, v8, v7
	ds_bpermute_b32 v7, v83, v5 offset:20
	v_add_f32_e32 v4, v4, v10
	s_waitcnt lgkmcnt(1)
	v_sub_f32_e32 v8, v17, v9
	ds_bpermute_b32 v9, v83, v6 offset:24
	v_mul_f32_e32 v8, v8, v16
	ds_bpermute_b32 v6, v83, v6 offset:28
	s_waitcnt lgkmcnt(2)
	v_fmac_f32_e32 v84, v8, v7
	ds_bpermute_b32 v7, v83, v5 offset:24
	ds_bpermute_b32 v5, v83, v5 offset:28
	v_add_f32_e32 v4, v4, v12
	s_waitcnt lgkmcnt(3)
	v_sub_f32_e32 v8, v86, v9
	v_add_f32_e32 v4, v4, v14
	v_mul_f32_e32 v8, v8, v18
	s_waitcnt lgkmcnt(2)
	v_sub_f32_e32 v3, v3, v6
	v_add_f32_e32 v4, v4, v16
	s_waitcnt lgkmcnt(1)
	v_fmac_f32_e32 v84, v8, v7
	v_mul_f32_e32 v3, v3, v87
	v_add_f32_e32 v4, v4, v18
	s_waitcnt lgkmcnt(0)
	v_fmac_f32_e32 v84, v3, v5
	v_add_f32_e32 v54, v4, v87
	v_mov_b32_e32 v3, v84
.LBB78_81:                              ;   in Loop: Header=BB78_53 Depth=1
	v_mov_b32_e32 v6, s9
	v_add_co_u32_e32 v50, vcc, s8, v50
	v_addc_co_u32_e32 v51, vcc, v51, v6, vcc
	v_add_co_u32_e32 v52, vcc, s8, v52
	v_addc_co_u32_e32 v53, vcc, v53, v6, vcc
	;; [unrolled: 2-line block ×28, first 2 shown]
	s_add_u32 s10, s10, s7
	v_add_co_u32_e32 v79, vcc, s8, v79
	v_mov_b32_e32 v4, s12
	s_addc_u32 s11, s11, 0
	v_addc_co_u32_e32 v80, vcc, v80, v6, vcc
	v_mov_b32_e32 v5, s13
	v_cmp_ge_i64_e32 vcc, s[10:11], v[4:5]
	s_add_u32 s24, s24, s7
	v_add_co_u32_e64 v81, s[0:1], s8, v81
	s_addc_u32 s25, s25, 0
	v_addc_co_u32_e64 v82, s[0:1], v82, v6, s[0:1]
	s_cbranch_vccnz .LBB78_83
; %bb.82:                               ;   in Loop: Header=BB78_53 Depth=1
	v_mov_b32_e32 v85, v54
	v_mov_b32_e32 v84, v3
	s_branch .LBB78_53
.LBB78_83:
	s_movk_i32 s0, 0x41
	v_mad_u32_u24 v2, v1, s0, v0
	v_lshl_add_u32 v2, v2, 2, 0
	ds_write_b32 v2, v3
	ds_write_b32 v2, v54 offset:2080
	v_lshrrev_b32_e32 v2, 6, v0
	v_add_u32_e32 v2, v2, v1
	v_cmp_gt_u32_e32 vcc, 64, v2
	s_waitcnt lgkmcnt(0)
	s_barrier
	s_and_saveexec_b64 s[0:1], vcc
	s_cbranch_execz .LBB78_147
; %bb.84:
	s_load_dwordx4 s[8:11], s[4:5], 0x30
	v_and_b32_e32 v1, 63, v0
	v_cmp_gt_u32_e64 s[0:1], 8, v1
	v_mul_u32_u24_e32 v3, 0x41, v1
                                        ; implicit-def: $vgpr1
                                        ; implicit-def: $vgpr5
	s_and_saveexec_b64 s[2:3], s[0:1]
	s_cbranch_execz .LBB78_86
; %bb.85:
	v_add_u32_e32 v1, v2, v3
	v_lshl_add_u32 v1, v1, 2, 0
	ds_read_b32 v5, v1
	ds_read_b32 v1, v1 offset:2080
.LBB78_86:
	s_or_b64 exec, exec, s[2:3]
	v_mbcnt_lo_u32_b32 v4, -1, 0
	v_mbcnt_hi_u32_b32 v6, -1, v4
	v_and_b32_e32 v4, 64, v6
	v_add_u32_e32 v7, 64, v4
	v_xor_b32_e32 v4, 4, v6
	v_cmp_lt_i32_e32 vcc, v4, v7
	v_cndmask_b32_e32 v4, v6, v4, vcc
	v_lshlrev_b32_e32 v4, 2, v4
	s_waitcnt lgkmcnt(0)
	ds_bpermute_b32 v8, v4, v5
	ds_bpermute_b32 v9, v4, v1
	v_cmp_eq_u32_e64 s[2:3], 0, v0
	s_mov_b32 s7, 0
	s_lshl_b64 s[4:5], s[6:7], 6
	s_waitcnt lgkmcnt(1)
	v_add_f32_e32 v8, v5, v8
	v_xor_b32_e32 v5, 2, v6
	v_cmp_lt_i32_e32 vcc, v5, v7
	v_cndmask_b32_e32 v5, v6, v5, vcc
	v_lshlrev_b32_e32 v5, 2, v5
	ds_bpermute_b32 v10, v5, v8
	s_waitcnt lgkmcnt(1)
	v_add_f32_e32 v0, v1, v9
	v_xor_b32_e32 v9, 1, v6
	v_cmp_lt_i32_e32 vcc, v9, v7
	v_cndmask_b32_e32 v6, v6, v9, vcc
	s_waitcnt lgkmcnt(0)
	v_add_f32_e32 v1, v8, v10
	ds_bpermute_b32 v8, v5, v0
	v_lshlrev_b32_e32 v6, 2, v6
	ds_bpermute_b32 v7, v6, v1
	s_cmp_lg_u64 s[8:9], 0
	s_cselect_b64 s[12:13], -1, 0
	s_waitcnt lgkmcnt(1)
	v_add_f32_e32 v8, v0, v8
	ds_bpermute_b32 v9, v6, v8
	s_waitcnt lgkmcnt(1)
	v_add_f32_e32 v7, v1, v7
	v_or_b32_e32 v0, s4, v2
	v_mov_b32_e32 v1, s5
	v_cmp_gt_i64_e32 vcc, s[14:15], v[0:1]
	s_cmp_lg_u64 s[10:11], 0
	s_cselect_b64 s[6:7], -1, 0
	s_waitcnt lgkmcnt(0)
	v_add_f32_e32 v8, v8, v9
	s_and_b64 s[18:19], s[2:3], vcc
	s_and_saveexec_b64 s[16:17], s[18:19]
	s_cbranch_execz .LBB78_91
; %bb.87:
	v_lshlrev_b64 v[0:1], 1, v[0:1]
	s_andn2_b64 vcc, exec, s[12:13]
	s_cbranch_vccnz .LBB78_89
; %bb.88:
	v_cvt_f16_f32_e32 v11, v7
	v_mov_b32_e32 v10, s9
	v_add_co_u32_e32 v9, vcc, s8, v0
	v_addc_co_u32_e32 v10, vcc, v10, v1, vcc
	global_store_short v[9:10], v11, off
.LBB78_89:
	s_andn2_b64 vcc, exec, s[6:7]
	s_cbranch_vccnz .LBB78_91
; %bb.90:
	v_cvt_f16_f32_e32 v10, v8
	v_mov_b32_e32 v9, s11
	v_add_co_u32_e32 v0, vcc, s10, v0
	v_addc_co_u32_e32 v1, vcc, v9, v1, vcc
	global_store_short v[0:1], v10, off
.LBB78_91:
	s_or_b64 exec, exec, s[16:17]
	v_cmp_gt_u32_e32 vcc, 56, v2
	s_and_b64 exec, exec, vcc
	s_cbranch_execz .LBB78_147
; %bb.92:
	s_and_saveexec_b64 s[16:17], s[0:1]
	s_cbranch_execz .LBB78_94
; %bb.93:
	v_add_u32_e32 v0, v2, v3
	v_lshl_add_u32 v0, v0, 2, 0
	ds_read_b32 v7, v0 offset:32
	ds_read_b32 v8, v0 offset:2112
.LBB78_94:
	s_or_b64 exec, exec, s[16:17]
	s_waitcnt lgkmcnt(1)
	ds_bpermute_b32 v0, v4, v7
	s_waitcnt lgkmcnt(1)
	ds_bpermute_b32 v1, v4, v8
	v_add_u32_e32 v9, 8, v2
	v_mov_b32_e32 v10, s5
	s_waitcnt lgkmcnt(1)
	v_add_f32_e32 v0, v7, v0
	s_waitcnt lgkmcnt(0)
	v_add_f32_e32 v1, v8, v1
	ds_bpermute_b32 v7, v5, v0
	ds_bpermute_b32 v8, v5, v1
	s_waitcnt lgkmcnt(1)
	v_add_f32_e32 v7, v0, v7
	s_waitcnt lgkmcnt(0)
	v_add_f32_e32 v8, v1, v8
	ds_bpermute_b32 v11, v6, v7
	ds_bpermute_b32 v12, v6, v8
	v_add_co_u32_e32 v0, vcc, s4, v9
	v_addc_co_u32_e32 v1, vcc, 0, v10, vcc
	v_cmp_gt_i64_e32 vcc, s[14:15], v[0:1]
	s_waitcnt lgkmcnt(1)
	v_add_f32_e32 v0, v7, v11
	s_waitcnt lgkmcnt(0)
	v_add_f32_e32 v1, v8, v12
	s_and_b64 s[18:19], s[2:3], vcc
	s_and_saveexec_b64 s[16:17], s[18:19]
	s_cbranch_execz .LBB78_99
; %bb.95:
	s_andn2_b64 vcc, exec, s[12:13]
	s_cbranch_vccnz .LBB78_97
; %bb.96:
	v_mov_b32_e32 v8, s5
	v_add_co_u32_e32 v7, vcc, s4, v2
	v_addc_co_u32_e32 v8, vcc, 0, v8, vcc
	v_lshlrev_b64 v[7:8], 1, v[7:8]
	v_cvt_f16_f32_e32 v10, v0
	v_mov_b32_e32 v9, s9
	v_add_co_u32_e32 v7, vcc, s8, v7
	v_addc_co_u32_e32 v8, vcc, v9, v8, vcc
	global_store_short v[7:8], v10, off offset:16
.LBB78_97:
	s_andn2_b64 vcc, exec, s[6:7]
	s_cbranch_vccnz .LBB78_99
; %bb.98:
	v_mov_b32_e32 v8, s5
	v_add_co_u32_e32 v7, vcc, s4, v2
	v_addc_co_u32_e32 v8, vcc, 0, v8, vcc
	v_lshlrev_b64 v[7:8], 1, v[7:8]
	v_cvt_f16_f32_e32 v10, v1
	v_mov_b32_e32 v9, s11
	v_add_co_u32_e32 v7, vcc, s10, v7
	v_addc_co_u32_e32 v8, vcc, v9, v8, vcc
	global_store_short v[7:8], v10, off offset:16
.LBB78_99:
	s_or_b64 exec, exec, s[16:17]
	v_cmp_gt_u32_e32 vcc, 48, v2
	s_and_b64 exec, exec, vcc
	s_cbranch_execz .LBB78_147
; %bb.100:
	s_and_saveexec_b64 s[16:17], s[0:1]
	s_cbranch_execz .LBB78_102
; %bb.101:
	v_add_u32_e32 v0, v2, v3
	v_lshl_add_u32 v1, v0, 2, 0
	ds_read_b32 v0, v1 offset:64
	ds_read_b32 v1, v1 offset:2144
.LBB78_102:
	s_or_b64 exec, exec, s[16:17]
	s_waitcnt lgkmcnt(1)
	ds_bpermute_b32 v7, v4, v0
	s_waitcnt lgkmcnt(1)
	ds_bpermute_b32 v8, v4, v1
	v_add_u32_e32 v9, 16, v2
	v_mov_b32_e32 v10, s5
	s_waitcnt lgkmcnt(1)
	v_add_f32_e32 v0, v0, v7
	s_waitcnt lgkmcnt(0)
	v_add_f32_e32 v1, v1, v8
	ds_bpermute_b32 v7, v5, v0
	ds_bpermute_b32 v8, v5, v1
	s_waitcnt lgkmcnt(1)
	v_add_f32_e32 v7, v0, v7
	s_waitcnt lgkmcnt(0)
	v_add_f32_e32 v8, v1, v8
	ds_bpermute_b32 v11, v6, v7
	ds_bpermute_b32 v12, v6, v8
	v_add_co_u32_e32 v0, vcc, s4, v9
	v_addc_co_u32_e32 v1, vcc, 0, v10, vcc
	v_cmp_gt_i64_e32 vcc, s[14:15], v[0:1]
	s_waitcnt lgkmcnt(1)
	v_add_f32_e32 v0, v7, v11
	s_waitcnt lgkmcnt(0)
	v_add_f32_e32 v1, v8, v12
	s_and_b64 s[18:19], s[2:3], vcc
	s_and_saveexec_b64 s[16:17], s[18:19]
	s_cbranch_execz .LBB78_107
; %bb.103:
	s_andn2_b64 vcc, exec, s[12:13]
	s_cbranch_vccnz .LBB78_105
; %bb.104:
	v_mov_b32_e32 v8, s5
	v_add_co_u32_e32 v7, vcc, s4, v2
	v_addc_co_u32_e32 v8, vcc, 0, v8, vcc
	v_lshlrev_b64 v[7:8], 1, v[7:8]
	v_cvt_f16_f32_e32 v10, v0
	v_mov_b32_e32 v9, s9
	v_add_co_u32_e32 v7, vcc, s8, v7
	v_addc_co_u32_e32 v8, vcc, v9, v8, vcc
	global_store_short v[7:8], v10, off offset:32
.LBB78_105:
	s_andn2_b64 vcc, exec, s[6:7]
	s_cbranch_vccnz .LBB78_107
; %bb.106:
	v_mov_b32_e32 v8, s5
	v_add_co_u32_e32 v7, vcc, s4, v2
	v_addc_co_u32_e32 v8, vcc, 0, v8, vcc
	v_lshlrev_b64 v[7:8], 1, v[7:8]
	v_cvt_f16_f32_e32 v10, v1
	v_mov_b32_e32 v9, s11
	v_add_co_u32_e32 v7, vcc, s10, v7
	v_addc_co_u32_e32 v8, vcc, v9, v8, vcc
	global_store_short v[7:8], v10, off offset:32
.LBB78_107:
	s_or_b64 exec, exec, s[16:17]
	v_cmp_gt_u32_e32 vcc, 40, v2
	s_and_b64 exec, exec, vcc
	s_cbranch_execz .LBB78_147
; %bb.108:
	s_and_saveexec_b64 s[16:17], s[0:1]
	s_cbranch_execz .LBB78_110
; %bb.109:
	v_add_u32_e32 v0, v2, v3
	v_lshl_add_u32 v1, v0, 2, 0
	ds_read_b32 v0, v1 offset:96
	ds_read_b32 v1, v1 offset:2176
.LBB78_110:
	s_or_b64 exec, exec, s[16:17]
	s_waitcnt lgkmcnt(1)
	ds_bpermute_b32 v7, v4, v0
	s_waitcnt lgkmcnt(1)
	ds_bpermute_b32 v8, v4, v1
	v_add_u32_e32 v9, 24, v2
	v_mov_b32_e32 v10, s5
	s_waitcnt lgkmcnt(1)
	v_add_f32_e32 v0, v0, v7
	s_waitcnt lgkmcnt(0)
	v_add_f32_e32 v1, v1, v8
	ds_bpermute_b32 v7, v5, v0
	ds_bpermute_b32 v8, v5, v1
	s_waitcnt lgkmcnt(1)
	v_add_f32_e32 v7, v0, v7
	s_waitcnt lgkmcnt(0)
	v_add_f32_e32 v8, v1, v8
	ds_bpermute_b32 v11, v6, v7
	ds_bpermute_b32 v12, v6, v8
	v_add_co_u32_e32 v0, vcc, s4, v9
	v_addc_co_u32_e32 v1, vcc, 0, v10, vcc
	v_cmp_gt_i64_e32 vcc, s[14:15], v[0:1]
	s_waitcnt lgkmcnt(1)
	v_add_f32_e32 v0, v7, v11
	s_waitcnt lgkmcnt(0)
	v_add_f32_e32 v1, v8, v12
	s_and_b64 s[18:19], s[2:3], vcc
	s_and_saveexec_b64 s[16:17], s[18:19]
	s_cbranch_execz .LBB78_115
; %bb.111:
	s_andn2_b64 vcc, exec, s[12:13]
	s_cbranch_vccnz .LBB78_113
; %bb.112:
	v_mov_b32_e32 v8, s5
	v_add_co_u32_e32 v7, vcc, s4, v2
	v_addc_co_u32_e32 v8, vcc, 0, v8, vcc
	v_lshlrev_b64 v[7:8], 1, v[7:8]
	v_cvt_f16_f32_e32 v10, v0
	v_mov_b32_e32 v9, s9
	v_add_co_u32_e32 v7, vcc, s8, v7
	v_addc_co_u32_e32 v8, vcc, v9, v8, vcc
	global_store_short v[7:8], v10, off offset:48
.LBB78_113:
	s_andn2_b64 vcc, exec, s[6:7]
	s_cbranch_vccnz .LBB78_115
; %bb.114:
	v_mov_b32_e32 v8, s5
	v_add_co_u32_e32 v7, vcc, s4, v2
	v_addc_co_u32_e32 v8, vcc, 0, v8, vcc
	v_lshlrev_b64 v[7:8], 1, v[7:8]
	v_cvt_f16_f32_e32 v10, v1
	v_mov_b32_e32 v9, s11
	v_add_co_u32_e32 v7, vcc, s10, v7
	v_addc_co_u32_e32 v8, vcc, v9, v8, vcc
	global_store_short v[7:8], v10, off offset:48
.LBB78_115:
	s_or_b64 exec, exec, s[16:17]
	v_cmp_gt_u32_e32 vcc, 32, v2
	s_and_b64 exec, exec, vcc
	s_cbranch_execz .LBB78_147
; %bb.116:
	s_and_saveexec_b64 s[16:17], s[0:1]
	s_cbranch_execz .LBB78_118
; %bb.117:
	v_add_u32_e32 v0, v2, v3
	v_lshl_add_u32 v1, v0, 2, 0
	ds_read_b32 v0, v1 offset:128
	ds_read_b32 v1, v1 offset:2208
.LBB78_118:
	s_or_b64 exec, exec, s[16:17]
	s_waitcnt lgkmcnt(1)
	ds_bpermute_b32 v7, v4, v0
	s_waitcnt lgkmcnt(1)
	ds_bpermute_b32 v8, v4, v1
	v_add_u32_e32 v9, 32, v2
	s_waitcnt lgkmcnt(1)
	v_add_f32_e32 v0, v0, v7
	s_waitcnt lgkmcnt(0)
	v_add_f32_e32 v1, v1, v8
	ds_bpermute_b32 v7, v5, v0
	ds_bpermute_b32 v8, v5, v1
	s_waitcnt lgkmcnt(1)
	v_add_f32_e32 v7, v0, v7
	s_waitcnt lgkmcnt(0)
	v_add_f32_e32 v8, v1, v8
	ds_bpermute_b32 v10, v6, v7
	ds_bpermute_b32 v11, v6, v8
	v_mov_b32_e32 v1, s5
	v_or_b32_e32 v0, s4, v9
	v_cmp_gt_i64_e32 vcc, s[14:15], v[0:1]
	s_waitcnt lgkmcnt(1)
	v_add_f32_e32 v0, v7, v10
	s_waitcnt lgkmcnt(0)
	v_add_f32_e32 v1, v8, v11
	s_and_b64 s[18:19], s[2:3], vcc
	s_and_saveexec_b64 s[16:17], s[18:19]
	s_cbranch_execz .LBB78_123
; %bb.119:
	s_andn2_b64 vcc, exec, s[12:13]
	s_cbranch_vccnz .LBB78_121
; %bb.120:
	v_mov_b32_e32 v8, s5
	v_add_co_u32_e32 v7, vcc, s4, v2
	v_addc_co_u32_e32 v8, vcc, 0, v8, vcc
	v_lshlrev_b64 v[7:8], 1, v[7:8]
	v_cvt_f16_f32_e32 v10, v0
	v_mov_b32_e32 v9, s9
	v_add_co_u32_e32 v7, vcc, s8, v7
	v_addc_co_u32_e32 v8, vcc, v9, v8, vcc
	global_store_short v[7:8], v10, off offset:64
.LBB78_121:
	s_andn2_b64 vcc, exec, s[6:7]
	s_cbranch_vccnz .LBB78_123
; %bb.122:
	v_mov_b32_e32 v8, s5
	v_add_co_u32_e32 v7, vcc, s4, v2
	v_addc_co_u32_e32 v8, vcc, 0, v8, vcc
	v_lshlrev_b64 v[7:8], 1, v[7:8]
	v_cvt_f16_f32_e32 v10, v1
	v_mov_b32_e32 v9, s11
	v_add_co_u32_e32 v7, vcc, s10, v7
	v_addc_co_u32_e32 v8, vcc, v9, v8, vcc
	global_store_short v[7:8], v10, off offset:64
.LBB78_123:
	s_or_b64 exec, exec, s[16:17]
	v_cmp_gt_u32_e32 vcc, 24, v2
	s_and_b64 exec, exec, vcc
	s_cbranch_execz .LBB78_147
; %bb.124:
	s_and_saveexec_b64 s[16:17], s[0:1]
	s_cbranch_execz .LBB78_126
; %bb.125:
	v_add_u32_e32 v0, v2, v3
	v_lshl_add_u32 v1, v0, 2, 0
	ds_read_b32 v0, v1 offset:160
	ds_read_b32 v1, v1 offset:2240
.LBB78_126:
	s_or_b64 exec, exec, s[16:17]
	s_waitcnt lgkmcnt(1)
	ds_bpermute_b32 v7, v4, v0
	s_waitcnt lgkmcnt(1)
	ds_bpermute_b32 v8, v4, v1
	v_add_u32_e32 v9, 40, v2
	v_mov_b32_e32 v10, s5
	s_waitcnt lgkmcnt(1)
	v_add_f32_e32 v0, v0, v7
	s_waitcnt lgkmcnt(0)
	v_add_f32_e32 v1, v1, v8
	ds_bpermute_b32 v7, v5, v0
	ds_bpermute_b32 v8, v5, v1
	s_waitcnt lgkmcnt(1)
	v_add_f32_e32 v7, v0, v7
	s_waitcnt lgkmcnt(0)
	v_add_f32_e32 v8, v1, v8
	ds_bpermute_b32 v11, v6, v7
	ds_bpermute_b32 v12, v6, v8
	v_add_co_u32_e32 v0, vcc, s4, v9
	v_addc_co_u32_e32 v1, vcc, 0, v10, vcc
	v_cmp_gt_i64_e32 vcc, s[14:15], v[0:1]
	s_waitcnt lgkmcnt(1)
	v_add_f32_e32 v0, v7, v11
	s_waitcnt lgkmcnt(0)
	v_add_f32_e32 v1, v8, v12
	s_and_b64 s[18:19], s[2:3], vcc
	s_and_saveexec_b64 s[16:17], s[18:19]
	s_cbranch_execz .LBB78_131
; %bb.127:
	s_andn2_b64 vcc, exec, s[12:13]
	s_cbranch_vccnz .LBB78_129
; %bb.128:
	v_mov_b32_e32 v8, s5
	v_add_co_u32_e32 v7, vcc, s4, v2
	v_addc_co_u32_e32 v8, vcc, 0, v8, vcc
	v_lshlrev_b64 v[7:8], 1, v[7:8]
	v_cvt_f16_f32_e32 v10, v0
	v_mov_b32_e32 v9, s9
	v_add_co_u32_e32 v7, vcc, s8, v7
	v_addc_co_u32_e32 v8, vcc, v9, v8, vcc
	global_store_short v[7:8], v10, off offset:80
.LBB78_129:
	s_andn2_b64 vcc, exec, s[6:7]
	s_cbranch_vccnz .LBB78_131
; %bb.130:
	v_mov_b32_e32 v8, s5
	v_add_co_u32_e32 v7, vcc, s4, v2
	v_addc_co_u32_e32 v8, vcc, 0, v8, vcc
	v_lshlrev_b64 v[7:8], 1, v[7:8]
	v_cvt_f16_f32_e32 v10, v1
	v_mov_b32_e32 v9, s11
	v_add_co_u32_e32 v7, vcc, s10, v7
	v_addc_co_u32_e32 v8, vcc, v9, v8, vcc
	global_store_short v[7:8], v10, off offset:80
.LBB78_131:
	s_or_b64 exec, exec, s[16:17]
	v_cmp_gt_u32_e32 vcc, 16, v2
	s_and_b64 exec, exec, vcc
	s_cbranch_execz .LBB78_147
; %bb.132:
	s_and_saveexec_b64 s[16:17], s[0:1]
	s_cbranch_execz .LBB78_134
; %bb.133:
	v_add_u32_e32 v0, v2, v3
	v_lshl_add_u32 v1, v0, 2, 0
	ds_read_b32 v0, v1 offset:192
	ds_read_b32 v1, v1 offset:2272
.LBB78_134:
	s_or_b64 exec, exec, s[16:17]
	s_waitcnt lgkmcnt(1)
	ds_bpermute_b32 v7, v4, v0
	s_waitcnt lgkmcnt(1)
	ds_bpermute_b32 v8, v4, v1
	v_add_u32_e32 v9, 48, v2
	s_waitcnt lgkmcnt(1)
	v_add_f32_e32 v0, v0, v7
	s_waitcnt lgkmcnt(0)
	v_add_f32_e32 v1, v1, v8
	ds_bpermute_b32 v7, v5, v0
	ds_bpermute_b32 v8, v5, v1
	s_waitcnt lgkmcnt(1)
	v_add_f32_e32 v7, v0, v7
	s_waitcnt lgkmcnt(0)
	v_add_f32_e32 v8, v1, v8
	ds_bpermute_b32 v10, v6, v7
	ds_bpermute_b32 v11, v6, v8
	v_mov_b32_e32 v1, s5
	v_or_b32_e32 v0, s4, v9
	v_cmp_gt_i64_e32 vcc, s[14:15], v[0:1]
	s_waitcnt lgkmcnt(1)
	v_add_f32_e32 v0, v7, v10
	s_waitcnt lgkmcnt(0)
	v_add_f32_e32 v1, v8, v11
	s_and_b64 s[18:19], s[2:3], vcc
	s_and_saveexec_b64 s[16:17], s[18:19]
	s_cbranch_execz .LBB78_139
; %bb.135:
	s_andn2_b64 vcc, exec, s[12:13]
	s_cbranch_vccnz .LBB78_137
; %bb.136:
	v_mov_b32_e32 v8, s5
	v_add_co_u32_e32 v7, vcc, s4, v2
	v_addc_co_u32_e32 v8, vcc, 0, v8, vcc
	v_lshlrev_b64 v[7:8], 1, v[7:8]
	v_cvt_f16_f32_e32 v10, v0
	v_mov_b32_e32 v9, s9
	v_add_co_u32_e32 v7, vcc, s8, v7
	v_addc_co_u32_e32 v8, vcc, v9, v8, vcc
	global_store_short v[7:8], v10, off offset:96
.LBB78_137:
	s_andn2_b64 vcc, exec, s[6:7]
	s_cbranch_vccnz .LBB78_139
; %bb.138:
	v_mov_b32_e32 v8, s5
	v_add_co_u32_e32 v7, vcc, s4, v2
	v_addc_co_u32_e32 v8, vcc, 0, v8, vcc
	v_lshlrev_b64 v[7:8], 1, v[7:8]
	v_cvt_f16_f32_e32 v10, v1
	v_mov_b32_e32 v9, s11
	v_add_co_u32_e32 v7, vcc, s10, v7
	v_addc_co_u32_e32 v8, vcc, v9, v8, vcc
	global_store_short v[7:8], v10, off offset:96
.LBB78_139:
	s_or_b64 exec, exec, s[16:17]
	v_cmp_gt_u32_e32 vcc, 8, v2
	s_and_b64 exec, exec, vcc
	s_cbranch_execz .LBB78_147
; %bb.140:
	s_and_saveexec_b64 s[16:17], s[0:1]
	s_cbranch_execz .LBB78_142
; %bb.141:
	v_add_u32_e32 v0, v2, v3
	v_lshl_add_u32 v1, v0, 2, 0
	ds_read_b32 v0, v1 offset:224
	ds_read_b32 v1, v1 offset:2304
.LBB78_142:
	s_or_b64 exec, exec, s[16:17]
	s_waitcnt lgkmcnt(1)
	ds_bpermute_b32 v3, v4, v0
	s_waitcnt lgkmcnt(1)
	ds_bpermute_b32 v4, v4, v1
	s_waitcnt lgkmcnt(1)
	v_add_f32_e32 v0, v0, v3
	s_waitcnt lgkmcnt(0)
	v_add_f32_e32 v1, v1, v4
	ds_bpermute_b32 v3, v5, v0
	ds_bpermute_b32 v4, v5, v1
	v_add_u32_e32 v5, 56, v2
	v_or_b32_e32 v5, s4, v5
	s_waitcnt lgkmcnt(1)
	v_add_f32_e32 v3, v0, v3
	s_waitcnt lgkmcnt(0)
	v_add_f32_e32 v0, v1, v4
	ds_bpermute_b32 v4, v6, v3
	ds_bpermute_b32 v1, v6, v0
	v_mov_b32_e32 v6, s5
	v_cmp_gt_i64_e32 vcc, s[14:15], v[5:6]
	s_and_b64 s[0:1], s[2:3], vcc
	s_and_b64 exec, exec, s[0:1]
	s_cbranch_execz .LBB78_147
; %bb.143:
	s_andn2_b64 vcc, exec, s[12:13]
	s_cbranch_vccnz .LBB78_145
; %bb.144:
	s_waitcnt lgkmcnt(1)
	v_add_f32_e32 v5, v3, v4
	v_mov_b32_e32 v4, s5
	v_add_co_u32_e32 v3, vcc, s4, v2
	v_addc_co_u32_e32 v4, vcc, 0, v4, vcc
	v_lshlrev_b64 v[3:4], 1, v[3:4]
	v_cvt_f16_f32_e32 v5, v5
	v_mov_b32_e32 v6, s9
	v_add_co_u32_e32 v3, vcc, s8, v3
	v_addc_co_u32_e32 v4, vcc, v6, v4, vcc
	global_store_short v[3:4], v5, off offset:112
.LBB78_145:
	s_andn2_b64 vcc, exec, s[6:7]
	s_cbranch_vccnz .LBB78_147
; %bb.146:
	s_waitcnt lgkmcnt(0)
	v_add_f32_e32 v3, v0, v1
	v_mov_b32_e32 v1, s5
	v_add_co_u32_e32 v0, vcc, s4, v2
	v_addc_co_u32_e32 v1, vcc, 0, v1, vcc
	v_lshlrev_b64 v[0:1], 1, v[0:1]
	v_cvt_f16_f32_e32 v3, v3
	v_mov_b32_e32 v2, s11
	v_add_co_u32_e32 v0, vcc, s10, v0
	v_addc_co_u32_e32 v1, vcc, v2, v1, vcc
	global_store_short v[0:1], v3, off offset:112
.LBB78_147:
	s_endpgm
	.section	.rodata,"a",@progbits
	.p2align	6, 0x0
	.amdhsa_kernel _ZN2at6native12_GLOBAL__N_135GammaBetaBackwardCUDAKernelTemplateIN3c104HalfEfLj64ELj8ELj64ELb0ELb0ELb0EEEvllPKT_S7_PKT0_SA_PS5_SB_
		.amdhsa_group_segment_fixed_size 0
		.amdhsa_private_segment_fixed_size 0
		.amdhsa_kernarg_size 320
		.amdhsa_user_sgpr_count 6
		.amdhsa_user_sgpr_private_segment_buffer 1
		.amdhsa_user_sgpr_dispatch_ptr 0
		.amdhsa_user_sgpr_queue_ptr 0
		.amdhsa_user_sgpr_kernarg_segment_ptr 1
		.amdhsa_user_sgpr_dispatch_id 0
		.amdhsa_user_sgpr_flat_scratch_init 0
		.amdhsa_user_sgpr_private_segment_size 0
		.amdhsa_uses_dynamic_stack 0
		.amdhsa_system_sgpr_private_segment_wavefront_offset 0
		.amdhsa_system_sgpr_workgroup_id_x 1
		.amdhsa_system_sgpr_workgroup_id_y 1
		.amdhsa_system_sgpr_workgroup_id_z 0
		.amdhsa_system_sgpr_workgroup_info 0
		.amdhsa_system_vgpr_workitem_id 1
		.amdhsa_next_free_vgpr 94
		.amdhsa_next_free_sgpr 36
		.amdhsa_reserve_vcc 1
		.amdhsa_reserve_flat_scratch 0
		.amdhsa_float_round_mode_32 0
		.amdhsa_float_round_mode_16_64 0
		.amdhsa_float_denorm_mode_32 3
		.amdhsa_float_denorm_mode_16_64 3
		.amdhsa_dx10_clamp 1
		.amdhsa_ieee_mode 1
		.amdhsa_fp16_overflow 0
		.amdhsa_exception_fp_ieee_invalid_op 0
		.amdhsa_exception_fp_denorm_src 0
		.amdhsa_exception_fp_ieee_div_zero 0
		.amdhsa_exception_fp_ieee_overflow 0
		.amdhsa_exception_fp_ieee_underflow 0
		.amdhsa_exception_fp_ieee_inexact 0
		.amdhsa_exception_int_div_zero 0
	.end_amdhsa_kernel
	.section	.text._ZN2at6native12_GLOBAL__N_135GammaBetaBackwardCUDAKernelTemplateIN3c104HalfEfLj64ELj8ELj64ELb0ELb0ELb0EEEvllPKT_S7_PKT0_SA_PS5_SB_,"axG",@progbits,_ZN2at6native12_GLOBAL__N_135GammaBetaBackwardCUDAKernelTemplateIN3c104HalfEfLj64ELj8ELj64ELb0ELb0ELb0EEEvllPKT_S7_PKT0_SA_PS5_SB_,comdat
.Lfunc_end78:
	.size	_ZN2at6native12_GLOBAL__N_135GammaBetaBackwardCUDAKernelTemplateIN3c104HalfEfLj64ELj8ELj64ELb0ELb0ELb0EEEvllPKT_S7_PKT0_SA_PS5_SB_, .Lfunc_end78-_ZN2at6native12_GLOBAL__N_135GammaBetaBackwardCUDAKernelTemplateIN3c104HalfEfLj64ELj8ELj64ELb0ELb0ELb0EEEvllPKT_S7_PKT0_SA_PS5_SB_
                                        ; -- End function
	.set _ZN2at6native12_GLOBAL__N_135GammaBetaBackwardCUDAKernelTemplateIN3c104HalfEfLj64ELj8ELj64ELb0ELb0ELb0EEEvllPKT_S7_PKT0_SA_PS5_SB_.num_vgpr, 94
	.set _ZN2at6native12_GLOBAL__N_135GammaBetaBackwardCUDAKernelTemplateIN3c104HalfEfLj64ELj8ELj64ELb0ELb0ELb0EEEvllPKT_S7_PKT0_SA_PS5_SB_.num_agpr, 0
	.set _ZN2at6native12_GLOBAL__N_135GammaBetaBackwardCUDAKernelTemplateIN3c104HalfEfLj64ELj8ELj64ELb0ELb0ELb0EEEvllPKT_S7_PKT0_SA_PS5_SB_.numbered_sgpr, 36
	.set _ZN2at6native12_GLOBAL__N_135GammaBetaBackwardCUDAKernelTemplateIN3c104HalfEfLj64ELj8ELj64ELb0ELb0ELb0EEEvllPKT_S7_PKT0_SA_PS5_SB_.num_named_barrier, 0
	.set _ZN2at6native12_GLOBAL__N_135GammaBetaBackwardCUDAKernelTemplateIN3c104HalfEfLj64ELj8ELj64ELb0ELb0ELb0EEEvllPKT_S7_PKT0_SA_PS5_SB_.private_seg_size, 0
	.set _ZN2at6native12_GLOBAL__N_135GammaBetaBackwardCUDAKernelTemplateIN3c104HalfEfLj64ELj8ELj64ELb0ELb0ELb0EEEvllPKT_S7_PKT0_SA_PS5_SB_.uses_vcc, 1
	.set _ZN2at6native12_GLOBAL__N_135GammaBetaBackwardCUDAKernelTemplateIN3c104HalfEfLj64ELj8ELj64ELb0ELb0ELb0EEEvllPKT_S7_PKT0_SA_PS5_SB_.uses_flat_scratch, 0
	.set _ZN2at6native12_GLOBAL__N_135GammaBetaBackwardCUDAKernelTemplateIN3c104HalfEfLj64ELj8ELj64ELb0ELb0ELb0EEEvllPKT_S7_PKT0_SA_PS5_SB_.has_dyn_sized_stack, 0
	.set _ZN2at6native12_GLOBAL__N_135GammaBetaBackwardCUDAKernelTemplateIN3c104HalfEfLj64ELj8ELj64ELb0ELb0ELb0EEEvllPKT_S7_PKT0_SA_PS5_SB_.has_recursion, 0
	.set _ZN2at6native12_GLOBAL__N_135GammaBetaBackwardCUDAKernelTemplateIN3c104HalfEfLj64ELj8ELj64ELb0ELb0ELb0EEEvllPKT_S7_PKT0_SA_PS5_SB_.has_indirect_call, 0
	.section	.AMDGPU.csdata,"",@progbits
; Kernel info:
; codeLenInByte = 9492
; TotalNumSgprs: 40
; NumVgprs: 94
; ScratchSize: 0
; MemoryBound: 0
; FloatMode: 240
; IeeeMode: 1
; LDSByteSize: 0 bytes/workgroup (compile time only)
; SGPRBlocks: 4
; VGPRBlocks: 23
; NumSGPRsForWavesPerEU: 40
; NumVGPRsForWavesPerEU: 94
; Occupancy: 2
; WaveLimiterHint : 0
; COMPUTE_PGM_RSRC2:SCRATCH_EN: 0
; COMPUTE_PGM_RSRC2:USER_SGPR: 6
; COMPUTE_PGM_RSRC2:TRAP_HANDLER: 0
; COMPUTE_PGM_RSRC2:TGID_X_EN: 1
; COMPUTE_PGM_RSRC2:TGID_Y_EN: 1
; COMPUTE_PGM_RSRC2:TGID_Z_EN: 0
; COMPUTE_PGM_RSRC2:TIDIG_COMP_CNT: 1
	.section	.text._ZN2at6native12_GLOBAL__N_135GammaBetaBackwardCUDAKernelTemplateIN3c104HalfEfLj64ELj16ELj128ELb0ELb1ELb0EEEvllPKT_S7_PKT0_SA_PS5_SB_,"axG",@progbits,_ZN2at6native12_GLOBAL__N_135GammaBetaBackwardCUDAKernelTemplateIN3c104HalfEfLj64ELj16ELj128ELb0ELb1ELb0EEEvllPKT_S7_PKT0_SA_PS5_SB_,comdat
	.globl	_ZN2at6native12_GLOBAL__N_135GammaBetaBackwardCUDAKernelTemplateIN3c104HalfEfLj64ELj16ELj128ELb0ELb1ELb0EEEvllPKT_S7_PKT0_SA_PS5_SB_ ; -- Begin function _ZN2at6native12_GLOBAL__N_135GammaBetaBackwardCUDAKernelTemplateIN3c104HalfEfLj64ELj16ELj128ELb0ELb1ELb0EEEvllPKT_S7_PKT0_SA_PS5_SB_
	.p2align	8
	.type	_ZN2at6native12_GLOBAL__N_135GammaBetaBackwardCUDAKernelTemplateIN3c104HalfEfLj64ELj16ELj128ELb0ELb1ELb0EEEvllPKT_S7_PKT0_SA_PS5_SB_,@function
_ZN2at6native12_GLOBAL__N_135GammaBetaBackwardCUDAKernelTemplateIN3c104HalfEfLj64ELj16ELj128ELb0ELb1ELb0EEEvllPKT_S7_PKT0_SA_PS5_SB_: ; @_ZN2at6native12_GLOBAL__N_135GammaBetaBackwardCUDAKernelTemplateIN3c104HalfEfLj64ELj16ELj128ELb0ELb1ELb0EEEvllPKT_S7_PKT0_SA_PS5_SB_
; %bb.0:
	s_load_dwordx4 s[20:23], s[4:5], 0x0
	s_lshl_b32 s24, s7, 7
	s_mov_b32 s25, 0
	v_mov_b32_e32 v2, s24
	v_mov_b32_e32 v3, s25
	s_waitcnt lgkmcnt(0)
	v_cmp_gt_i64_e32 vcc, s[20:21], v[2:3]
	s_cbranch_vccnz .LBB79_2
; %bb.1:
	s_mov_b64 s[0:1], 0
	s_branch .LBB79_3
.LBB79_2:
	s_mov_b64 s[0:1], -1
.LBB79_3:
	s_load_dwordx4 s[16:19], s[4:5], 0x30
	v_mov_b32_e32 v18, 0
	s_andn2_b64 vcc, exec, s[0:1]
	v_mbcnt_lo_u32_b32 v9, -1, 0
	v_mov_b32_e32 v6, 0
	s_cbranch_vccnz .LBB79_10
; %bb.4:
	s_load_dword s0, s[4:5], 0x4c
	s_load_dword s2, s[4:5], 0x44
	s_load_dwordx8 s[8:15], s[4:5], 0x10
	v_lshlrev_b32_e32 v2, 3, v1
	v_mbcnt_hi_u32_b32 v4, -1, v9
	v_lshlrev_b32_e32 v4, 2, v4
	v_add_co_u32_e32 v2, vcc, s24, v2
	v_and_b32_e32 v10, 0x100, v4
	s_waitcnt lgkmcnt(0)
	s_lshl_b32 s4, s2, 7
	v_addc_co_u32_e64 v4, s[2:3], 0, 0, vcc
	v_mul_lo_u32 v18, s23, v2
	v_mul_lo_u32 v19, s22, v4
	v_mad_u64_u32 v[7:8], s[2:3], s22, v2, 0
	s_and_b32 s0, s0, 0xffff
	v_mad_u32_u24 v3, v1, s0, v0
	v_and_b32_e32 v3, 63, v3
	v_mov_b32_e32 v6, 0
	v_lshl_add_u32 v5, s6, 6, v0
	v_add_co_u32_e32 v2, vcc, v2, v3
	v_add3_u32 v8, v8, v19, v18
	v_cmp_gt_u32_e64 s[0:1], 8, v3
	v_addc_co_u32_e32 v3, vcc, 0, v4, vcc
	v_lshlrev_b64 v[7:8], 1, v[7:8]
	v_lshlrev_b64 v[4:5], 1, v[5:6]
	s_mul_i32 s2, s23, s4
	v_add_co_u32_e32 v19, vcc, v7, v4
	s_mul_hi_u32 s3, s22, s4
	s_mov_b32 s5, 0
	v_addc_co_u32_e32 v20, vcc, v8, v5, vcc
	v_lshlrev_b64 v[4:5], 2, v[2:3]
	s_add_i32 s3, s3, s2
	s_mul_i32 s2, s22, s4
	v_or_b32_e32 v11, 4, v10
	v_or_b32_e32 v12, 8, v10
	v_or_b32_e32 v13, 12, v10
	v_or_b32_e32 v14, 16, v10
	v_or_b32_e32 v15, 20, v10
	v_or_b32_e32 v16, 24, v10
	v_or_b32_e32 v17, 28, v10
	s_lshl_b64 s[26:27], s[4:5], 2
	s_lshl_b64 s[28:29], s[2:3], 1
	;; [unrolled: 1-line block ×3, first 2 shown]
	v_mov_b32_e32 v18, v6
	s_branch .LBB79_7
.LBB79_5:                               ;   in Loop: Header=BB79_7 Depth=1
	s_or_b64 exec, exec, s[30:31]
.LBB79_6:                               ;   in Loop: Header=BB79_7 Depth=1
	s_or_b64 exec, exec, s[2:3]
	v_mov_b32_e32 v7, s11
	v_add_co_u32_e32 v24, vcc, s10, v19
	v_addc_co_u32_e32 v25, vcc, v7, v20, vcc
	v_mov_b32_e32 v23, s23
	v_add_co_u32_e32 v7, vcc, s22, v24
	v_addc_co_u32_e32 v8, vcc, v25, v23, vcc
	global_load_ushort v28, v[24:25], off
	v_mov_b32_e32 v25, s9
	v_add_co_u32_e32 v24, vcc, s8, v19
	v_addc_co_u32_e32 v25, vcc, v25, v20, vcc
	v_add_co_u32_e32 v26, vcc, s22, v24
	global_load_ushort v24, v[24:25], off
	v_addc_co_u32_e32 v27, vcc, v25, v23, vcc
	s_add_u32 s24, s24, s4
	s_addc_u32 s25, s25, 0
	v_add_co_u32_e64 v19, s[2:3], s28, v19
	s_waitcnt vmcnt(1)
	v_cvt_f32_f16_e32 v25, v28
	ds_bpermute_b32 v28, v10, v22
	s_waitcnt lgkmcnt(0)
	v_sub_f32_e32 v25, v25, v28
	s_waitcnt vmcnt(0)
	v_cvt_f32_f16_e32 v24, v24
	v_add_f32_e32 v6, v6, v24
	v_mul_f32_e32 v24, v25, v24
	ds_bpermute_b32 v25, v10, v21
	s_waitcnt lgkmcnt(0)
	v_fmac_f32_e32 v18, v24, v25
	v_add_co_u32_e32 v24, vcc, s22, v7
	global_load_ushort v7, v[7:8], off
	v_addc_co_u32_e32 v25, vcc, v8, v23, vcc
	global_load_ushort v8, v[26:27], off
	v_add_co_u32_e32 v28, vcc, s22, v26
	ds_bpermute_b32 v26, v11, v22
	v_addc_co_u32_e32 v29, vcc, v27, v23, vcc
	s_waitcnt vmcnt(1)
	v_cvt_f32_f16_e32 v7, v7
	s_waitcnt lgkmcnt(0)
	v_sub_f32_e32 v26, v7, v26
	s_waitcnt vmcnt(0)
	v_cvt_f32_f16_e32 v7, v8
	v_mul_f32_e32 v8, v26, v7
	ds_bpermute_b32 v26, v11, v21
	v_add_f32_e32 v6, v6, v7
	s_waitcnt lgkmcnt(0)
	v_fmac_f32_e32 v18, v8, v26
	global_load_ushort v8, v[24:25], off
	v_add_co_u32_e32 v26, vcc, s22, v24
	v_addc_co_u32_e32 v27, vcc, v25, v23, vcc
	global_load_ushort v30, v[26:27], off
	v_add_co_u32_e32 v24, vcc, s22, v28
	global_load_ushort v28, v[28:29], off
	v_addc_co_u32_e32 v25, vcc, v29, v23, vcc
	ds_bpermute_b32 v29, v12, v22
	s_waitcnt vmcnt(2)
	v_cvt_f32_f16_e32 v8, v8
	s_waitcnt lgkmcnt(0)
	v_sub_f32_e32 v29, v8, v29
	s_waitcnt vmcnt(0)
	v_cvt_f32_f16_e32 v8, v28
	v_mul_f32_e32 v28, v29, v8
	ds_bpermute_b32 v29, v12, v21
	v_add_f32_e32 v6, v6, v8
	ds_bpermute_b32 v8, v17, v22
	s_waitcnt lgkmcnt(1)
	v_fmac_f32_e32 v18, v28, v29
	v_add_co_u32_e32 v28, vcc, s22, v26
	v_addc_co_u32_e32 v29, vcc, v27, v23, vcc
	v_add_co_u32_e32 v26, vcc, s22, v24
	global_load_ushort v24, v[24:25], off
	v_addc_co_u32_e32 v27, vcc, v25, v23, vcc
	v_cvt_f32_f16_e32 v25, v30
	ds_bpermute_b32 v30, v13, v22
	s_waitcnt lgkmcnt(0)
	v_sub_f32_e32 v25, v25, v30
	ds_bpermute_b32 v30, v13, v21
	s_waitcnt vmcnt(0)
	v_cvt_f32_f16_e32 v24, v24
	v_mul_f32_e32 v25, v25, v24
	s_waitcnt lgkmcnt(0)
	v_fmac_f32_e32 v18, v25, v30
	v_add_co_u32_e32 v30, vcc, s22, v28
	v_addc_co_u32_e32 v31, vcc, v29, v23, vcc
	global_load_ushort v25, v[28:29], off
	v_add_co_u32_e32 v28, vcc, s22, v26
	global_load_ushort v26, v[26:27], off
	v_addc_co_u32_e32 v29, vcc, v27, v23, vcc
	ds_bpermute_b32 v27, v14, v22
	v_add_f32_e32 v6, v6, v24
	s_waitcnt vmcnt(1)
	v_cvt_f32_f16_e32 v25, v25
	s_waitcnt vmcnt(0)
	v_cvt_f32_f16_e32 v32, v26
	ds_bpermute_b32 v26, v14, v21
	s_waitcnt lgkmcnt(1)
	v_sub_f32_e32 v25, v25, v27
	global_load_ushort v27, v[30:31], off
	v_mul_f32_e32 v25, v25, v32
	v_add_f32_e32 v6, v6, v32
	s_waitcnt lgkmcnt(0)
	v_fmac_f32_e32 v18, v25, v26
	v_add_co_u32_e32 v25, vcc, s22, v30
	v_addc_co_u32_e32 v26, vcc, v31, v23, vcc
	v_add_co_u32_e32 v30, vcc, s22, v28
	global_load_ushort v28, v[28:29], off
	v_addc_co_u32_e32 v31, vcc, v29, v23, vcc
	ds_bpermute_b32 v29, v15, v22
	global_load_ushort v33, v[25:26], off
	s_waitcnt vmcnt(2)
	v_cvt_f32_f16_e32 v27, v27
	s_waitcnt lgkmcnt(0)
	v_sub_f32_e32 v27, v27, v29
	s_waitcnt vmcnt(1)
	v_cvt_f32_f16_e32 v29, v28
	ds_bpermute_b32 v28, v15, v21
	v_mul_f32_e32 v27, v27, v29
	v_add_f32_e32 v6, v6, v29
	s_waitcnt lgkmcnt(0)
	v_fmac_f32_e32 v18, v27, v28
	v_add_co_u32_e32 v27, vcc, s22, v25
	v_addc_co_u32_e32 v28, vcc, v26, v23, vcc
	v_add_co_u32_e32 v25, vcc, s22, v30
	v_addc_co_u32_e32 v26, vcc, v31, v23, vcc
	global_load_ushort v23, v[30:31], off
	s_nop 0
	global_load_ushort v25, v[25:26], off
	s_nop 0
	global_load_ushort v26, v[27:28], off
	ds_bpermute_b32 v31, v16, v22
	s_waitcnt vmcnt(3)
	v_cvt_f32_f16_e32 v30, v33
	v_add_co_u32_e32 v4, vcc, s26, v4
	s_waitcnt lgkmcnt(0)
	v_sub_f32_e32 v30, v30, v31
	ds_bpermute_b32 v31, v16, v21
	ds_bpermute_b32 v21, v17, v21
	s_waitcnt vmcnt(2)
	v_cvt_f32_f16_e32 v23, v23
	s_waitcnt vmcnt(0)
	v_cvt_f32_f16_e32 v22, v26
	v_cvt_f32_f16_e32 v7, v25
	v_add_f32_e32 v6, v6, v23
	v_sub_f32_e32 v8, v22, v8
	v_mul_f32_e32 v30, v30, v23
	v_mul_f32_e32 v8, v8, v7
	v_add_f32_e32 v6, v6, v7
	v_mov_b32_e32 v7, s27
	s_waitcnt lgkmcnt(1)
	v_fmac_f32_e32 v18, v30, v31
	v_addc_co_u32_e32 v5, vcc, v5, v7, vcc
	s_waitcnt lgkmcnt(0)
	v_fmac_f32_e32 v18, v8, v21
	v_add_co_u32_e32 v2, vcc, s4, v2
	v_mov_b32_e32 v7, s20
	v_addc_co_u32_e32 v3, vcc, 0, v3, vcc
	v_mov_b32_e32 v8, s21
	v_cmp_lt_i64_e32 vcc, s[24:25], v[7:8]
	v_mov_b32_e32 v21, s29
	v_addc_co_u32_e64 v20, s[2:3], v20, v21, s[2:3]
	s_cbranch_vccz .LBB79_10
.LBB79_7:                               ; =>This Inner Loop Header: Depth=1
	v_mov_b32_e32 v21, 0
	v_mov_b32_e32 v22, 0
	s_and_saveexec_b64 s[2:3], s[0:1]
	s_cbranch_execz .LBB79_6
; %bb.8:                                ;   in Loop: Header=BB79_7 Depth=1
	v_cmp_gt_i64_e32 vcc, s[20:21], v[2:3]
	v_mov_b32_e32 v22, 0
	v_mov_b32_e32 v21, 0
	s_and_saveexec_b64 s[30:31], vcc
	s_cbranch_execz .LBB79_5
; %bb.9:                                ;   in Loop: Header=BB79_7 Depth=1
	v_mov_b32_e32 v8, s15
	v_add_co_u32_e32 v7, vcc, s14, v4
	v_addc_co_u32_e32 v8, vcc, v8, v5, vcc
	v_mov_b32_e32 v21, s13
	v_add_co_u32_e32 v23, vcc, s12, v4
	v_addc_co_u32_e32 v24, vcc, v21, v5, vcc
	global_load_dword v22, v[23:24], off
	global_load_dword v21, v[7:8], off
	s_branch .LBB79_5
.LBB79_10:
	s_movk_i32 s0, 0x41
	v_mad_u32_u24 v2, v1, s0, v0
	v_lshl_add_u32 v2, v2, 2, 0
	ds_write_b32 v2, v18
	ds_write_b32 v2, v6 offset:4160
	v_lshrrev_b32_e32 v2, 6, v0
	v_add_u32_e32 v2, v2, v1
	v_cmp_gt_u32_e32 vcc, 64, v2
	s_waitcnt lgkmcnt(0)
	s_barrier
	s_and_saveexec_b64 s[0:1], vcc
	s_cbranch_execz .LBB79_42
; %bb.11:
	v_and_b32_e32 v1, 63, v0
	v_cmp_gt_u32_e64 s[0:1], 16, v1
	v_mul_u32_u24_e32 v3, 0x41, v1
                                        ; implicit-def: $vgpr1
                                        ; implicit-def: $vgpr5
	s_and_saveexec_b64 s[2:3], s[0:1]
	s_cbranch_execz .LBB79_13
; %bb.12:
	v_add_u32_e32 v1, v2, v3
	v_lshl_add_u32 v1, v1, 2, 0
	ds_read_b32 v5, v1
	ds_read_b32 v1, v1 offset:4160
.LBB79_13:
	s_or_b64 exec, exec, s[2:3]
	v_mbcnt_hi_u32_b32 v7, -1, v9
	v_and_b32_e32 v4, 64, v7
	v_add_u32_e32 v8, 64, v4
	v_xor_b32_e32 v4, 8, v7
	v_cmp_lt_i32_e32 vcc, v4, v8
	v_cndmask_b32_e32 v4, v7, v4, vcc
	v_lshlrev_b32_e32 v4, 2, v4
	s_waitcnt lgkmcnt(1)
	ds_bpermute_b32 v6, v4, v5
	s_waitcnt lgkmcnt(1)
	ds_bpermute_b32 v9, v4, v1
	v_cmp_eq_u32_e64 s[2:3], 0, v0
	s_mov_b32 s7, 0
	s_lshl_b64 s[4:5], s[6:7], 6
	s_waitcnt lgkmcnt(1)
	v_add_f32_e32 v6, v5, v6
	v_xor_b32_e32 v5, 4, v7
	v_cmp_lt_i32_e32 vcc, v5, v8
	v_cndmask_b32_e32 v5, v7, v5, vcc
	v_lshlrev_b32_e32 v5, 2, v5
	s_waitcnt lgkmcnt(0)
	v_add_f32_e32 v1, v1, v9
	ds_bpermute_b32 v9, v5, v6
	ds_bpermute_b32 v10, v5, v1
	s_cmp_lg_u64 s[16:17], 0
	s_cselect_b64 s[8:9], -1, 0
	s_cmp_lg_u64 s[18:19], 0
	s_waitcnt lgkmcnt(1)
	v_add_f32_e32 v9, v6, v9
	v_xor_b32_e32 v6, 2, v7
	v_cmp_lt_i32_e32 vcc, v6, v8
	v_cndmask_b32_e32 v6, v7, v6, vcc
	v_lshlrev_b32_e32 v6, 2, v6
	s_waitcnt lgkmcnt(0)
	v_add_f32_e32 v1, v1, v10
	ds_bpermute_b32 v10, v6, v9
	ds_bpermute_b32 v11, v6, v1
	s_cselect_b64 s[6:7], -1, 0
	s_waitcnt lgkmcnt(1)
	v_add_f32_e32 v0, v9, v10
	v_xor_b32_e32 v9, 1, v7
	v_cmp_lt_i32_e32 vcc, v9, v8
	v_cndmask_b32_e32 v7, v7, v9, vcc
	s_waitcnt lgkmcnt(0)
	v_add_f32_e32 v1, v1, v11
	v_lshlrev_b32_e32 v7, 2, v7
	ds_bpermute_b32 v8, v7, v0
	ds_bpermute_b32 v9, v7, v1
	s_waitcnt lgkmcnt(1)
	v_add_f32_e32 v8, v0, v8
	s_waitcnt lgkmcnt(0)
	v_add_f32_e32 v9, v1, v9
	s_and_saveexec_b64 s[10:11], s[2:3]
	s_cbranch_execz .LBB79_18
; %bb.14:
	v_mov_b32_e32 v1, s5
	v_or_b32_e32 v0, s4, v2
	v_lshlrev_b64 v[0:1], 1, v[0:1]
	s_andn2_b64 vcc, exec, s[8:9]
	s_cbranch_vccnz .LBB79_16
; %bb.15:
	v_cvt_f16_f32_e32 v12, v8
	v_mov_b32_e32 v11, s17
	v_add_co_u32_e32 v10, vcc, s16, v0
	v_addc_co_u32_e32 v11, vcc, v11, v1, vcc
	global_store_short v[10:11], v12, off
.LBB79_16:
	s_andn2_b64 vcc, exec, s[6:7]
	s_cbranch_vccnz .LBB79_18
; %bb.17:
	v_cvt_f16_f32_e32 v11, v9
	v_mov_b32_e32 v10, s19
	v_add_co_u32_e32 v0, vcc, s18, v0
	v_addc_co_u32_e32 v1, vcc, v10, v1, vcc
	global_store_short v[0:1], v11, off
.LBB79_18:
	s_or_b64 exec, exec, s[10:11]
	v_cmp_gt_u32_e32 vcc, 48, v2
	s_and_b64 exec, exec, vcc
	s_cbranch_execz .LBB79_42
; %bb.19:
	s_and_saveexec_b64 s[10:11], s[0:1]
	s_cbranch_execz .LBB79_21
; %bb.20:
	v_add_u32_e32 v0, v2, v3
	v_lshl_add_u32 v0, v0, 2, 0
	ds_read_b32 v8, v0 offset:64
	ds_read_b32 v9, v0 offset:4224
.LBB79_21:
	s_or_b64 exec, exec, s[10:11]
	s_waitcnt lgkmcnt(1)
	ds_bpermute_b32 v0, v4, v8
	s_waitcnt lgkmcnt(1)
	ds_bpermute_b32 v1, v4, v9
	s_waitcnt lgkmcnt(1)
	v_add_f32_e32 v0, v8, v0
	s_waitcnt lgkmcnt(0)
	v_add_f32_e32 v1, v9, v1
	ds_bpermute_b32 v8, v5, v0
	ds_bpermute_b32 v9, v5, v1
	s_waitcnt lgkmcnt(1)
	v_add_f32_e32 v0, v0, v8
	s_waitcnt lgkmcnt(0)
	v_add_f32_e32 v1, v1, v9
	ds_bpermute_b32 v8, v6, v0
	;; [unrolled: 6-line block ×3, first 2 shown]
	ds_bpermute_b32 v9, v7, v1
	s_waitcnt lgkmcnt(1)
	v_add_f32_e32 v0, v0, v8
	s_waitcnt lgkmcnt(0)
	v_add_f32_e32 v1, v1, v9
	s_and_saveexec_b64 s[10:11], s[2:3]
	s_cbranch_execz .LBB79_26
; %bb.22:
	s_andn2_b64 vcc, exec, s[8:9]
	s_cbranch_vccnz .LBB79_24
; %bb.23:
	v_mov_b32_e32 v9, s5
	v_add_co_u32_e32 v8, vcc, s4, v2
	v_addc_co_u32_e32 v9, vcc, 0, v9, vcc
	v_lshlrev_b64 v[8:9], 1, v[8:9]
	v_cvt_f16_f32_e32 v11, v0
	v_mov_b32_e32 v10, s17
	v_add_co_u32_e32 v8, vcc, s16, v8
	v_addc_co_u32_e32 v9, vcc, v10, v9, vcc
	global_store_short v[8:9], v11, off offset:32
.LBB79_24:
	s_andn2_b64 vcc, exec, s[6:7]
	s_cbranch_vccnz .LBB79_26
; %bb.25:
	v_mov_b32_e32 v9, s5
	v_add_co_u32_e32 v8, vcc, s4, v2
	v_addc_co_u32_e32 v9, vcc, 0, v9, vcc
	v_lshlrev_b64 v[8:9], 1, v[8:9]
	v_cvt_f16_f32_e32 v11, v1
	v_mov_b32_e32 v10, s19
	v_add_co_u32_e32 v8, vcc, s18, v8
	v_addc_co_u32_e32 v9, vcc, v10, v9, vcc
	global_store_short v[8:9], v11, off offset:32
.LBB79_26:
	s_or_b64 exec, exec, s[10:11]
	v_cmp_gt_u32_e32 vcc, 32, v2
	s_and_b64 exec, exec, vcc
	s_cbranch_execz .LBB79_42
; %bb.27:
	s_and_saveexec_b64 s[10:11], s[0:1]
	s_cbranch_execz .LBB79_29
; %bb.28:
	v_add_u32_e32 v0, v2, v3
	v_lshl_add_u32 v1, v0, 2, 0
	ds_read_b32 v0, v1 offset:128
	ds_read_b32 v1, v1 offset:4288
.LBB79_29:
	s_or_b64 exec, exec, s[10:11]
	s_waitcnt lgkmcnt(1)
	ds_bpermute_b32 v8, v4, v0
	s_waitcnt lgkmcnt(1)
	ds_bpermute_b32 v9, v4, v1
	s_waitcnt lgkmcnt(1)
	v_add_f32_e32 v0, v0, v8
	s_waitcnt lgkmcnt(0)
	v_add_f32_e32 v1, v1, v9
	ds_bpermute_b32 v8, v5, v0
	ds_bpermute_b32 v9, v5, v1
	s_waitcnt lgkmcnt(1)
	v_add_f32_e32 v0, v0, v8
	s_waitcnt lgkmcnt(0)
	v_add_f32_e32 v1, v1, v9
	ds_bpermute_b32 v8, v6, v0
	;; [unrolled: 6-line block ×3, first 2 shown]
	ds_bpermute_b32 v9, v7, v1
	s_waitcnt lgkmcnt(1)
	v_add_f32_e32 v0, v0, v8
	s_waitcnt lgkmcnt(0)
	v_add_f32_e32 v1, v1, v9
	s_and_saveexec_b64 s[10:11], s[2:3]
	s_cbranch_execz .LBB79_34
; %bb.30:
	s_andn2_b64 vcc, exec, s[8:9]
	s_cbranch_vccnz .LBB79_32
; %bb.31:
	v_mov_b32_e32 v9, s5
	v_add_co_u32_e32 v8, vcc, s4, v2
	v_addc_co_u32_e32 v9, vcc, 0, v9, vcc
	v_lshlrev_b64 v[8:9], 1, v[8:9]
	v_cvt_f16_f32_e32 v11, v0
	v_mov_b32_e32 v10, s17
	v_add_co_u32_e32 v8, vcc, s16, v8
	v_addc_co_u32_e32 v9, vcc, v10, v9, vcc
	global_store_short v[8:9], v11, off offset:64
.LBB79_32:
	s_andn2_b64 vcc, exec, s[6:7]
	s_cbranch_vccnz .LBB79_34
; %bb.33:
	v_mov_b32_e32 v9, s5
	v_add_co_u32_e32 v8, vcc, s4, v2
	v_addc_co_u32_e32 v9, vcc, 0, v9, vcc
	v_lshlrev_b64 v[8:9], 1, v[8:9]
	v_cvt_f16_f32_e32 v11, v1
	v_mov_b32_e32 v10, s19
	v_add_co_u32_e32 v8, vcc, s18, v8
	v_addc_co_u32_e32 v9, vcc, v10, v9, vcc
	global_store_short v[8:9], v11, off offset:64
.LBB79_34:
	s_or_b64 exec, exec, s[10:11]
	v_cmp_gt_u32_e32 vcc, 16, v2
	s_and_b64 exec, exec, vcc
	s_cbranch_execz .LBB79_42
; %bb.35:
	s_and_saveexec_b64 s[10:11], s[0:1]
	s_cbranch_execz .LBB79_37
; %bb.36:
	v_add_u32_e32 v0, v2, v3
	v_lshl_add_u32 v1, v0, 2, 0
	ds_read_b32 v0, v1 offset:192
	ds_read_b32 v1, v1 offset:4352
.LBB79_37:
	s_or_b64 exec, exec, s[10:11]
	s_waitcnt lgkmcnt(1)
	ds_bpermute_b32 v3, v4, v0
	s_waitcnt lgkmcnt(1)
	ds_bpermute_b32 v4, v4, v1
	s_waitcnt lgkmcnt(1)
	v_add_f32_e32 v0, v0, v3
	s_waitcnt lgkmcnt(0)
	v_add_f32_e32 v1, v1, v4
	ds_bpermute_b32 v3, v5, v0
	ds_bpermute_b32 v4, v5, v1
	s_waitcnt lgkmcnt(1)
	v_add_f32_e32 v0, v0, v3
	s_waitcnt lgkmcnt(0)
	v_add_f32_e32 v1, v1, v4
	ds_bpermute_b32 v3, v6, v0
	;; [unrolled: 6-line block ×3, first 2 shown]
	ds_bpermute_b32 v1, v7, v0
	s_and_b64 exec, exec, s[2:3]
	s_cbranch_execz .LBB79_42
; %bb.38:
	s_andn2_b64 vcc, exec, s[8:9]
	s_cbranch_vccnz .LBB79_40
; %bb.39:
	s_waitcnt lgkmcnt(1)
	v_add_f32_e32 v5, v3, v4
	v_mov_b32_e32 v4, s5
	v_add_co_u32_e32 v3, vcc, s4, v2
	v_addc_co_u32_e32 v4, vcc, 0, v4, vcc
	v_lshlrev_b64 v[3:4], 1, v[3:4]
	v_cvt_f16_f32_e32 v5, v5
	v_mov_b32_e32 v6, s17
	v_add_co_u32_e32 v3, vcc, s16, v3
	v_addc_co_u32_e32 v4, vcc, v6, v4, vcc
	global_store_short v[3:4], v5, off offset:96
.LBB79_40:
	s_andn2_b64 vcc, exec, s[6:7]
	s_cbranch_vccnz .LBB79_42
; %bb.41:
	s_waitcnt lgkmcnt(0)
	v_add_f32_e32 v3, v0, v1
	v_mov_b32_e32 v1, s5
	v_add_co_u32_e32 v0, vcc, s4, v2
	v_addc_co_u32_e32 v1, vcc, 0, v1, vcc
	v_lshlrev_b64 v[0:1], 1, v[0:1]
	v_cvt_f16_f32_e32 v3, v3
	v_mov_b32_e32 v2, s19
	v_add_co_u32_e32 v0, vcc, s18, v0
	v_addc_co_u32_e32 v1, vcc, v2, v1, vcc
	global_store_short v[0:1], v3, off offset:96
.LBB79_42:
	s_endpgm
	.section	.rodata,"a",@progbits
	.p2align	6, 0x0
	.amdhsa_kernel _ZN2at6native12_GLOBAL__N_135GammaBetaBackwardCUDAKernelTemplateIN3c104HalfEfLj64ELj16ELj128ELb0ELb1ELb0EEEvllPKT_S7_PKT0_SA_PS5_SB_
		.amdhsa_group_segment_fixed_size 0
		.amdhsa_private_segment_fixed_size 0
		.amdhsa_kernarg_size 320
		.amdhsa_user_sgpr_count 6
		.amdhsa_user_sgpr_private_segment_buffer 1
		.amdhsa_user_sgpr_dispatch_ptr 0
		.amdhsa_user_sgpr_queue_ptr 0
		.amdhsa_user_sgpr_kernarg_segment_ptr 1
		.amdhsa_user_sgpr_dispatch_id 0
		.amdhsa_user_sgpr_flat_scratch_init 0
		.amdhsa_user_sgpr_private_segment_size 0
		.amdhsa_uses_dynamic_stack 0
		.amdhsa_system_sgpr_private_segment_wavefront_offset 0
		.amdhsa_system_sgpr_workgroup_id_x 1
		.amdhsa_system_sgpr_workgroup_id_y 1
		.amdhsa_system_sgpr_workgroup_id_z 0
		.amdhsa_system_sgpr_workgroup_info 0
		.amdhsa_system_vgpr_workitem_id 1
		.amdhsa_next_free_vgpr 34
		.amdhsa_next_free_sgpr 32
		.amdhsa_reserve_vcc 1
		.amdhsa_reserve_flat_scratch 0
		.amdhsa_float_round_mode_32 0
		.amdhsa_float_round_mode_16_64 0
		.amdhsa_float_denorm_mode_32 3
		.amdhsa_float_denorm_mode_16_64 3
		.amdhsa_dx10_clamp 1
		.amdhsa_ieee_mode 1
		.amdhsa_fp16_overflow 0
		.amdhsa_exception_fp_ieee_invalid_op 0
		.amdhsa_exception_fp_denorm_src 0
		.amdhsa_exception_fp_ieee_div_zero 0
		.amdhsa_exception_fp_ieee_overflow 0
		.amdhsa_exception_fp_ieee_underflow 0
		.amdhsa_exception_fp_ieee_inexact 0
		.amdhsa_exception_int_div_zero 0
	.end_amdhsa_kernel
	.section	.text._ZN2at6native12_GLOBAL__N_135GammaBetaBackwardCUDAKernelTemplateIN3c104HalfEfLj64ELj16ELj128ELb0ELb1ELb0EEEvllPKT_S7_PKT0_SA_PS5_SB_,"axG",@progbits,_ZN2at6native12_GLOBAL__N_135GammaBetaBackwardCUDAKernelTemplateIN3c104HalfEfLj64ELj16ELj128ELb0ELb1ELb0EEEvllPKT_S7_PKT0_SA_PS5_SB_,comdat
.Lfunc_end79:
	.size	_ZN2at6native12_GLOBAL__N_135GammaBetaBackwardCUDAKernelTemplateIN3c104HalfEfLj64ELj16ELj128ELb0ELb1ELb0EEEvllPKT_S7_PKT0_SA_PS5_SB_, .Lfunc_end79-_ZN2at6native12_GLOBAL__N_135GammaBetaBackwardCUDAKernelTemplateIN3c104HalfEfLj64ELj16ELj128ELb0ELb1ELb0EEEvllPKT_S7_PKT0_SA_PS5_SB_
                                        ; -- End function
	.set _ZN2at6native12_GLOBAL__N_135GammaBetaBackwardCUDAKernelTemplateIN3c104HalfEfLj64ELj16ELj128ELb0ELb1ELb0EEEvllPKT_S7_PKT0_SA_PS5_SB_.num_vgpr, 34
	.set _ZN2at6native12_GLOBAL__N_135GammaBetaBackwardCUDAKernelTemplateIN3c104HalfEfLj64ELj16ELj128ELb0ELb1ELb0EEEvllPKT_S7_PKT0_SA_PS5_SB_.num_agpr, 0
	.set _ZN2at6native12_GLOBAL__N_135GammaBetaBackwardCUDAKernelTemplateIN3c104HalfEfLj64ELj16ELj128ELb0ELb1ELb0EEEvllPKT_S7_PKT0_SA_PS5_SB_.numbered_sgpr, 32
	.set _ZN2at6native12_GLOBAL__N_135GammaBetaBackwardCUDAKernelTemplateIN3c104HalfEfLj64ELj16ELj128ELb0ELb1ELb0EEEvllPKT_S7_PKT0_SA_PS5_SB_.num_named_barrier, 0
	.set _ZN2at6native12_GLOBAL__N_135GammaBetaBackwardCUDAKernelTemplateIN3c104HalfEfLj64ELj16ELj128ELb0ELb1ELb0EEEvllPKT_S7_PKT0_SA_PS5_SB_.private_seg_size, 0
	.set _ZN2at6native12_GLOBAL__N_135GammaBetaBackwardCUDAKernelTemplateIN3c104HalfEfLj64ELj16ELj128ELb0ELb1ELb0EEEvllPKT_S7_PKT0_SA_PS5_SB_.uses_vcc, 1
	.set _ZN2at6native12_GLOBAL__N_135GammaBetaBackwardCUDAKernelTemplateIN3c104HalfEfLj64ELj16ELj128ELb0ELb1ELb0EEEvllPKT_S7_PKT0_SA_PS5_SB_.uses_flat_scratch, 0
	.set _ZN2at6native12_GLOBAL__N_135GammaBetaBackwardCUDAKernelTemplateIN3c104HalfEfLj64ELj16ELj128ELb0ELb1ELb0EEEvllPKT_S7_PKT0_SA_PS5_SB_.has_dyn_sized_stack, 0
	.set _ZN2at6native12_GLOBAL__N_135GammaBetaBackwardCUDAKernelTemplateIN3c104HalfEfLj64ELj16ELj128ELb0ELb1ELb0EEEvllPKT_S7_PKT0_SA_PS5_SB_.has_recursion, 0
	.set _ZN2at6native12_GLOBAL__N_135GammaBetaBackwardCUDAKernelTemplateIN3c104HalfEfLj64ELj16ELj128ELb0ELb1ELb0EEEvllPKT_S7_PKT0_SA_PS5_SB_.has_indirect_call, 0
	.section	.AMDGPU.csdata,"",@progbits
; Kernel info:
; codeLenInByte = 2568
; TotalNumSgprs: 36
; NumVgprs: 34
; ScratchSize: 0
; MemoryBound: 0
; FloatMode: 240
; IeeeMode: 1
; LDSByteSize: 0 bytes/workgroup (compile time only)
; SGPRBlocks: 4
; VGPRBlocks: 8
; NumSGPRsForWavesPerEU: 36
; NumVGPRsForWavesPerEU: 34
; Occupancy: 7
; WaveLimiterHint : 0
; COMPUTE_PGM_RSRC2:SCRATCH_EN: 0
; COMPUTE_PGM_RSRC2:USER_SGPR: 6
; COMPUTE_PGM_RSRC2:TRAP_HANDLER: 0
; COMPUTE_PGM_RSRC2:TGID_X_EN: 1
; COMPUTE_PGM_RSRC2:TGID_Y_EN: 1
; COMPUTE_PGM_RSRC2:TGID_Z_EN: 0
; COMPUTE_PGM_RSRC2:TIDIG_COMP_CNT: 1
	.section	.text._ZN2at6native12_GLOBAL__N_135GammaBetaBackwardCUDAKernelTemplateIN3c104HalfEfLj64ELj16ELj128ELb0ELb0ELb0EEEvllPKT_S7_PKT0_SA_PS5_SB_,"axG",@progbits,_ZN2at6native12_GLOBAL__N_135GammaBetaBackwardCUDAKernelTemplateIN3c104HalfEfLj64ELj16ELj128ELb0ELb0ELb0EEEvllPKT_S7_PKT0_SA_PS5_SB_,comdat
	.globl	_ZN2at6native12_GLOBAL__N_135GammaBetaBackwardCUDAKernelTemplateIN3c104HalfEfLj64ELj16ELj128ELb0ELb0ELb0EEEvllPKT_S7_PKT0_SA_PS5_SB_ ; -- Begin function _ZN2at6native12_GLOBAL__N_135GammaBetaBackwardCUDAKernelTemplateIN3c104HalfEfLj64ELj16ELj128ELb0ELb0ELb0EEEvllPKT_S7_PKT0_SA_PS5_SB_
	.p2align	8
	.type	_ZN2at6native12_GLOBAL__N_135GammaBetaBackwardCUDAKernelTemplateIN3c104HalfEfLj64ELj16ELj128ELb0ELb0ELb0EEEvllPKT_S7_PKT0_SA_PS5_SB_,@function
_ZN2at6native12_GLOBAL__N_135GammaBetaBackwardCUDAKernelTemplateIN3c104HalfEfLj64ELj16ELj128ELb0ELb0ELb0EEEvllPKT_S7_PKT0_SA_PS5_SB_: ; @_ZN2at6native12_GLOBAL__N_135GammaBetaBackwardCUDAKernelTemplateIN3c104HalfEfLj64ELj16ELj128ELb0ELb0ELb0EEEvllPKT_S7_PKT0_SA_PS5_SB_
; %bb.0:
	s_mov_b64 s[38:39], s[2:3]
	s_mov_b64 s[36:37], s[0:1]
	s_add_u32 s36, s36, s8
	s_load_dwordx8 s[12:19], s[4:5], 0x0
	s_load_dwordx4 s[20:23], s[4:5], 0x20
	s_addc_u32 s37, s37, 0
	s_lshl_b32 s24, s7, 7
	s_lshl_b32 s33, s6, 6
	s_mov_b32 s25, 0
	v_mov_b32_e32 v2, s24
	s_or_b32 s0, s33, 63
	v_mov_b32_e32 v3, s25
	v_mov_b32_e32 v10, s0
	;; [unrolled: 1-line block ×3, first 2 shown]
	s_waitcnt lgkmcnt(0)
	v_cmp_gt_i64_e64 s[0:1], s[12:13], v[2:3]
	v_cmp_le_i64_e32 vcc, s[14:15], v[10:11]
	v_mov_b32_e32 v61, v0
	v_cndmask_b32_e64 v0, 0, 1, s[0:1]
	v_cmp_ne_u32_e64 s[0:1], 1, v0
	s_cbranch_vccz .LBB80_49
; %bb.1:
	s_and_b64 vcc, exec, s[0:1]
	v_mov_b32_e32 v60, 0
	s_cbranch_vccnz .LBB80_50
; %bb.2:
	v_lshlrev_b32_e32 v0, 3, v1
	v_add_co_u32_e32 v5, vcc, s24, v0
	v_addc_co_u32_e64 v6, s[2:3], 0, 0, vcc
	v_mul_lo_u32 v10, s15, v5
	v_mul_lo_u32 v9, s14, v6
	v_mad_u64_u32 v[3:4], s[2:3], s14, v5, 0
	v_mov_b32_e32 v2, 0
	s_load_dword s7, s[4:5], 0x44
	v_add_u32_e32 v7, s33, v61
	v_mov_b32_e32 v8, v2
	v_add3_u32 v4, v4, v9, v10
	v_cmp_gt_i64_e64 s[2:3], s[14:15], v[7:8]
	v_lshlrev_b64 v[19:20], 1, v[7:8]
	v_lshlrev_b64 v[7:8], 1, v[3:4]
	s_add_u32 s10, s4, 64
	v_mov_b32_e32 v9, s17
	v_add_co_u32_e32 v62, vcc, s16, v7
	s_addc_u32 s11, s5, 0
	s_waitcnt lgkmcnt(0)
	s_lshl_b32 s7, s7, 7
	v_addc_co_u32_e32 v21, vcc, v9, v8, vcc
	s_mul_i32 s8, s15, s7
	s_mul_hi_u32 s9, s14, s7
	v_add_co_u32_e32 v9, vcc, 7, v5
	s_add_i32 s9, s9, s8
	s_mul_i32 s8, s14, s7
	v_addc_co_u32_e32 v10, vcc, 0, v6, vcc
	s_lshl_b64 s[26:27], s[8:9], 1
	v_mul_lo_u32 v12, s15, v9
	v_mul_lo_u32 v13, s14, v10
	v_mad_u64_u32 v[9:10], s[8:9], s14, v9, 0
	v_mov_b32_e32 v11, s19
	v_add_co_u32_e32 v22, vcc, s18, v7
	v_add3_u32 v10, v10, v13, v12
	v_addc_co_u32_e32 v23, vcc, v11, v8, vcc
	v_lshlrev_b64 v[7:8], 1, v[9:10]
	v_mov_b32_e32 v9, s17
	v_add_co_u32_e32 v24, vcc, s16, v7
	v_addc_co_u32_e32 v25, vcc, v9, v8, vcc
	v_add_co_u32_e32 v9, vcc, 6, v5
	v_addc_co_u32_e32 v10, vcc, 0, v6, vcc
	v_mul_lo_u32 v12, s15, v9
	v_mul_lo_u32 v13, s14, v10
	v_mad_u64_u32 v[9:10], s[8:9], s14, v9, 0
	v_add_co_u32_e32 v26, vcc, s18, v7
	v_add3_u32 v10, v10, v13, v12
	v_addc_co_u32_e32 v27, vcc, v11, v8, vcc
	v_lshlrev_b64 v[7:8], 1, v[9:10]
	v_mov_b32_e32 v9, s17
	v_add_co_u32_e32 v28, vcc, s16, v7
	v_addc_co_u32_e32 v29, vcc, v9, v8, vcc
	v_add_co_u32_e32 v9, vcc, 5, v5
	v_addc_co_u32_e32 v10, vcc, 0, v6, vcc
	v_mul_lo_u32 v12, s15, v9
	v_mul_lo_u32 v13, s14, v10
	v_mad_u64_u32 v[9:10], s[8:9], s14, v9, 0
	;; [unrolled: 12-line block ×5, first 2 shown]
	v_mov_b32_e32 v9, s19
	v_add_co_u32_e32 v42, vcc, s18, v7
	v_add3_u32 v6, v6, v11, v10
	v_lshlrev_b64 v[5:6], 1, v[5:6]
	v_addc_co_u32_e32 v43, vcc, v9, v8, vcc
	v_mov_b32_e32 v7, s17
	v_add_co_u32_e32 v44, vcc, s16, v5
	v_addc_co_u32_e32 v45, vcc, v7, v6, vcc
	v_mov_b32_e32 v7, s19
	v_add_co_u32_e32 v46, vcc, s18, v5
	;; [unrolled: 3-line block ×3, first 2 shown]
	v_addc_co_u32_e32 v4, vcc, v4, v5, vcc
	v_lshlrev_b64 v[3:4], 1, v[3:4]
	v_mov_b32_e32 v5, s17
	v_add_co_u32_e32 v48, vcc, s16, v3
	v_addc_co_u32_e32 v49, vcc, v5, v4, vcc
	v_add_co_u32_e32 v50, vcc, s18, v3
	v_mbcnt_lo_u32_b32 v3, -1, 0
	v_mbcnt_hi_u32_b32 v3, -1, v3
	v_mov_b32_e32 v5, s19
	s_add_u32 s28, s24, 0x7f
	v_lshlrev_b32_e32 v3, 2, v3
	v_addc_co_u32_e32 v51, vcc, v5, v4, vcc
	s_addc_u32 s29, 0, 0
	v_and_b32_e32 v52, 0x100, v3
	v_mov_b32_e32 v60, 0
	v_mov_b32_e32 v53, 0
	s_mov_b64 s[30:31], s[24:25]
.LBB80_3:                               ; =>This Inner Loop Header: Depth=1
	v_mov_b32_e32 v3, s12
	v_mov_b32_e32 v4, s13
	v_cmp_ge_i64_e32 vcc, s[28:29], v[3:4]
	v_mov_b32_e32 v3, s29
	v_add_co_u32_e64 v54, s[8:9], s28, v0
	v_addc_co_u32_e64 v55, s[8:9], 0, v3, s[8:9]
	s_mov_b64 s[8:9], -1
	s_and_b64 vcc, exec, vcc
                                        ; implicit-def: $vgpr11_vgpr12_vgpr13_vgpr14_vgpr15_vgpr16_vgpr17_vgpr18
                                        ; implicit-def: $vgpr3_vgpr4_vgpr5_vgpr6_vgpr7_vgpr8_vgpr9_vgpr10
                                        ; implicit-def: $vgpr56
                                        ; implicit-def: $vgpr4
                                        ; implicit-def: $vgpr11
                                        ; implicit-def: $vgpr3
	s_cbranch_vccz .LBB80_25
; %bb.4:                                ;   in Loop: Header=BB80_3 Depth=1
	s_load_dword s8, s[10:11], 0xc
	v_mov_b32_e32 v56, 0
	v_mov_b32_e32 v57, 0
	s_waitcnt lgkmcnt(0)
	s_and_b32 s8, s8, 0xffff
	v_mad_u32_u24 v3, v1, s8, v61
	v_and_b32_e32 v3, 63, v3
	v_cmp_gt_u32_e32 vcc, 8, v3
	s_and_saveexec_b64 s[8:9], vcc
	s_cbranch_execz .LBB80_8
; %bb.5:                                ;   in Loop: Header=BB80_3 Depth=1
	v_add_co_u32_e32 v3, vcc, v54, v3
	v_addc_co_u32_e32 v4, vcc, 0, v55, vcc
	v_add_co_u32_e32 v3, vcc, 0xffffff81, v3
	v_addc_co_u32_e32 v4, vcc, -1, v4, vcc
	v_cmp_gt_i64_e32 vcc, s[12:13], v[3:4]
	v_mov_b32_e32 v57, 0
	v_mov_b32_e32 v56, 0
	s_and_saveexec_b64 s[34:35], vcc
	s_cbranch_execz .LBB80_7
; %bb.6:                                ;   in Loop: Header=BB80_3 Depth=1
	v_lshlrev_b64 v[3:4], 2, v[3:4]
	v_mov_b32_e32 v6, s23
	v_add_co_u32_e32 v5, vcc, s22, v3
	v_addc_co_u32_e32 v6, vcc, v6, v4, vcc
	v_mov_b32_e32 v7, s21
	v_add_co_u32_e32 v3, vcc, s20, v3
	v_addc_co_u32_e32 v4, vcc, v7, v4, vcc
	global_load_dword v57, v[3:4], off
	global_load_dword v56, v[5:6], off
.LBB80_7:                               ;   in Loop: Header=BB80_3 Depth=1
	s_or_b64 exec, exec, s[34:35]
.LBB80_8:                               ;   in Loop: Header=BB80_3 Depth=1
	s_or_b64 exec, exec, s[8:9]
	v_add_co_u32_e32 v3, vcc, 0xffffff81, v54
	v_addc_co_u32_e32 v4, vcc, -1, v55, vcc
	v_mov_b32_e32 v9, v2
	v_cmp_gt_i64_e32 vcc, s[12:13], v[3:4]
	v_mov_b32_e32 v3, v2
	v_mov_b32_e32 v4, v2
	;; [unrolled: 1-line block ×15, first 2 shown]
	s_and_b64 s[34:35], s[2:3], vcc
	v_mov_b32_e32 v9, v8
	v_mov_b32_e32 v8, v7
	v_mov_b32_e32 v7, v6
	v_mov_b32_e32 v6, v5
	v_mov_b32_e32 v5, v4
	v_mov_b32_e32 v4, v3
	v_mov_b32_e32 v3, v2
	s_and_saveexec_b64 s[8:9], s[34:35]
	s_cbranch_execz .LBB80_10
; %bb.9:                                ;   in Loop: Header=BB80_3 Depth=1
	v_add_co_u32_e32 v3, vcc, v62, v19
	v_addc_co_u32_e32 v4, vcc, v21, v20, vcc
	global_load_ushort v11, v[3:4], off
	v_add_co_u32_e32 v3, vcc, v22, v19
	v_addc_co_u32_e32 v4, vcc, v23, v20, vcc
	global_load_ushort v15, v[3:4], off
	v_mov_b32_e32 v4, v2
	v_mov_b32_e32 v5, v2
	;; [unrolled: 1-line block ×13, first 2 shown]
	s_waitcnt vmcnt(1)
	v_cvt_f32_f16_e32 v3, v11
	s_waitcnt vmcnt(0)
	v_cvt_f32_f16_e32 v11, v15
	v_mov_b32_e32 v15, v2
.LBB80_10:                              ;   in Loop: Header=BB80_3 Depth=1
	s_or_b64 exec, exec, s[8:9]
	v_add_co_u32_e32 v58, vcc, 0xffffff82, v54
	v_addc_co_u32_e32 v59, vcc, -1, v55, vcc
	v_cmp_gt_i64_e32 vcc, s[12:13], v[58:59]
	s_and_b64 s[34:35], s[2:3], vcc
	s_and_saveexec_b64 s[8:9], s[34:35]
	s_cbranch_execz .LBB80_12
; %bb.11:                               ;   in Loop: Header=BB80_3 Depth=1
	v_add_co_u32_e32 v58, vcc, v48, v19
	v_addc_co_u32_e32 v59, vcc, v49, v20, vcc
	global_load_ushort v4, v[58:59], off
	v_add_co_u32_e32 v58, vcc, v50, v19
	v_addc_co_u32_e32 v59, vcc, v51, v20, vcc
	global_load_ushort v12, v[58:59], off
	s_waitcnt vmcnt(1)
	v_cvt_f32_f16_e32 v4, v4
	s_waitcnt vmcnt(0)
	v_cvt_f32_f16_e32 v12, v12
.LBB80_12:                              ;   in Loop: Header=BB80_3 Depth=1
	s_or_b64 exec, exec, s[8:9]
	v_add_co_u32_e32 v58, vcc, 0xffffff83, v54
	v_addc_co_u32_e32 v59, vcc, -1, v55, vcc
	v_cmp_gt_i64_e32 vcc, s[12:13], v[58:59]
	s_and_b64 s[34:35], s[2:3], vcc
	s_and_saveexec_b64 s[8:9], s[34:35]
	s_cbranch_execz .LBB80_14
; %bb.13:                               ;   in Loop: Header=BB80_3 Depth=1
	v_add_co_u32_e32 v58, vcc, v44, v19
	v_addc_co_u32_e32 v59, vcc, v45, v20, vcc
	global_load_ushort v5, v[58:59], off
	v_add_co_u32_e32 v58, vcc, v46, v19
	v_addc_co_u32_e32 v59, vcc, v47, v20, vcc
	global_load_ushort v13, v[58:59], off
	s_waitcnt vmcnt(1)
	v_cvt_f32_f16_e32 v5, v5
	s_waitcnt vmcnt(0)
	v_cvt_f32_f16_e32 v13, v13
.LBB80_14:                              ;   in Loop: Header=BB80_3 Depth=1
	;; [unrolled: 19-line block ×7, first 2 shown]
	s_or_b64 exec, exec, s[8:9]
	s_waitcnt vmcnt(1)
	ds_bpermute_b32 v59, v52, v57
	s_waitcnt vmcnt(0)
	ds_bpermute_b32 v58, v52, v56
	s_mov_b64 s[8:9], 0
	s_waitcnt lgkmcnt(1)
	v_sub_f32_e32 v11, v11, v59
	ds_bpermute_b32 v59, v52, v57 offset:4
	v_mul_f32_e32 v11, v3, v11
	s_waitcnt lgkmcnt(1)
	v_fma_f32 v11, v11, v58, v53
	ds_bpermute_b32 v58, v52, v56 offset:4
	v_add_f32_e32 v3, v60, v3
	s_waitcnt lgkmcnt(1)
	v_sub_f32_e32 v12, v12, v59
	v_mul_f32_e32 v12, v4, v12
	v_add_f32_e32 v3, v4, v3
	s_waitcnt lgkmcnt(0)
	v_fmac_f32_e32 v11, v12, v58
	ds_bpermute_b32 v12, v52, v57 offset:8
	ds_bpermute_b32 v4, v52, v56 offset:8
	v_add_f32_e32 v3, v5, v3
	v_add_f32_e32 v3, v6, v3
	;; [unrolled: 1-line block ×3, first 2 shown]
	s_waitcnt lgkmcnt(1)
	v_sub_f32_e32 v12, v13, v12
	v_mul_f32_e32 v12, v5, v12
	ds_bpermute_b32 v5, v52, v57 offset:12
	s_waitcnt lgkmcnt(1)
	v_fmac_f32_e32 v11, v12, v4
	ds_bpermute_b32 v4, v52, v56 offset:12
	v_add_f32_e32 v3, v8, v3
	v_add_f32_e32 v3, v9, v3
	s_waitcnt lgkmcnt(1)
	v_sub_f32_e32 v5, v14, v5
	v_mul_f32_e32 v5, v6, v5
	s_waitcnt lgkmcnt(0)
	v_fmac_f32_e32 v11, v5, v4
	ds_bpermute_b32 v5, v52, v57 offset:16
	ds_bpermute_b32 v4, v52, v56 offset:16
	s_waitcnt lgkmcnt(1)
	v_sub_f32_e32 v5, v15, v5
	v_mul_f32_e32 v5, v7, v5
	s_waitcnt lgkmcnt(0)
	v_fmac_f32_e32 v11, v5, v4
	ds_bpermute_b32 v5, v52, v57 offset:20
	ds_bpermute_b32 v4, v52, v56 offset:20
	s_waitcnt lgkmcnt(1)
	v_sub_f32_e32 v5, v16, v5
	v_mul_f32_e32 v5, v8, v5
	s_waitcnt lgkmcnt(0)
	v_fmac_f32_e32 v11, v5, v4
	ds_bpermute_b32 v5, v52, v57 offset:24
	ds_bpermute_b32 v4, v52, v56 offset:24
	ds_bpermute_b32 v56, v52, v56 offset:28
	s_waitcnt lgkmcnt(2)
	v_sub_f32_e32 v5, v17, v5
	v_mul_f32_e32 v5, v9, v5
	s_waitcnt lgkmcnt(1)
	v_fmac_f32_e32 v11, v5, v4
	ds_bpermute_b32 v4, v52, v57 offset:28
.LBB80_25:                              ;   in Loop: Header=BB80_3 Depth=1
	s_and_b64 vcc, exec, s[8:9]
	s_cbranch_vccz .LBB80_40
; %bb.26:                               ;   in Loop: Header=BB80_3 Depth=1
	s_load_dword s8, s[10:11], 0x0
	s_waitcnt lgkmcnt(0)
	v_mov_b32_e32 v56, 0
	v_mov_b32_e32 v57, 0
	s_cmp_lt_u32 s6, s8
	s_cselect_b32 s8, 12, 18
	s_add_u32 s8, s10, s8
	s_addc_u32 s9, s11, 0
	global_load_ushort v3, v2, s[8:9]
	s_waitcnt vmcnt(0)
	v_mad_u32_u24 v3, v1, v3, v61
	v_and_b32_e32 v3, 63, v3
	v_cmp_gt_u32_e32 vcc, 8, v3
	s_and_saveexec_b64 s[8:9], vcc
	s_cbranch_execz .LBB80_30
; %bb.27:                               ;   in Loop: Header=BB80_3 Depth=1
	v_add_co_u32_e32 v3, vcc, v54, v3
	v_addc_co_u32_e32 v4, vcc, 0, v55, vcc
	v_add_co_u32_e32 v3, vcc, 0xffffff81, v3
	v_addc_co_u32_e32 v4, vcc, -1, v4, vcc
	v_cmp_gt_i64_e32 vcc, s[12:13], v[3:4]
	v_mov_b32_e32 v57, 0
	v_mov_b32_e32 v56, 0
	s_and_saveexec_b64 s[34:35], vcc
	s_cbranch_execz .LBB80_29
; %bb.28:                               ;   in Loop: Header=BB80_3 Depth=1
	v_lshlrev_b64 v[3:4], 2, v[3:4]
	v_mov_b32_e32 v6, s23
	v_add_co_u32_e32 v5, vcc, s22, v3
	v_addc_co_u32_e32 v6, vcc, v6, v4, vcc
	v_mov_b32_e32 v7, s21
	v_add_co_u32_e32 v3, vcc, s20, v3
	v_addc_co_u32_e32 v4, vcc, v7, v4, vcc
	global_load_dword v57, v[3:4], off
	global_load_dword v56, v[5:6], off
.LBB80_29:                              ;   in Loop: Header=BB80_3 Depth=1
	s_or_b64 exec, exec, s[34:35]
.LBB80_30:                              ;   in Loop: Header=BB80_3 Depth=1
	s_or_b64 exec, exec, s[8:9]
	v_mov_b32_e32 v9, v2
	v_mov_b32_e32 v3, v2
	;; [unrolled: 1-line block ×23, first 2 shown]
	s_and_saveexec_b64 s[8:9], s[2:3]
	s_cbranch_execnz .LBB80_42
; %bb.31:                               ;   in Loop: Header=BB80_3 Depth=1
	s_or_b64 exec, exec, s[8:9]
	s_and_saveexec_b64 s[8:9], s[2:3]
	s_cbranch_execnz .LBB80_43
.LBB80_32:                              ;   in Loop: Header=BB80_3 Depth=1
	s_or_b64 exec, exec, s[8:9]
	s_and_saveexec_b64 s[8:9], s[2:3]
	s_cbranch_execnz .LBB80_44
.LBB80_33:                              ;   in Loop: Header=BB80_3 Depth=1
	s_or_b64 exec, exec, s[8:9]
	s_and_saveexec_b64 s[8:9], s[2:3]
	s_cbranch_execnz .LBB80_45
.LBB80_34:                              ;   in Loop: Header=BB80_3 Depth=1
	s_or_b64 exec, exec, s[8:9]
	s_and_saveexec_b64 s[8:9], s[2:3]
	s_cbranch_execnz .LBB80_46
.LBB80_35:                              ;   in Loop: Header=BB80_3 Depth=1
	s_or_b64 exec, exec, s[8:9]
	s_and_saveexec_b64 s[8:9], s[2:3]
	s_cbranch_execnz .LBB80_47
.LBB80_36:                              ;   in Loop: Header=BB80_3 Depth=1
	s_or_b64 exec, exec, s[8:9]
	s_and_saveexec_b64 s[8:9], s[2:3]
	s_cbranch_execnz .LBB80_48
.LBB80_37:                              ;   in Loop: Header=BB80_3 Depth=1
	s_or_b64 exec, exec, s[8:9]
	s_and_saveexec_b64 s[8:9], s[2:3]
	s_cbranch_execz .LBB80_39
.LBB80_38:                              ;   in Loop: Header=BB80_3 Depth=1
	v_add_co_u32_e32 v54, vcc, v24, v19
	v_addc_co_u32_e32 v55, vcc, v25, v20, vcc
	global_load_ushort v10, v[54:55], off
	v_add_co_u32_e32 v54, vcc, v26, v19
	v_addc_co_u32_e32 v55, vcc, v27, v20, vcc
	global_load_ushort v18, v[54:55], off
	s_waitcnt vmcnt(1)
	v_cvt_f32_f16_e32 v10, v10
	s_waitcnt vmcnt(0)
	v_cvt_f32_f16_e32 v18, v18
.LBB80_39:                              ;   in Loop: Header=BB80_3 Depth=1
	s_or_b64 exec, exec, s[8:9]
	s_waitcnt vmcnt(1)
	ds_bpermute_b32 v54, v52, v57
	s_waitcnt vmcnt(0)
	ds_bpermute_b32 v55, v52, v56
	ds_bpermute_b32 v59, v52, v57 offset:4
	v_add_f32_e32 v58, v60, v3
	ds_bpermute_b32 v60, v52, v56 offset:4
	s_waitcnt lgkmcnt(3)
	v_sub_f32_e32 v11, v11, v54
	v_mul_f32_e32 v3, v3, v11
	s_waitcnt lgkmcnt(2)
	v_fmac_f32_e32 v53, v3, v55
	s_waitcnt lgkmcnt(1)
	v_sub_f32_e32 v3, v12, v59
	ds_bpermute_b32 v11, v52, v57 offset:8
	v_mul_f32_e32 v3, v4, v3
	s_waitcnt lgkmcnt(1)
	v_fmac_f32_e32 v53, v3, v60
	ds_bpermute_b32 v3, v52, v56 offset:8
	ds_bpermute_b32 v12, v52, v57 offset:12
	s_waitcnt lgkmcnt(2)
	v_sub_f32_e32 v11, v13, v11
	v_mul_f32_e32 v11, v5, v11
	v_add_f32_e32 v4, v4, v58
	s_waitcnt lgkmcnt(1)
	v_fmac_f32_e32 v53, v11, v3
	ds_bpermute_b32 v3, v52, v56 offset:12
	v_add_f32_e32 v4, v5, v4
	s_waitcnt lgkmcnt(1)
	v_sub_f32_e32 v5, v14, v12
	ds_bpermute_b32 v11, v52, v57 offset:16
	v_mul_f32_e32 v5, v6, v5
	s_waitcnt lgkmcnt(1)
	v_fmac_f32_e32 v53, v5, v3
	ds_bpermute_b32 v3, v52, v56 offset:16
	v_add_f32_e32 v4, v6, v4
	s_waitcnt lgkmcnt(1)
	v_sub_f32_e32 v5, v15, v11
	ds_bpermute_b32 v6, v52, v57 offset:20
	v_mul_f32_e32 v5, v7, v5
	;; [unrolled: 8-line block ×3, first 2 shown]
	s_waitcnt lgkmcnt(1)
	v_fmac_f32_e32 v53, v5, v3
	ds_bpermute_b32 v5, v52, v56 offset:24
	v_add_f32_e32 v3, v8, v4
	ds_bpermute_b32 v56, v52, v56 offset:28
	ds_bpermute_b32 v4, v52, v57 offset:28
	s_waitcnt lgkmcnt(3)
	v_sub_f32_e32 v6, v17, v6
	v_mul_f32_e32 v6, v9, v6
	s_waitcnt lgkmcnt(2)
	v_fmac_f32_e32 v53, v6, v5
	v_add_f32_e32 v3, v9, v3
	v_mov_b32_e32 v11, v53
.LBB80_40:                              ;   in Loop: Header=BB80_3 Depth=1
	v_add_f32_e32 v60, v3, v10
	v_mov_b32_e32 v3, s27
	v_add_co_u32_e32 v62, vcc, s26, v62
	v_addc_co_u32_e32 v21, vcc, v21, v3, vcc
	v_add_co_u32_e32 v22, vcc, s26, v22
	v_addc_co_u32_e32 v23, vcc, v23, v3, vcc
	;; [unrolled: 2-line block ×14, first 2 shown]
	v_add_co_u32_e32 v48, vcc, s26, v48
	s_waitcnt lgkmcnt(0)
	v_sub_f32_e32 v4, v18, v4
	v_addc_co_u32_e32 v49, vcc, v49, v3, vcc
	v_mul_f32_e32 v4, v10, v4
	v_add_co_u32_e32 v50, vcc, s26, v50
	v_fmac_f32_e32 v11, v4, v56
	s_add_u32 s30, s30, s7
	v_addc_co_u32_e32 v51, vcc, v51, v3, vcc
	v_mov_b32_e32 v3, s12
	s_addc_u32 s31, s31, 0
	v_mov_b32_e32 v4, s13
	v_cmp_lt_i64_e32 vcc, s[30:31], v[3:4]
	s_add_u32 s28, s28, s7
	s_addc_u32 s29, s29, 0
	s_cbranch_vccz .LBB80_50
; %bb.41:                               ;   in Loop: Header=BB80_3 Depth=1
	v_mov_b32_e32 v53, v11
	s_branch .LBB80_3
.LBB80_42:                              ;   in Loop: Header=BB80_3 Depth=1
	v_add_co_u32_e32 v3, vcc, v62, v19
	v_addc_co_u32_e32 v4, vcc, v21, v20, vcc
	global_load_ushort v11, v[3:4], off
	v_add_co_u32_e32 v3, vcc, v22, v19
	v_addc_co_u32_e32 v4, vcc, v23, v20, vcc
	global_load_ushort v15, v[3:4], off
	v_mov_b32_e32 v4, v2
	v_mov_b32_e32 v5, v2
	;; [unrolled: 1-line block ×13, first 2 shown]
	s_waitcnt vmcnt(1)
	v_cvt_f32_f16_e32 v3, v11
	s_waitcnt vmcnt(0)
	v_cvt_f32_f16_e32 v11, v15
	v_mov_b32_e32 v15, v2
	s_or_b64 exec, exec, s[8:9]
	s_and_saveexec_b64 s[8:9], s[2:3]
	s_cbranch_execz .LBB80_32
.LBB80_43:                              ;   in Loop: Header=BB80_3 Depth=1
	v_add_co_u32_e32 v54, vcc, v48, v19
	v_addc_co_u32_e32 v55, vcc, v49, v20, vcc
	global_load_ushort v4, v[54:55], off
	v_add_co_u32_e32 v54, vcc, v50, v19
	v_addc_co_u32_e32 v55, vcc, v51, v20, vcc
	global_load_ushort v12, v[54:55], off
	s_waitcnt vmcnt(1)
	v_cvt_f32_f16_e32 v4, v4
	s_waitcnt vmcnt(0)
	v_cvt_f32_f16_e32 v12, v12
	s_or_b64 exec, exec, s[8:9]
	s_and_saveexec_b64 s[8:9], s[2:3]
	s_cbranch_execz .LBB80_33
.LBB80_44:                              ;   in Loop: Header=BB80_3 Depth=1
	v_add_co_u32_e32 v54, vcc, v44, v19
	v_addc_co_u32_e32 v55, vcc, v45, v20, vcc
	global_load_ushort v5, v[54:55], off
	v_add_co_u32_e32 v54, vcc, v46, v19
	v_addc_co_u32_e32 v55, vcc, v47, v20, vcc
	global_load_ushort v13, v[54:55], off
	s_waitcnt vmcnt(1)
	v_cvt_f32_f16_e32 v5, v5
	s_waitcnt vmcnt(0)
	v_cvt_f32_f16_e32 v13, v13
	s_or_b64 exec, exec, s[8:9]
	s_and_saveexec_b64 s[8:9], s[2:3]
	s_cbranch_execz .LBB80_34
.LBB80_45:                              ;   in Loop: Header=BB80_3 Depth=1
	v_add_co_u32_e32 v54, vcc, v40, v19
	v_addc_co_u32_e32 v55, vcc, v41, v20, vcc
	global_load_ushort v6, v[54:55], off
	v_add_co_u32_e32 v54, vcc, v42, v19
	v_addc_co_u32_e32 v55, vcc, v43, v20, vcc
	global_load_ushort v14, v[54:55], off
	s_waitcnt vmcnt(1)
	v_cvt_f32_f16_e32 v6, v6
	s_waitcnt vmcnt(0)
	v_cvt_f32_f16_e32 v14, v14
	s_or_b64 exec, exec, s[8:9]
	s_and_saveexec_b64 s[8:9], s[2:3]
	s_cbranch_execz .LBB80_35
.LBB80_46:                              ;   in Loop: Header=BB80_3 Depth=1
	v_add_co_u32_e32 v54, vcc, v36, v19
	v_addc_co_u32_e32 v55, vcc, v37, v20, vcc
	global_load_ushort v7, v[54:55], off
	v_add_co_u32_e32 v54, vcc, v38, v19
	v_addc_co_u32_e32 v55, vcc, v39, v20, vcc
	global_load_ushort v15, v[54:55], off
	s_waitcnt vmcnt(1)
	v_cvt_f32_f16_e32 v7, v7
	s_waitcnt vmcnt(0)
	v_cvt_f32_f16_e32 v15, v15
	s_or_b64 exec, exec, s[8:9]
	s_and_saveexec_b64 s[8:9], s[2:3]
	s_cbranch_execz .LBB80_36
.LBB80_47:                              ;   in Loop: Header=BB80_3 Depth=1
	v_add_co_u32_e32 v54, vcc, v32, v19
	v_addc_co_u32_e32 v55, vcc, v33, v20, vcc
	global_load_ushort v8, v[54:55], off
	v_add_co_u32_e32 v54, vcc, v34, v19
	v_addc_co_u32_e32 v55, vcc, v35, v20, vcc
	global_load_ushort v16, v[54:55], off
	s_waitcnt vmcnt(1)
	v_cvt_f32_f16_e32 v8, v8
	s_waitcnt vmcnt(0)
	v_cvt_f32_f16_e32 v16, v16
	s_or_b64 exec, exec, s[8:9]
	s_and_saveexec_b64 s[8:9], s[2:3]
	s_cbranch_execz .LBB80_37
.LBB80_48:                              ;   in Loop: Header=BB80_3 Depth=1
	v_add_co_u32_e32 v54, vcc, v28, v19
	v_addc_co_u32_e32 v55, vcc, v29, v20, vcc
	global_load_ushort v9, v[54:55], off
	v_add_co_u32_e32 v54, vcc, v30, v19
	v_addc_co_u32_e32 v55, vcc, v31, v20, vcc
	global_load_ushort v17, v[54:55], off
	s_waitcnt vmcnt(1)
	v_cvt_f32_f16_e32 v9, v9
	s_waitcnt vmcnt(0)
	v_cvt_f32_f16_e32 v17, v17
	s_or_b64 exec, exec, s[8:9]
	s_and_saveexec_b64 s[8:9], s[2:3]
	s_cbranch_execnz .LBB80_38
	s_branch .LBB80_39
.LBB80_49:
                                        ; implicit-def: $vgpr11
                                        ; implicit-def: $vgpr60
	s_branch .LBB80_51
.LBB80_50:
	s_cbranch_execnz .LBB80_84
.LBB80_51:
	v_mov_b32_e32 v11, 0
	s_and_b64 vcc, exec, s[0:1]
	v_mov_b32_e32 v60, 0
	s_cbranch_vccnz .LBB80_84
; %bb.52:
	v_lshlrev_b32_e32 v0, 3, v1
	buffer_store_dword v0, off, s[36:39], 0 offset:104 ; 4-byte Folded Spill
	v_add_co_u32_e32 v0, vcc, s24, v0
	v_addc_co_u32_e64 v17, s[0:1], 0, 0, vcc
	v_mul_lo_u32 v2, s15, v0
	v_mul_lo_u32 v3, s14, v17
	v_mad_u64_u32 v[4:5], s[0:1], s14, v0, 0
	s_load_dword s2, s[4:5], 0x44
	s_add_u32 s26, s4, 64
	v_add3_u32 v5, v5, v3, v2
	v_lshlrev_b64 v[2:3], 1, v[4:5]
	s_addc_u32 s27, s5, 0
	s_waitcnt lgkmcnt(0)
	s_lshl_b32 s7, s2, 7
	v_mov_b32_e32 v6, s17
	v_add_co_u32_e32 v7, vcc, s16, v2
	s_mul_i32 s0, s15, s7
	s_mul_hi_u32 s1, s14, s7
	v_addc_co_u32_e32 v6, vcc, v6, v3, vcc
	s_add_i32 s1, s1, s0
	s_mul_i32 s0, s14, s7
	buffer_store_dword v6, off, s[36:39], 0 offset:4 ; 4-byte Folded Spill
	s_lshl_b64 s[28:29], s[0:1], 1
	v_mov_b32_e32 v6, s19
	v_add_co_u32_e32 v2, vcc, s18, v2
	buffer_store_dword v2, off, s[36:39], 0 offset:8 ; 4-byte Folded Spill
	v_addc_co_u32_e32 v2, vcc, v6, v3, vcc
	s_add_u32 s30, s24, 0x7f
	buffer_store_dword v2, off, s[36:39], 0 offset:12 ; 4-byte Folded Spill
	s_addc_u32 s31, 0, 0
	v_lshlrev_b32_e32 v2, 4, v1
	s_lshl_b64 s[0:1], s[24:25], 1
	v_mov_b32_e32 v3, s1
	v_add_co_u32_e32 v6, vcc, s0, v2
	buffer_store_dword v7, off, s[36:39], 0 ; 4-byte Folded Spill
	v_addc_co_u32_e32 v7, vcc, 0, v3, vcc
	v_add_co_u32_e32 v8, vcc, 2, v6
	v_addc_co_u32_e32 v9, vcc, 0, v7, vcc
	v_mov_b32_e32 v2, s16
	v_mul_lo_u32 v12, s14, v9
	v_mov_b32_e32 v9, s18
	v_mov_b32_e32 v3, s17
	;; [unrolled: 1-line block ×3, first 2 shown]
	v_mad_u64_u32 v[19:20], s[0:1], s14, v8, v[2:3]
	v_mul_lo_u32 v13, s15, v8
	v_mad_u64_u32 v[21:22], s[0:1], s14, v8, v[9:10]
	v_add_co_u32_e32 v8, vcc, 4, v6
	v_addc_co_u32_e32 v14, vcc, 0, v7, vcc
	v_mov_b32_e32 v11, s15
	v_add_co_u32_e32 v4, vcc, s14, v4
	v_addc_co_u32_e32 v5, vcc, v5, v11, vcc
	v_mul_lo_u32 v15, s15, v8
	v_mad_u64_u32 v[23:24], s[0:1], s14, v8, v[2:3]
	v_mad_u64_u32 v[25:26], s[0:1], s14, v8, v[9:10]
	v_add_co_u32_e32 v8, vcc, 6, v6
	v_addc_co_u32_e32 v11, vcc, 0, v7, vcc
	v_add3_u32 v20, v13, v20, v12
	v_add3_u32 v22, v13, v22, v12
	v_mul_lo_u32 v11, s14, v11
	v_mul_lo_u32 v12, s15, v8
	v_mad_u64_u32 v[27:28], s[0:1], s14, v8, v[2:3]
	v_mad_u64_u32 v[29:30], s[0:1], s14, v8, v[9:10]
	v_add_co_u32_e32 v8, vcc, 8, v6
	v_mul_lo_u32 v14, s14, v14
	v_addc_co_u32_e32 v13, vcc, 0, v7, vcc
	v_mul_lo_u32 v16, s15, v8
	v_mad_u64_u32 v[31:32], s[0:1], s14, v8, v[2:3]
	v_mad_u64_u32 v[33:34], s[0:1], s14, v8, v[9:10]
	v_add_co_u32_e32 v8, vcc, 10, v6
	v_add3_u32 v28, v12, v28, v11
	v_add3_u32 v30, v12, v30, v11
	v_addc_co_u32_e32 v11, vcc, 0, v7, vcc
	v_mul_lo_u32 v12, s15, v8
	v_mad_u64_u32 v[35:36], s[0:1], s14, v8, v[2:3]
	v_mad_u64_u32 v[37:38], s[0:1], s14, v8, v[9:10]
	v_add_co_u32_e32 v8, vcc, 12, v6
	v_add3_u32 v24, v15, v24, v14
	v_add3_u32 v26, v15, v26, v14
	v_addc_co_u32_e32 v14, vcc, 0, v7, vcc
	v_add_co_u32_e32 v6, vcc, 14, v6
	v_addc_co_u32_e32 v7, vcc, 0, v7, vcc
	v_mad_u64_u32 v[39:40], s[0:1], s14, v8, v[2:3]
	v_mad_u64_u32 v[43:44], s[0:1], s14, v6, v[2:3]
	v_add_co_u32_e32 v2, vcc, 7, v0
	v_addc_co_u32_e32 v3, vcc, 0, v17, vcc
	v_mul_lo_u32 v15, s15, v8
	v_mad_u64_u32 v[41:42], s[0:1], s14, v8, v[9:10]
	v_mad_u64_u32 v[45:46], s[0:1], s14, v6, v[9:10]
	v_mul_lo_u32 v8, s14, v3
	v_mul_lo_u32 v9, s15, v2
	v_mad_u64_u32 v[2:3], s[0:1], s14, v2, 0
	v_mul_lo_u32 v7, s14, v7
	v_mul_lo_u32 v6, s15, v6
	v_add3_u32 v3, v3, v8, v9
	v_lshlrev_b64 v[2:3], 1, v[2:3]
	buffer_store_dword v1, off, s[36:39], 0 offset:100 ; 4-byte Folded Spill
	v_add3_u32 v44, v6, v44, v7
	v_add3_u32 v46, v6, v46, v7
	v_mov_b32_e32 v6, s17
	v_add_co_u32_e32 v1, vcc, s16, v2
	buffer_store_dword v1, off, s[36:39], 0 offset:16 ; 4-byte Folded Spill
	v_addc_co_u32_e32 v1, vcc, v6, v3, vcc
	v_add_co_u32_e32 v6, vcc, 6, v0
	v_addc_co_u32_e32 v7, vcc, 0, v17, vcc
	v_mul_lo_u32 v9, s14, v7
	v_mul_lo_u32 v10, s15, v6
	v_mad_u64_u32 v[6:7], s[0:1], s14, v6, 0
	buffer_store_dword v1, off, s[36:39], 0 offset:20 ; 4-byte Folded Spill
	v_mov_b32_e32 v8, s19
	v_add_co_u32_e32 v1, vcc, s18, v2
	v_add3_u32 v7, v7, v9, v10
	buffer_store_dword v1, off, s[36:39], 0 offset:24 ; 4-byte Folded Spill
	v_addc_co_u32_e32 v1, vcc, v8, v3, vcc
	v_lshlrev_b64 v[2:3], 1, v[6:7]
	buffer_store_dword v1, off, s[36:39], 0 offset:28 ; 4-byte Folded Spill
	v_mov_b32_e32 v6, s17
	v_add_co_u32_e32 v1, vcc, s16, v2
	buffer_store_dword v1, off, s[36:39], 0 offset:32 ; 4-byte Folded Spill
	v_addc_co_u32_e32 v1, vcc, v6, v3, vcc
	v_add_co_u32_e32 v6, vcc, 5, v0
	v_addc_co_u32_e32 v7, vcc, 0, v17, vcc
	v_mul_lo_u32 v9, s14, v7
	v_mul_lo_u32 v10, s15, v6
	v_mad_u64_u32 v[6:7], s[0:1], s14, v6, 0
	buffer_store_dword v1, off, s[36:39], 0 offset:36 ; 4-byte Folded Spill
	v_add_co_u32_e32 v1, vcc, s18, v2
	v_add3_u32 v7, v7, v9, v10
	buffer_store_dword v1, off, s[36:39], 0 offset:40 ; 4-byte Folded Spill
	v_addc_co_u32_e32 v1, vcc, v8, v3, vcc
	v_lshlrev_b64 v[2:3], 1, v[6:7]
	buffer_store_dword v1, off, s[36:39], 0 offset:44 ; 4-byte Folded Spill
	v_mov_b32_e32 v6, s17
	v_add_co_u32_e32 v1, vcc, s16, v2
	buffer_store_dword v1, off, s[36:39], 0 offset:48 ; 4-byte Folded Spill
	v_addc_co_u32_e32 v1, vcc, v6, v3, vcc
	v_add_co_u32_e32 v6, vcc, 4, v0
	v_addc_co_u32_e32 v7, vcc, 0, v17, vcc
	v_mul_lo_u32 v9, s14, v7
	v_mul_lo_u32 v10, s15, v6
	v_mad_u64_u32 v[6:7], s[0:1], s14, v6, 0
	buffer_store_dword v1, off, s[36:39], 0 offset:52 ; 4-byte Folded Spill
	v_add_co_u32_e32 v1, vcc, s18, v2
	v_add3_u32 v7, v7, v9, v10
	buffer_store_dword v1, off, s[36:39], 0 offset:56 ; 4-byte Folded Spill
	v_addc_co_u32_e32 v1, vcc, v8, v3, vcc
	v_lshlrev_b64 v[2:3], 1, v[6:7]
	buffer_store_dword v1, off, s[36:39], 0 offset:60 ; 4-byte Folded Spill
	v_mov_b32_e32 v6, s17
	v_add_co_u32_e32 v1, vcc, s16, v2
	buffer_store_dword v1, off, s[36:39], 0 offset:64 ; 4-byte Folded Spill
	v_addc_co_u32_e32 v1, vcc, v6, v3, vcc
	buffer_store_dword v1, off, s[36:39], 0 offset:68 ; 4-byte Folded Spill
	v_mov_b32_e32 v6, s19
	v_add_co_u32_e32 v1, vcc, s18, v2
	buffer_store_dword v1, off, s[36:39], 0 offset:72 ; 4-byte Folded Spill
	v_addc_co_u32_e32 v1, vcc, v6, v3, vcc
	v_add_co_u32_e32 v2, vcc, 3, v0
	v_addc_co_u32_e32 v3, vcc, 0, v17, vcc
	v_mul_lo_u32 v6, s14, v3
	v_mul_lo_u32 v7, s15, v2
	v_mad_u64_u32 v[2:3], s[0:1], s14, v2, 0
	buffer_store_dword v1, off, s[36:39], 0 offset:76 ; 4-byte Folded Spill
	v_mul_lo_u32 v13, s14, v13
	v_add3_u32 v3, v3, v6, v7
	v_lshlrev_b64 v[2:3], 1, v[2:3]
	v_mov_b32_e32 v6, s17
	v_add_co_u32_e32 v1, vcc, s16, v2
	buffer_store_dword v1, off, s[36:39], 0 offset:80 ; 4-byte Folded Spill
	v_addc_co_u32_e32 v1, vcc, v6, v3, vcc
	buffer_store_dword v1, off, s[36:39], 0 offset:84 ; 4-byte Folded Spill
	v_mov_b32_e32 v6, s19
	v_add_co_u32_e32 v1, vcc, s18, v2
	buffer_store_dword v1, off, s[36:39], 0 offset:88 ; 4-byte Folded Spill
	v_addc_co_u32_e32 v1, vcc, v6, v3, vcc
	v_add_co_u32_e32 v0, vcc, 2, v0
	buffer_store_dword v1, off, s[36:39], 0 offset:92 ; 4-byte Folded Spill
	v_addc_co_u32_e32 v1, vcc, 0, v17, vcc
	v_mul_lo_u32 v2, s14, v1
	v_mul_lo_u32 v3, s15, v0
	v_mad_u64_u32 v[0:1], s[0:1], s14, v0, 0
	v_mul_lo_u32 v11, s14, v11
	v_mul_lo_u32 v14, s14, v14
	v_add3_u32 v1, v1, v2, v3
	v_lshlrev_b64 v[0:1], 1, v[0:1]
	v_mov_b32_e32 v2, s17
	v_add_co_u32_e32 v58, vcc, s16, v0
	v_addc_co_u32_e32 v59, vcc, v2, v1, vcc
	v_mov_b32_e32 v2, s19
	v_add_co_u32_e32 v60, vcc, s18, v0
	v_mov_b32_e32 v3, v61
	v_addc_co_u32_e32 v61, vcc, v2, v1, vcc
	v_lshlrev_b64 v[0:1], 1, v[4:5]
	v_mov_b32_e32 v2, s17
	v_add_co_u32_e32 v62, vcc, s16, v0
	v_addc_co_u32_e32 v63, vcc, v2, v1, vcc
	v_mov_b32_e32 v2, s19
	v_add_co_u32_e32 v49, vcc, s18, v0
	v_addc_co_u32_e32 v50, vcc, v2, v1, vcc
	v_mov_b32_e32 v2, 0
	v_add_u32_e32 v0, s33, v3
	v_mov_b32_e32 v1, v2
	v_lshlrev_b64 v[47:48], 1, v[0:1]
	v_mbcnt_lo_u32_b32 v0, -1, 0
	v_mbcnt_hi_u32_b32 v0, -1, v0
	v_lshlrev_b32_e32 v0, 2, v0
	v_add3_u32 v32, v16, v32, v13
	v_add3_u32 v34, v16, v34, v13
	;; [unrolled: 1-line block ×6, first 2 shown]
	v_and_b32_e32 v1, 0x100, v0
	v_mov_b32_e32 v57, 0
	v_mov_b32_e32 v0, 0
	buffer_store_dword v3, off, s[36:39], 0 offset:96 ; 4-byte Folded Spill
.LBB80_53:                              ; =>This Inner Loop Header: Depth=1
	v_mov_b32_e32 v3, s12
	v_mov_b32_e32 v4, s13
	v_cmp_ge_i64_e32 vcc, s[30:31], v[3:4]
	buffer_load_dword v4, off, s[36:39], 0 offset:104 ; 4-byte Folded Reload
	v_mov_b32_e32 v3, s31
	s_and_b64 vcc, exec, vcc
                                        ; implicit-def: $vgpr5
                                        ; implicit-def: $vgpr11
	s_waitcnt vmcnt(0)
	v_add_co_u32_e64 v51, s[0:1], s30, v4
	v_addc_co_u32_e64 v52, s[0:1], 0, v3, s[0:1]
	s_mov_b64 s[0:1], -1
	s_cbranch_vccz .LBB80_75
; %bb.54:                               ;   in Loop: Header=BB80_53 Depth=1
	buffer_store_dword v57, off, s[36:39], 0 offset:108 ; 4-byte Folded Spill
	s_load_dword s0, s[26:27], 0xc
	buffer_load_dword v3, off, s[36:39], 0 offset:96 ; 4-byte Folded Reload
	buffer_load_dword v4, off, s[36:39], 0 offset:100 ; 4-byte Folded Reload
	v_mov_b32_e32 v54, 0
	v_mov_b32_e32 v53, 0
	s_waitcnt lgkmcnt(0)
	s_and_b32 s0, s0, 0xffff
	s_waitcnt vmcnt(0)
	v_mad_u32_u24 v3, v4, s0, v3
	v_and_b32_e32 v3, 63, v3
	v_cmp_gt_u32_e32 vcc, 8, v3
	s_and_saveexec_b64 s[0:1], vcc
	s_cbranch_execz .LBB80_58
; %bb.55:                               ;   in Loop: Header=BB80_53 Depth=1
	v_add_co_u32_e32 v3, vcc, v51, v3
	v_addc_co_u32_e32 v4, vcc, 0, v52, vcc
	v_add_co_u32_e32 v3, vcc, 0xffffff81, v3
	v_addc_co_u32_e32 v4, vcc, -1, v4, vcc
	v_cmp_gt_i64_e32 vcc, s[12:13], v[3:4]
	v_mov_b32_e32 v53, 0
	v_mov_b32_e32 v54, 0
	s_and_saveexec_b64 s[2:3], vcc
	s_cbranch_execz .LBB80_57
; %bb.56:                               ;   in Loop: Header=BB80_53 Depth=1
	v_lshlrev_b64 v[3:4], 2, v[3:4]
	v_mov_b32_e32 v6, s23
	v_add_co_u32_e32 v5, vcc, s22, v3
	v_addc_co_u32_e32 v6, vcc, v6, v4, vcc
	v_mov_b32_e32 v7, s21
	v_add_co_u32_e32 v3, vcc, s20, v3
	v_addc_co_u32_e32 v4, vcc, v7, v4, vcc
	global_load_dword v53, v[3:4], off
	global_load_dword v54, v[5:6], off
.LBB80_57:                              ;   in Loop: Header=BB80_53 Depth=1
	s_or_b64 exec, exec, s[2:3]
.LBB80_58:                              ;   in Loop: Header=BB80_53 Depth=1
	s_or_b64 exec, exec, s[0:1]
	v_add_co_u32_e32 v3, vcc, 0xffffff81, v51
	v_addc_co_u32_e32 v4, vcc, -1, v52, vcc
	v_mov_b32_e32 v9, v2
	v_cmp_gt_i64_e32 vcc, s[12:13], v[3:4]
	v_mov_b32_e32 v3, v2
	v_mov_b32_e32 v4, v2
	;; [unrolled: 1-line block ×22, first 2 shown]
	s_and_saveexec_b64 s[0:1], vcc
	s_cbranch_execz .LBB80_60
; %bb.59:                               ;   in Loop: Header=BB80_53 Depth=1
	buffer_load_dword v3, off, s[36:39], 0  ; 4-byte Folded Reload
	buffer_load_dword v4, off, s[36:39], 0 offset:4 ; 4-byte Folded Reload
	v_mov_b32_e32 v5, v2
	v_mov_b32_e32 v6, v2
	;; [unrolled: 1-line block ×12, first 2 shown]
	s_waitcnt vmcnt(1)
	v_add_co_u32_e32 v3, vcc, v3, v47
	s_waitcnt vmcnt(0)
	v_addc_co_u32_e32 v4, vcc, v4, v48, vcc
	global_load_ushort v11, v[3:4], off
	s_nop 0
	buffer_load_dword v3, off, s[36:39], 0 offset:8 ; 4-byte Folded Reload
	buffer_load_dword v4, off, s[36:39], 0 offset:12 ; 4-byte Folded Reload
	s_waitcnt vmcnt(1)
	v_add_co_u32_e32 v3, vcc, v3, v47
	s_waitcnt vmcnt(0)
	v_addc_co_u32_e32 v4, vcc, v4, v48, vcc
	global_load_ushort v15, v[3:4], off
	v_cvt_f32_f16_e32 v3, v11
	v_mov_b32_e32 v4, v2
	s_waitcnt vmcnt(0)
	v_cvt_f32_f16_e32 v11, v15
	v_mov_b32_e32 v15, v2
.LBB80_60:                              ;   in Loop: Header=BB80_53 Depth=1
	s_or_b64 exec, exec, s[0:1]
	v_add_co_u32_e32 v55, vcc, 0xffffff82, v51
	v_addc_co_u32_e32 v56, vcc, -1, v52, vcc
	v_cmp_gt_i64_e32 vcc, s[12:13], v[55:56]
	s_and_saveexec_b64 s[0:1], vcc
	s_cbranch_execz .LBB80_62
; %bb.61:                               ;   in Loop: Header=BB80_53 Depth=1
	v_add_co_u32_e32 v55, vcc, v62, v47
	v_addc_co_u32_e32 v56, vcc, v63, v48, vcc
	global_load_ushort v4, v[55:56], off
	v_add_co_u32_e32 v55, vcc, v49, v47
	v_addc_co_u32_e32 v56, vcc, v50, v48, vcc
	global_load_ushort v12, v[55:56], off
	s_waitcnt vmcnt(1)
	v_cvt_f32_f16_e32 v4, v4
	s_waitcnt vmcnt(0)
	v_cvt_f32_f16_e32 v12, v12
.LBB80_62:                              ;   in Loop: Header=BB80_53 Depth=1
	s_or_b64 exec, exec, s[0:1]
	v_add_co_u32_e32 v55, vcc, 0xffffff83, v51
	v_addc_co_u32_e32 v56, vcc, -1, v52, vcc
	v_cmp_gt_i64_e32 vcc, s[12:13], v[55:56]
	s_and_saveexec_b64 s[0:1], vcc
	s_cbranch_execz .LBB80_64
; %bb.63:                               ;   in Loop: Header=BB80_53 Depth=1
	v_add_co_u32_e32 v55, vcc, v58, v47
	v_addc_co_u32_e32 v56, vcc, v59, v48, vcc
	global_load_ushort v5, v[55:56], off
	v_add_co_u32_e32 v55, vcc, v60, v47
	v_addc_co_u32_e32 v56, vcc, v61, v48, vcc
	global_load_ushort v13, v[55:56], off
	s_waitcnt vmcnt(1)
	v_cvt_f32_f16_e32 v5, v5
	s_waitcnt vmcnt(0)
	v_cvt_f32_f16_e32 v13, v13
.LBB80_64:                              ;   in Loop: Header=BB80_53 Depth=1
	s_or_b64 exec, exec, s[0:1]
	v_add_co_u32_e32 v55, vcc, 0xffffff84, v51
	v_addc_co_u32_e32 v56, vcc, -1, v52, vcc
	v_cmp_gt_i64_e32 vcc, s[12:13], v[55:56]
	s_and_saveexec_b64 s[0:1], vcc
	s_cbranch_execz .LBB80_66
; %bb.65:                               ;   in Loop: Header=BB80_53 Depth=1
	buffer_load_dword v6, off, s[36:39], 0 offset:80 ; 4-byte Folded Reload
	buffer_load_dword v14, off, s[36:39], 0 offset:88 ; 4-byte Folded Reload
	s_waitcnt vmcnt(1)
	v_add_co_u32_e32 v55, vcc, v6, v47
	buffer_load_dword v6, off, s[36:39], 0 offset:84 ; 4-byte Folded Reload
	s_waitcnt vmcnt(0)
	v_addc_co_u32_e32 v56, vcc, v6, v48, vcc
	global_load_ushort v6, v[55:56], off
	v_add_co_u32_e32 v55, vcc, v14, v47
	buffer_load_dword v14, off, s[36:39], 0 offset:92 ; 4-byte Folded Reload
	s_waitcnt vmcnt(1)
	v_cvt_f32_f16_e32 v6, v6
	s_waitcnt vmcnt(0)
	v_addc_co_u32_e32 v56, vcc, v14, v48, vcc
	global_load_ushort v14, v[55:56], off
	s_waitcnt vmcnt(0)
	v_cvt_f32_f16_e32 v14, v14
.LBB80_66:                              ;   in Loop: Header=BB80_53 Depth=1
	s_or_b64 exec, exec, s[0:1]
	v_add_co_u32_e32 v55, vcc, 0xffffff85, v51
	v_addc_co_u32_e32 v56, vcc, -1, v52, vcc
	v_cmp_gt_i64_e32 vcc, s[12:13], v[55:56]
	s_and_saveexec_b64 s[0:1], vcc
	s_cbranch_execz .LBB80_68
; %bb.67:                               ;   in Loop: Header=BB80_53 Depth=1
	buffer_load_dword v7, off, s[36:39], 0 offset:64 ; 4-byte Folded Reload
	buffer_load_dword v15, off, s[36:39], 0 offset:72 ; 4-byte Folded Reload
	s_waitcnt vmcnt(1)
	v_add_co_u32_e32 v55, vcc, v7, v47
	buffer_load_dword v7, off, s[36:39], 0 offset:68 ; 4-byte Folded Reload
	s_waitcnt vmcnt(0)
	v_addc_co_u32_e32 v56, vcc, v7, v48, vcc
	global_load_ushort v7, v[55:56], off
	v_add_co_u32_e32 v55, vcc, v15, v47
	buffer_load_dword v15, off, s[36:39], 0 offset:76 ; 4-byte Folded Reload
	s_waitcnt vmcnt(1)
	v_cvt_f32_f16_e32 v7, v7
	s_waitcnt vmcnt(0)
	v_addc_co_u32_e32 v56, vcc, v15, v48, vcc
	global_load_ushort v15, v[55:56], off
	s_waitcnt vmcnt(0)
	v_cvt_f32_f16_e32 v15, v15
.LBB80_68:                              ;   in Loop: Header=BB80_53 Depth=1
	;; [unrolled: 25-line block ×5, first 2 shown]
	s_or_b64 exec, exec, s[0:1]
	buffer_load_dword v57, off, s[36:39], 0 offset:108 ; 4-byte Folded Reload
	s_waitcnt vmcnt(2)
	ds_bpermute_b32 v56, v1, v53
	s_waitcnt vmcnt(1)
	ds_bpermute_b32 v55, v1, v54
	s_mov_b64 s[0:1], 0
	s_waitcnt lgkmcnt(1)
	v_sub_f32_e32 v11, v11, v56
	ds_bpermute_b32 v56, v1, v53 offset:4
	v_mul_f32_e32 v11, v3, v11
	s_waitcnt lgkmcnt(1)
	v_fma_f32 v11, v11, v55, v0
	ds_bpermute_b32 v55, v1, v54 offset:4
	s_waitcnt lgkmcnt(1)
	v_sub_f32_e32 v12, v12, v56
	v_mul_f32_e32 v12, v4, v12
	s_waitcnt lgkmcnt(0)
	v_fmac_f32_e32 v11, v12, v55
	ds_bpermute_b32 v12, v1, v53 offset:8
	s_waitcnt lgkmcnt(0)
	v_sub_f32_e32 v12, v13, v12
	v_mul_f32_e32 v12, v5, v12
	s_waitcnt vmcnt(0)
	v_add_f32_e32 v3, v57, v3
	v_add_f32_e32 v3, v4, v3
	ds_bpermute_b32 v4, v1, v54 offset:8
	v_add_f32_e32 v3, v5, v3
	ds_bpermute_b32 v5, v1, v53 offset:12
	v_add_f32_e32 v3, v6, v3
	v_add_f32_e32 v3, v7, v3
	s_waitcnt lgkmcnt(1)
	v_fmac_f32_e32 v11, v12, v4
	ds_bpermute_b32 v4, v1, v54 offset:12
	s_waitcnt lgkmcnt(1)
	v_sub_f32_e32 v5, v14, v5
	v_mul_f32_e32 v5, v6, v5
	v_add_f32_e32 v3, v8, v3
	v_add_f32_e32 v3, v9, v3
	s_waitcnt lgkmcnt(0)
	v_fmac_f32_e32 v11, v5, v4
	ds_bpermute_b32 v5, v1, v53 offset:16
	ds_bpermute_b32 v4, v1, v54 offset:16
	s_waitcnt lgkmcnt(1)
	v_sub_f32_e32 v5, v15, v5
	v_mul_f32_e32 v5, v7, v5
	s_waitcnt lgkmcnt(0)
	v_fmac_f32_e32 v11, v5, v4
	ds_bpermute_b32 v5, v1, v53 offset:20
	ds_bpermute_b32 v4, v1, v54 offset:20
	s_waitcnt lgkmcnt(1)
	v_sub_f32_e32 v5, v16, v5
	v_mul_f32_e32 v5, v8, v5
	;; [unrolled: 7-line block ×4, first 2 shown]
	s_waitcnt lgkmcnt(0)
	v_fmac_f32_e32 v11, v5, v4
	v_add_f32_e32 v5, v10, v3
.LBB80_75:                              ;   in Loop: Header=BB80_53 Depth=1
	s_and_b64 vcc, exec, s[0:1]
	s_cbranch_vccz .LBB80_81
; %bb.76:                               ;   in Loop: Header=BB80_53 Depth=1
	s_load_dword s0, s[26:27], 0x0
	v_mov_b32_e32 v5, 0
	s_waitcnt lgkmcnt(0)
	s_cmp_lt_u32 s6, s0
	s_cselect_b32 s0, 12, 18
	s_add_u32 s0, s26, s0
	s_addc_u32 s1, s27, 0
	global_load_ushort v3, v2, s[0:1]
	buffer_load_dword v4, off, s[36:39], 0 offset:96 ; 4-byte Folded Reload
	buffer_load_dword v6, off, s[36:39], 0 offset:100 ; 4-byte Folded Reload
	s_waitcnt vmcnt(0)
	v_mad_u32_u24 v3, v6, v3, v4
	v_and_b32_e32 v3, 63, v3
	v_cmp_gt_u32_e32 vcc, 8, v3
	v_mov_b32_e32 v6, 0
	s_and_saveexec_b64 s[0:1], vcc
	s_cbranch_execz .LBB80_80
; %bb.77:                               ;   in Loop: Header=BB80_53 Depth=1
	v_add_co_u32_e32 v3, vcc, v51, v3
	v_addc_co_u32_e32 v4, vcc, 0, v52, vcc
	v_add_co_u32_e32 v3, vcc, 0xffffff81, v3
	v_addc_co_u32_e32 v4, vcc, -1, v4, vcc
	v_cmp_gt_i64_e32 vcc, s[12:13], v[3:4]
	v_mov_b32_e32 v6, 0
	v_mov_b32_e32 v5, 0
	s_and_saveexec_b64 s[2:3], vcc
	s_cbranch_execz .LBB80_79
; %bb.78:                               ;   in Loop: Header=BB80_53 Depth=1
	v_lshlrev_b64 v[3:4], 2, v[3:4]
	v_mov_b32_e32 v5, s23
	v_add_co_u32_e32 v7, vcc, s22, v3
	v_addc_co_u32_e32 v8, vcc, v5, v4, vcc
	v_mov_b32_e32 v5, s21
	v_add_co_u32_e32 v3, vcc, s20, v3
	v_addc_co_u32_e32 v4, vcc, v5, v4, vcc
	global_load_dword v6, v[3:4], off
	global_load_dword v5, v[7:8], off
.LBB80_79:                              ;   in Loop: Header=BB80_53 Depth=1
	s_or_b64 exec, exec, s[2:3]
.LBB80_80:                              ;   in Loop: Header=BB80_53 Depth=1
	s_or_b64 exec, exec, s[0:1]
	buffer_load_dword v3, off, s[36:39], 0 offset:8 ; 4-byte Folded Reload
	buffer_load_dword v4, off, s[36:39], 0 offset:12 ; 4-byte Folded Reload
	v_add_co_u32_e64 v9, s[0:1], v25, v47
	v_add_co_u32_e64 v11, s[2:3], v27, v47
	;; [unrolled: 1-line block ×4, first 2 shown]
	s_waitcnt vmcnt(1)
	v_add_co_u32_e32 v3, vcc, v3, v47
	s_waitcnt vmcnt(0)
	v_addc_co_u32_e32 v4, vcc, v4, v48, vcc
	global_load_ushort v51, v[3:4], off
	s_nop 0
	buffer_load_dword v3, off, s[36:39], 0  ; 4-byte Folded Reload
	buffer_load_dword v4, off, s[36:39], 0 offset:4 ; 4-byte Folded Reload
	s_waitcnt vmcnt(1)
	v_add_co_u32_e32 v3, vcc, v3, v47
	s_waitcnt vmcnt(0)
	v_addc_co_u32_e32 v4, vcc, v4, v48, vcc
	global_load_ushort v52, v[3:4], off
	v_add_co_u32_e32 v3, vcc, v21, v47
	v_addc_co_u32_e32 v4, vcc, v22, v48, vcc
	global_load_ushort v8, v[3:4], off
	v_add_co_u32_e32 v3, vcc, v19, v47
	;; [unrolled: 3-line block ×3, first 2 shown]
	v_addc_co_u32_e32 v4, vcc, v24, v48, vcc
	v_addc_co_u32_e64 v10, vcc, v26, v48, s[0:1]
	v_add_co_u32_e32 v17, vcc, v33, v47
	v_addc_co_u32_e64 v12, s[0:1], v28, v48, s[2:3]
	v_addc_co_u32_e64 v14, s[0:1], v30, v48, s[8:9]
	;; [unrolled: 1-line block ×3, first 2 shown]
	v_addc_co_u32_e32 v18, vcc, v34, v48, vcc
	global_load_ushort v3, v[3:4], off
	s_nop 0
	global_load_ushort v4, v[9:10], off
	s_nop 0
	global_load_ushort v9, v[11:12], off
	global_load_ushort v10, v[13:14], off
	v_add_co_u32_e64 v13, s[0:1], v35, v47
	global_load_ushort v11, v[15:16], off
	global_load_ushort v12, v[17:18], off
	v_add_co_u32_e32 v15, vcc, v37, v47
	v_addc_co_u32_e64 v14, s[0:1], v36, v48, s[0:1]
	v_addc_co_u32_e32 v16, vcc, v38, v48, vcc
	global_load_ushort v17, v[13:14], off
	s_nop 0
	global_load_ushort v15, v[15:16], off
	v_add_co_u32_e32 v13, vcc, v39, v47
	v_addc_co_u32_e32 v14, vcc, v40, v48, vcc
	global_load_ushort v16, v[13:14], off
	ds_bpermute_b32 v13, v1, v6
	v_cvt_f32_f16_e32 v14, v51
	s_waitcnt lgkmcnt(0)
	v_sub_f32_e32 v13, v14, v13
	ds_bpermute_b32 v14, v1, v5
	s_waitcnt vmcnt(11)
	v_cvt_f32_f16_e32 v18, v52
	v_mul_f32_e32 v13, v13, v18
	s_waitcnt lgkmcnt(0)
	v_fmac_f32_e32 v0, v13, v14
	v_add_co_u32_e32 v13, vcc, v41, v47
	v_addc_co_u32_e32 v14, vcc, v42, v48, vcc
	global_load_ushort v13, v[13:14], off
	ds_bpermute_b32 v14, v1, v6 offset:4
	s_waitcnt vmcnt(11)
	v_cvt_f32_f16_e32 v8, v8
	s_waitcnt vmcnt(10)
	v_cvt_f32_f16_e32 v51, v7
	s_waitcnt lgkmcnt(0)
	v_sub_f32_e32 v8, v8, v14
	ds_bpermute_b32 v14, v1, v5 offset:4
	v_mul_f32_e32 v7, v8, v51
	s_waitcnt lgkmcnt(0)
	v_fmac_f32_e32 v0, v7, v14
	v_add_co_u32_e32 v7, vcc, v43, v47
	v_addc_co_u32_e32 v8, vcc, v44, v48, vcc
	global_load_ushort v14, v[7:8], off
	v_add_co_u32_e32 v7, vcc, v45, v47
	v_addc_co_u32_e32 v8, vcc, v46, v48, vcc
	global_load_ushort v7, v[7:8], off
	s_waitcnt vmcnt(9)
	v_cvt_f32_f16_e32 v8, v9
	s_waitcnt vmcnt(8)
	v_cvt_f32_f16_e32 v9, v10
	;; [unrolled: 2-line block ×5, first 2 shown]
	v_add_f32_e32 v17, v57, v18
	ds_bpermute_b32 v18, v1, v6 offset:8
	v_cvt_f32_f16_e32 v4, v4
	v_cvt_f32_f16_e32 v3, v3
	v_add_f32_e32 v17, v17, v51
	ds_bpermute_b32 v51, v1, v5 offset:8
	s_waitcnt lgkmcnt(1)
	v_sub_f32_e32 v4, v4, v18
	ds_bpermute_b32 v18, v1, v6 offset:12
	v_mul_f32_e32 v4, v4, v3
	v_add_f32_e32 v3, v17, v3
	s_waitcnt lgkmcnt(1)
	v_fmac_f32_e32 v0, v4, v51
	ds_bpermute_b32 v4, v1, v5 offset:12
	s_waitcnt lgkmcnt(1)
	v_sub_f32_e32 v9, v9, v18
	ds_bpermute_b32 v17, v1, v6 offset:16
	v_mul_f32_e32 v9, v9, v8
	v_add_f32_e32 v3, v3, v8
	s_waitcnt lgkmcnt(1)
	v_fmac_f32_e32 v0, v9, v4
	ds_bpermute_b32 v4, v1, v5 offset:16
	s_waitcnt lgkmcnt(1)
	v_sub_f32_e32 v8, v11, v17
	ds_bpermute_b32 v9, v1, v6 offset:20
	s_waitcnt vmcnt(4)
	v_cvt_f32_f16_e32 v15, v15
	v_mul_f32_e32 v8, v8, v10
	s_waitcnt lgkmcnt(1)
	v_fmac_f32_e32 v0, v8, v4
	ds_bpermute_b32 v4, v1, v5 offset:20
	s_waitcnt lgkmcnt(1)
	v_sub_f32_e32 v8, v15, v9
	ds_bpermute_b32 v9, v1, v6 offset:24
	v_mul_f32_e32 v8, v8, v12
	s_waitcnt vmcnt(3)
	v_cvt_f32_f16_e32 v16, v16
	s_waitcnt lgkmcnt(1)
	v_fmac_f32_e32 v0, v8, v4
	ds_bpermute_b32 v4, v1, v5 offset:24
	ds_bpermute_b32 v6, v1, v6 offset:28
	;; [unrolled: 1-line block ×3, first 2 shown]
	v_add_f32_e32 v3, v3, v10
	v_add_f32_e32 v3, v3, v12
	v_add_f32_e32 v3, v3, v16
	s_waitcnt vmcnt(2)
	v_cvt_f32_f16_e32 v13, v13
	s_waitcnt lgkmcnt(3)
	v_sub_f32_e32 v8, v13, v9
	v_mul_f32_e32 v8, v8, v16
	s_waitcnt lgkmcnt(2)
	v_fmac_f32_e32 v0, v8, v4
	s_waitcnt vmcnt(1)
	v_cvt_f32_f16_e32 v14, v14
	s_waitcnt vmcnt(0)
	v_cvt_f32_f16_e32 v7, v7
	s_waitcnt lgkmcnt(1)
	v_sub_f32_e32 v4, v7, v6
	v_mul_f32_e32 v4, v4, v14
	s_waitcnt lgkmcnt(0)
	v_fmac_f32_e32 v0, v4, v5
	v_add_f32_e32 v5, v3, v14
	v_mov_b32_e32 v11, v0
.LBB80_81:                              ;   in Loop: Header=BB80_53 Depth=1
	buffer_load_dword v0, off, s[36:39], 0  ; 4-byte Folded Reload
	buffer_load_dword v3, off, s[36:39], 0 offset:4 ; 4-byte Folded Reload
	s_add_u32 s24, s24, s7
	s_addc_u32 s25, s25, 0
	s_add_u32 s30, s30, s7
	s_addc_u32 s31, s31, 0
	s_waitcnt vmcnt(1)
	v_add_co_u32_e32 v0, vcc, s28, v0
	buffer_store_dword v0, off, s[36:39], 0 ; 4-byte Folded Spill
	v_mov_b32_e32 v0, s29
	s_waitcnt vmcnt(1)
	v_addc_co_u32_e32 v3, vcc, v3, v0, vcc
	buffer_store_dword v3, off, s[36:39], 0 offset:4 ; 4-byte Folded Spill
	buffer_load_dword v3, off, s[36:39], 0 offset:8 ; 4-byte Folded Reload
	s_waitcnt vmcnt(0)
	v_add_co_u32_e32 v3, vcc, s28, v3
	buffer_store_dword v3, off, s[36:39], 0 offset:8 ; 4-byte Folded Spill
	buffer_load_dword v3, off, s[36:39], 0 offset:12 ; 4-byte Folded Reload
	s_waitcnt vmcnt(0)
	v_addc_co_u32_e32 v3, vcc, v3, v0, vcc
	buffer_store_dword v3, off, s[36:39], 0 offset:12 ; 4-byte Folded Spill
	buffer_load_dword v3, off, s[36:39], 0 offset:16 ; 4-byte Folded Reload
	v_add_co_u32_e32 v19, vcc, s28, v19
	v_addc_co_u32_e32 v20, vcc, v20, v0, vcc
	v_add_co_u32_e32 v23, vcc, s28, v23
	v_addc_co_u32_e32 v24, vcc, v24, v0, vcc
	;; [unrolled: 2-line block ×14, first 2 shown]
	s_waitcnt vmcnt(0)
	v_add_co_u32_e32 v3, vcc, s28, v3
	buffer_store_dword v3, off, s[36:39], 0 offset:16 ; 4-byte Folded Spill
	buffer_load_dword v3, off, s[36:39], 0 offset:20 ; 4-byte Folded Reload
	s_waitcnt vmcnt(0)
	v_addc_co_u32_e32 v3, vcc, v3, v0, vcc
	buffer_store_dword v3, off, s[36:39], 0 offset:20 ; 4-byte Folded Spill
	buffer_load_dword v3, off, s[36:39], 0 offset:24 ; 4-byte Folded Reload
	s_waitcnt vmcnt(0)
	v_add_co_u32_e32 v3, vcc, s28, v3
	buffer_store_dword v3, off, s[36:39], 0 offset:24 ; 4-byte Folded Spill
	buffer_load_dword v3, off, s[36:39], 0 offset:28 ; 4-byte Folded Reload
	s_waitcnt vmcnt(0)
	v_addc_co_u32_e32 v3, vcc, v3, v0, vcc
	buffer_store_dword v3, off, s[36:39], 0 offset:28 ; 4-byte Folded Spill
	buffer_load_dword v3, off, s[36:39], 0 offset:32 ; 4-byte Folded Reload
	;; [unrolled: 8-line block ×9, first 2 shown]
	s_waitcnt vmcnt(0)
	v_add_co_u32_e32 v3, vcc, s28, v3
	buffer_store_dword v3, off, s[36:39], 0 offset:88 ; 4-byte Folded Spill
	buffer_load_dword v3, off, s[36:39], 0 offset:92 ; 4-byte Folded Reload
	s_waitcnt vmcnt(0)
	v_addc_co_u32_e32 v3, vcc, v3, v0, vcc
	v_add_co_u32_e32 v58, vcc, s28, v58
	v_addc_co_u32_e32 v59, vcc, v59, v0, vcc
	v_add_co_u32_e32 v60, vcc, s28, v60
	;; [unrolled: 2-line block ×3, first 2 shown]
	v_addc_co_u32_e32 v63, vcc, v63, v0, vcc
	buffer_store_dword v3, off, s[36:39], 0 offset:92 ; 4-byte Folded Spill
	v_add_co_u32_e32 v49, vcc, s28, v49
	v_mov_b32_e32 v3, s12
	v_addc_co_u32_e32 v50, vcc, v50, v0, vcc
	v_mov_b32_e32 v4, s13
	v_cmp_ge_i64_e32 vcc, s[24:25], v[3:4]
	s_cbranch_vccnz .LBB80_83
; %bb.82:                               ;   in Loop: Header=BB80_53 Depth=1
	v_mov_b32_e32 v57, v5
	v_mov_b32_e32 v0, v11
	s_branch .LBB80_53
.LBB80_83:
	buffer_load_dword v61, off, s[36:39], 0 offset:96 ; 4-byte Folded Reload
	buffer_load_dword v1, off, s[36:39], 0 offset:100 ; 4-byte Folded Reload
	v_mov_b32_e32 v60, v5
.LBB80_84:
	s_movk_i32 s0, 0x41
	s_waitcnt vmcnt(0)
	v_mad_u32_u24 v0, v1, s0, v61
	v_lshl_add_u32 v0, v0, 2, 0
	ds_write_b32 v0, v11
	ds_write_b32 v0, v60 offset:4160
	v_lshrrev_b32_e32 v0, 6, v61
	v_add_u32_e32 v2, v0, v1
	v_cmp_gt_u32_e32 vcc, 64, v2
	s_waitcnt lgkmcnt(0)
	s_barrier
	s_and_saveexec_b64 s[0:1], vcc
	s_cbranch_execz .LBB80_116
; %bb.85:
	s_load_dwordx4 s[8:11], s[4:5], 0x30
	v_and_b32_e32 v0, 63, v61
	v_cmp_gt_u32_e64 s[0:1], 16, v0
	v_mul_u32_u24_e32 v3, 0x41, v0
                                        ; implicit-def: $vgpr0
                                        ; implicit-def: $vgpr1
	s_and_saveexec_b64 s[2:3], s[0:1]
	s_cbranch_execz .LBB80_87
; %bb.86:
	v_add_u32_e32 v0, v2, v3
	v_lshl_add_u32 v0, v0, 2, 0
	ds_read_b32 v1, v0
	ds_read_b32 v0, v0 offset:4160
.LBB80_87:
	s_or_b64 exec, exec, s[2:3]
	v_mbcnt_lo_u32_b32 v4, -1, 0
	v_mbcnt_hi_u32_b32 v7, -1, v4
	v_and_b32_e32 v4, 64, v7
	v_add_u32_e32 v8, 64, v4
	v_xor_b32_e32 v4, 8, v7
	v_cmp_lt_i32_e32 vcc, v4, v8
	v_cndmask_b32_e32 v4, v7, v4, vcc
	v_lshlrev_b32_e32 v4, 2, v4
	s_waitcnt lgkmcnt(0)
	ds_bpermute_b32 v5, v4, v1
	v_xor_b32_e32 v6, 4, v7
	v_cmp_lt_i32_e32 vcc, v6, v8
	ds_bpermute_b32 v9, v4, v0
	s_mov_b32 s7, 0
	s_waitcnt lgkmcnt(1)
	v_add_f32_e32 v1, v1, v5
	v_cndmask_b32_e32 v5, v7, v6, vcc
	v_lshlrev_b32_e32 v5, 2, v5
	ds_bpermute_b32 v6, v5, v1
	s_waitcnt lgkmcnt(1)
	v_add_f32_e32 v0, v0, v9
	ds_bpermute_b32 v9, v5, v0
	s_lshl_b64 s[4:5], s[6:7], 6
	s_cmp_lg_u64 s[8:9], 0
	s_waitcnt lgkmcnt(1)
	v_add_f32_e32 v1, v1, v6
	v_xor_b32_e32 v6, 2, v7
	v_cmp_lt_i32_e32 vcc, v6, v8
	v_cndmask_b32_e32 v6, v7, v6, vcc
	v_lshlrev_b32_e32 v6, 2, v6
	ds_bpermute_b32 v10, v6, v1
	s_waitcnt lgkmcnt(1)
	v_add_f32_e32 v0, v0, v9
	ds_bpermute_b32 v9, v6, v0
	v_cmp_eq_u32_e64 s[2:3], 0, v61
	s_cselect_b64 s[12:13], -1, 0
	s_waitcnt lgkmcnt(1)
	v_add_f32_e32 v1, v1, v10
	v_xor_b32_e32 v10, 1, v7
	v_cmp_lt_i32_e32 vcc, v10, v8
	v_cndmask_b32_e32 v7, v7, v10, vcc
	v_lshlrev_b32_e32 v7, 2, v7
	ds_bpermute_b32 v8, v7, v1
	s_waitcnt lgkmcnt(1)
	v_add_f32_e32 v9, v0, v9
	ds_bpermute_b32 v10, v7, v9
	v_or_b32_e32 v0, s4, v2
	s_cmp_lg_u64 s[10:11], 0
	s_waitcnt lgkmcnt(1)
	v_add_f32_e32 v8, v1, v8
	v_mov_b32_e32 v1, s5
	v_cmp_gt_i64_e32 vcc, s[14:15], v[0:1]
	s_cselect_b64 s[6:7], -1, 0
	s_waitcnt lgkmcnt(0)
	v_add_f32_e32 v9, v9, v10
	s_and_b64 s[18:19], s[2:3], vcc
	s_and_saveexec_b64 s[16:17], s[18:19]
	s_cbranch_execz .LBB80_92
; %bb.88:
	v_lshlrev_b64 v[0:1], 1, v[0:1]
	s_andn2_b64 vcc, exec, s[12:13]
	s_cbranch_vccnz .LBB80_90
; %bb.89:
	v_cvt_f16_f32_e32 v12, v8
	v_mov_b32_e32 v11, s9
	v_add_co_u32_e32 v10, vcc, s8, v0
	v_addc_co_u32_e32 v11, vcc, v11, v1, vcc
	global_store_short v[10:11], v12, off
.LBB80_90:
	s_andn2_b64 vcc, exec, s[6:7]
	s_cbranch_vccnz .LBB80_92
; %bb.91:
	v_cvt_f16_f32_e32 v11, v9
	v_mov_b32_e32 v10, s11
	v_add_co_u32_e32 v0, vcc, s10, v0
	v_addc_co_u32_e32 v1, vcc, v10, v1, vcc
	global_store_short v[0:1], v11, off
.LBB80_92:
	s_or_b64 exec, exec, s[16:17]
	v_cmp_gt_u32_e32 vcc, 48, v2
	s_and_b64 exec, exec, vcc
	s_cbranch_execz .LBB80_116
; %bb.93:
	s_and_saveexec_b64 s[16:17], s[0:1]
	s_cbranch_execz .LBB80_95
; %bb.94:
	v_add_u32_e32 v0, v2, v3
	v_lshl_add_u32 v0, v0, 2, 0
	ds_read_b32 v8, v0 offset:64
	ds_read_b32 v9, v0 offset:4224
.LBB80_95:
	s_or_b64 exec, exec, s[16:17]
	s_waitcnt lgkmcnt(1)
	ds_bpermute_b32 v0, v4, v8
	s_waitcnt lgkmcnt(1)
	ds_bpermute_b32 v1, v4, v9
	v_add_u32_e32 v10, 16, v2
	v_mov_b32_e32 v11, s5
	s_waitcnt lgkmcnt(1)
	v_add_f32_e32 v0, v8, v0
	s_waitcnt lgkmcnt(0)
	v_add_f32_e32 v1, v9, v1
	ds_bpermute_b32 v8, v5, v0
	ds_bpermute_b32 v9, v5, v1
	s_waitcnt lgkmcnt(1)
	v_add_f32_e32 v0, v0, v8
	s_waitcnt lgkmcnt(0)
	v_add_f32_e32 v1, v1, v9
	ds_bpermute_b32 v8, v6, v0
	ds_bpermute_b32 v9, v6, v1
	;; [unrolled: 6-line block ×3, first 2 shown]
	v_add_co_u32_e32 v0, vcc, s4, v10
	v_addc_co_u32_e32 v1, vcc, 0, v11, vcc
	v_cmp_gt_i64_e32 vcc, s[14:15], v[0:1]
	s_waitcnt lgkmcnt(1)
	v_add_f32_e32 v0, v8, v12
	s_waitcnt lgkmcnt(0)
	v_add_f32_e32 v1, v9, v13
	s_and_b64 s[18:19], s[2:3], vcc
	s_and_saveexec_b64 s[16:17], s[18:19]
	s_cbranch_execz .LBB80_100
; %bb.96:
	s_andn2_b64 vcc, exec, s[12:13]
	s_cbranch_vccnz .LBB80_98
; %bb.97:
	v_mov_b32_e32 v9, s5
	v_add_co_u32_e32 v8, vcc, s4, v2
	v_addc_co_u32_e32 v9, vcc, 0, v9, vcc
	v_lshlrev_b64 v[8:9], 1, v[8:9]
	v_cvt_f16_f32_e32 v11, v0
	v_mov_b32_e32 v10, s9
	v_add_co_u32_e32 v8, vcc, s8, v8
	v_addc_co_u32_e32 v9, vcc, v10, v9, vcc
	global_store_short v[8:9], v11, off offset:32
.LBB80_98:
	s_andn2_b64 vcc, exec, s[6:7]
	s_cbranch_vccnz .LBB80_100
; %bb.99:
	v_mov_b32_e32 v9, s5
	v_add_co_u32_e32 v8, vcc, s4, v2
	v_addc_co_u32_e32 v9, vcc, 0, v9, vcc
	v_lshlrev_b64 v[8:9], 1, v[8:9]
	v_cvt_f16_f32_e32 v11, v1
	v_mov_b32_e32 v10, s11
	v_add_co_u32_e32 v8, vcc, s10, v8
	v_addc_co_u32_e32 v9, vcc, v10, v9, vcc
	global_store_short v[8:9], v11, off offset:32
.LBB80_100:
	s_or_b64 exec, exec, s[16:17]
	v_cmp_gt_u32_e32 vcc, 32, v2
	s_and_b64 exec, exec, vcc
	s_cbranch_execz .LBB80_116
; %bb.101:
	s_and_saveexec_b64 s[16:17], s[0:1]
	s_cbranch_execz .LBB80_103
; %bb.102:
	v_add_u32_e32 v0, v2, v3
	v_lshl_add_u32 v1, v0, 2, 0
	ds_read_b32 v0, v1 offset:128
	ds_read_b32 v1, v1 offset:4288
.LBB80_103:
	s_or_b64 exec, exec, s[16:17]
	s_waitcnt lgkmcnt(1)
	ds_bpermute_b32 v8, v4, v0
	s_waitcnt lgkmcnt(1)
	ds_bpermute_b32 v9, v4, v1
	v_add_u32_e32 v10, 32, v2
	s_waitcnt lgkmcnt(1)
	v_add_f32_e32 v0, v0, v8
	s_waitcnt lgkmcnt(0)
	v_add_f32_e32 v1, v1, v9
	ds_bpermute_b32 v8, v5, v0
	ds_bpermute_b32 v9, v5, v1
	s_waitcnt lgkmcnt(1)
	v_add_f32_e32 v0, v0, v8
	s_waitcnt lgkmcnt(0)
	v_add_f32_e32 v1, v1, v9
	ds_bpermute_b32 v8, v6, v0
	ds_bpermute_b32 v9, v6, v1
	;; [unrolled: 6-line block ×3, first 2 shown]
	v_mov_b32_e32 v1, s5
	v_or_b32_e32 v0, s4, v10
	v_cmp_gt_i64_e32 vcc, s[14:15], v[0:1]
	s_waitcnt lgkmcnt(1)
	v_add_f32_e32 v0, v8, v11
	s_waitcnt lgkmcnt(0)
	v_add_f32_e32 v1, v9, v12
	s_and_b64 s[18:19], s[2:3], vcc
	s_and_saveexec_b64 s[16:17], s[18:19]
	s_cbranch_execz .LBB80_108
; %bb.104:
	s_andn2_b64 vcc, exec, s[12:13]
	s_cbranch_vccnz .LBB80_106
; %bb.105:
	v_mov_b32_e32 v9, s5
	v_add_co_u32_e32 v8, vcc, s4, v2
	v_addc_co_u32_e32 v9, vcc, 0, v9, vcc
	v_lshlrev_b64 v[8:9], 1, v[8:9]
	v_cvt_f16_f32_e32 v11, v0
	v_mov_b32_e32 v10, s9
	v_add_co_u32_e32 v8, vcc, s8, v8
	v_addc_co_u32_e32 v9, vcc, v10, v9, vcc
	global_store_short v[8:9], v11, off offset:64
.LBB80_106:
	s_andn2_b64 vcc, exec, s[6:7]
	s_cbranch_vccnz .LBB80_108
; %bb.107:
	v_mov_b32_e32 v9, s5
	v_add_co_u32_e32 v8, vcc, s4, v2
	v_addc_co_u32_e32 v9, vcc, 0, v9, vcc
	v_lshlrev_b64 v[8:9], 1, v[8:9]
	v_cvt_f16_f32_e32 v11, v1
	v_mov_b32_e32 v10, s11
	v_add_co_u32_e32 v8, vcc, s10, v8
	v_addc_co_u32_e32 v9, vcc, v10, v9, vcc
	global_store_short v[8:9], v11, off offset:64
.LBB80_108:
	s_or_b64 exec, exec, s[16:17]
	v_cmp_gt_u32_e32 vcc, 16, v2
	s_and_b64 exec, exec, vcc
	s_cbranch_execz .LBB80_116
; %bb.109:
	s_and_saveexec_b64 s[16:17], s[0:1]
	s_cbranch_execz .LBB80_111
; %bb.110:
	v_add_u32_e32 v0, v2, v3
	v_lshl_add_u32 v1, v0, 2, 0
	ds_read_b32 v0, v1 offset:192
	ds_read_b32 v1, v1 offset:4352
.LBB80_111:
	s_or_b64 exec, exec, s[16:17]
	s_waitcnt lgkmcnt(1)
	ds_bpermute_b32 v3, v4, v0
	s_waitcnt lgkmcnt(1)
	ds_bpermute_b32 v4, v4, v1
	s_waitcnt lgkmcnt(1)
	v_add_f32_e32 v0, v0, v3
	s_waitcnt lgkmcnt(0)
	v_add_f32_e32 v1, v1, v4
	ds_bpermute_b32 v3, v5, v0
	ds_bpermute_b32 v4, v5, v1
	v_add_u32_e32 v5, 48, v2
	v_or_b32_e32 v5, s4, v5
	s_waitcnt lgkmcnt(1)
	v_add_f32_e32 v0, v0, v3
	s_waitcnt lgkmcnt(0)
	v_add_f32_e32 v1, v1, v4
	ds_bpermute_b32 v3, v6, v0
	ds_bpermute_b32 v4, v6, v1
	v_mov_b32_e32 v6, s5
	v_cmp_gt_i64_e32 vcc, s[14:15], v[5:6]
	s_waitcnt lgkmcnt(1)
	v_add_f32_e32 v3, v0, v3
	s_waitcnt lgkmcnt(0)
	v_add_f32_e32 v0, v1, v4
	ds_bpermute_b32 v4, v7, v3
	ds_bpermute_b32 v1, v7, v0
	s_and_b64 s[0:1], s[2:3], vcc
	s_and_b64 exec, exec, s[0:1]
	s_cbranch_execz .LBB80_116
; %bb.112:
	s_andn2_b64 vcc, exec, s[12:13]
	s_cbranch_vccnz .LBB80_114
; %bb.113:
	s_waitcnt lgkmcnt(1)
	v_add_f32_e32 v5, v3, v4
	v_mov_b32_e32 v4, s5
	v_add_co_u32_e32 v3, vcc, s4, v2
	v_addc_co_u32_e32 v4, vcc, 0, v4, vcc
	v_lshlrev_b64 v[3:4], 1, v[3:4]
	v_cvt_f16_f32_e32 v5, v5
	v_mov_b32_e32 v6, s9
	v_add_co_u32_e32 v3, vcc, s8, v3
	v_addc_co_u32_e32 v4, vcc, v6, v4, vcc
	global_store_short v[3:4], v5, off offset:96
.LBB80_114:
	s_andn2_b64 vcc, exec, s[6:7]
	s_cbranch_vccnz .LBB80_116
; %bb.115:
	s_waitcnt lgkmcnt(0)
	v_add_f32_e32 v3, v0, v1
	v_mov_b32_e32 v1, s5
	v_add_co_u32_e32 v0, vcc, s4, v2
	v_addc_co_u32_e32 v1, vcc, 0, v1, vcc
	v_lshlrev_b64 v[0:1], 1, v[0:1]
	v_cvt_f16_f32_e32 v3, v3
	v_mov_b32_e32 v2, s11
	v_add_co_u32_e32 v0, vcc, s10, v0
	v_addc_co_u32_e32 v1, vcc, v2, v1, vcc
	global_store_short v[0:1], v3, off offset:96
.LBB80_116:
	s_endpgm
	.section	.rodata,"a",@progbits
	.p2align	6, 0x0
	.amdhsa_kernel _ZN2at6native12_GLOBAL__N_135GammaBetaBackwardCUDAKernelTemplateIN3c104HalfEfLj64ELj16ELj128ELb0ELb0ELb0EEEvllPKT_S7_PKT0_SA_PS5_SB_
		.amdhsa_group_segment_fixed_size 0
		.amdhsa_private_segment_fixed_size 116
		.amdhsa_kernarg_size 320
		.amdhsa_user_sgpr_count 6
		.amdhsa_user_sgpr_private_segment_buffer 1
		.amdhsa_user_sgpr_dispatch_ptr 0
		.amdhsa_user_sgpr_queue_ptr 0
		.amdhsa_user_sgpr_kernarg_segment_ptr 1
		.amdhsa_user_sgpr_dispatch_id 0
		.amdhsa_user_sgpr_flat_scratch_init 0
		.amdhsa_user_sgpr_private_segment_size 0
		.amdhsa_uses_dynamic_stack 0
		.amdhsa_system_sgpr_private_segment_wavefront_offset 1
		.amdhsa_system_sgpr_workgroup_id_x 1
		.amdhsa_system_sgpr_workgroup_id_y 1
		.amdhsa_system_sgpr_workgroup_id_z 0
		.amdhsa_system_sgpr_workgroup_info 0
		.amdhsa_system_vgpr_workitem_id 1
		.amdhsa_next_free_vgpr 64
		.amdhsa_next_free_sgpr 40
		.amdhsa_reserve_vcc 1
		.amdhsa_reserve_flat_scratch 0
		.amdhsa_float_round_mode_32 0
		.amdhsa_float_round_mode_16_64 0
		.amdhsa_float_denorm_mode_32 3
		.amdhsa_float_denorm_mode_16_64 3
		.amdhsa_dx10_clamp 1
		.amdhsa_ieee_mode 1
		.amdhsa_fp16_overflow 0
		.amdhsa_exception_fp_ieee_invalid_op 0
		.amdhsa_exception_fp_denorm_src 0
		.amdhsa_exception_fp_ieee_div_zero 0
		.amdhsa_exception_fp_ieee_overflow 0
		.amdhsa_exception_fp_ieee_underflow 0
		.amdhsa_exception_fp_ieee_inexact 0
		.amdhsa_exception_int_div_zero 0
	.end_amdhsa_kernel
	.section	.text._ZN2at6native12_GLOBAL__N_135GammaBetaBackwardCUDAKernelTemplateIN3c104HalfEfLj64ELj16ELj128ELb0ELb0ELb0EEEvllPKT_S7_PKT0_SA_PS5_SB_,"axG",@progbits,_ZN2at6native12_GLOBAL__N_135GammaBetaBackwardCUDAKernelTemplateIN3c104HalfEfLj64ELj16ELj128ELb0ELb0ELb0EEEvllPKT_S7_PKT0_SA_PS5_SB_,comdat
.Lfunc_end80:
	.size	_ZN2at6native12_GLOBAL__N_135GammaBetaBackwardCUDAKernelTemplateIN3c104HalfEfLj64ELj16ELj128ELb0ELb0ELb0EEEvllPKT_S7_PKT0_SA_PS5_SB_, .Lfunc_end80-_ZN2at6native12_GLOBAL__N_135GammaBetaBackwardCUDAKernelTemplateIN3c104HalfEfLj64ELj16ELj128ELb0ELb0ELb0EEEvllPKT_S7_PKT0_SA_PS5_SB_
                                        ; -- End function
	.set _ZN2at6native12_GLOBAL__N_135GammaBetaBackwardCUDAKernelTemplateIN3c104HalfEfLj64ELj16ELj128ELb0ELb0ELb0EEEvllPKT_S7_PKT0_SA_PS5_SB_.num_vgpr, 64
	.set _ZN2at6native12_GLOBAL__N_135GammaBetaBackwardCUDAKernelTemplateIN3c104HalfEfLj64ELj16ELj128ELb0ELb0ELb0EEEvllPKT_S7_PKT0_SA_PS5_SB_.num_agpr, 0
	.set _ZN2at6native12_GLOBAL__N_135GammaBetaBackwardCUDAKernelTemplateIN3c104HalfEfLj64ELj16ELj128ELb0ELb0ELb0EEEvllPKT_S7_PKT0_SA_PS5_SB_.numbered_sgpr, 40
	.set _ZN2at6native12_GLOBAL__N_135GammaBetaBackwardCUDAKernelTemplateIN3c104HalfEfLj64ELj16ELj128ELb0ELb0ELb0EEEvllPKT_S7_PKT0_SA_PS5_SB_.num_named_barrier, 0
	.set _ZN2at6native12_GLOBAL__N_135GammaBetaBackwardCUDAKernelTemplateIN3c104HalfEfLj64ELj16ELj128ELb0ELb0ELb0EEEvllPKT_S7_PKT0_SA_PS5_SB_.private_seg_size, 116
	.set _ZN2at6native12_GLOBAL__N_135GammaBetaBackwardCUDAKernelTemplateIN3c104HalfEfLj64ELj16ELj128ELb0ELb0ELb0EEEvllPKT_S7_PKT0_SA_PS5_SB_.uses_vcc, 1
	.set _ZN2at6native12_GLOBAL__N_135GammaBetaBackwardCUDAKernelTemplateIN3c104HalfEfLj64ELj16ELj128ELb0ELb0ELb0EEEvllPKT_S7_PKT0_SA_PS5_SB_.uses_flat_scratch, 0
	.set _ZN2at6native12_GLOBAL__N_135GammaBetaBackwardCUDAKernelTemplateIN3c104HalfEfLj64ELj16ELj128ELb0ELb0ELb0EEEvllPKT_S7_PKT0_SA_PS5_SB_.has_dyn_sized_stack, 0
	.set _ZN2at6native12_GLOBAL__N_135GammaBetaBackwardCUDAKernelTemplateIN3c104HalfEfLj64ELj16ELj128ELb0ELb0ELb0EEEvllPKT_S7_PKT0_SA_PS5_SB_.has_recursion, 0
	.set _ZN2at6native12_GLOBAL__N_135GammaBetaBackwardCUDAKernelTemplateIN3c104HalfEfLj64ELj16ELj128ELb0ELb0ELb0EEEvllPKT_S7_PKT0_SA_PS5_SB_.has_indirect_call, 0
	.section	.AMDGPU.csdata,"",@progbits
; Kernel info:
; codeLenInByte = 9644
; TotalNumSgprs: 44
; NumVgprs: 64
; ScratchSize: 116
; MemoryBound: 0
; FloatMode: 240
; IeeeMode: 1
; LDSByteSize: 0 bytes/workgroup (compile time only)
; SGPRBlocks: 5
; VGPRBlocks: 15
; NumSGPRsForWavesPerEU: 44
; NumVGPRsForWavesPerEU: 64
; Occupancy: 4
; WaveLimiterHint : 0
; COMPUTE_PGM_RSRC2:SCRATCH_EN: 1
; COMPUTE_PGM_RSRC2:USER_SGPR: 6
; COMPUTE_PGM_RSRC2:TRAP_HANDLER: 0
; COMPUTE_PGM_RSRC2:TGID_X_EN: 1
; COMPUTE_PGM_RSRC2:TGID_Y_EN: 1
; COMPUTE_PGM_RSRC2:TGID_Z_EN: 0
; COMPUTE_PGM_RSRC2:TIDIG_COMP_CNT: 1
	.section	.text._ZN2at6native12_GLOBAL__N_135GammaBetaBackwardCUDAKernelTemplateIN3c104HalfEfLj64ELj16ELj256ELb0ELb1ELb0EEEvllPKT_S7_PKT0_SA_PS5_SB_,"axG",@progbits,_ZN2at6native12_GLOBAL__N_135GammaBetaBackwardCUDAKernelTemplateIN3c104HalfEfLj64ELj16ELj256ELb0ELb1ELb0EEEvllPKT_S7_PKT0_SA_PS5_SB_,comdat
	.globl	_ZN2at6native12_GLOBAL__N_135GammaBetaBackwardCUDAKernelTemplateIN3c104HalfEfLj64ELj16ELj256ELb0ELb1ELb0EEEvllPKT_S7_PKT0_SA_PS5_SB_ ; -- Begin function _ZN2at6native12_GLOBAL__N_135GammaBetaBackwardCUDAKernelTemplateIN3c104HalfEfLj64ELj16ELj256ELb0ELb1ELb0EEEvllPKT_S7_PKT0_SA_PS5_SB_
	.p2align	8
	.type	_ZN2at6native12_GLOBAL__N_135GammaBetaBackwardCUDAKernelTemplateIN3c104HalfEfLj64ELj16ELj256ELb0ELb1ELb0EEEvllPKT_S7_PKT0_SA_PS5_SB_,@function
_ZN2at6native12_GLOBAL__N_135GammaBetaBackwardCUDAKernelTemplateIN3c104HalfEfLj64ELj16ELj256ELb0ELb1ELb0EEEvllPKT_S7_PKT0_SA_PS5_SB_: ; @_ZN2at6native12_GLOBAL__N_135GammaBetaBackwardCUDAKernelTemplateIN3c104HalfEfLj64ELj16ELj256ELb0ELb1ELb0EEEvllPKT_S7_PKT0_SA_PS5_SB_
; %bb.0:
	s_load_dwordx4 s[20:23], s[4:5], 0x0
	s_lshl_b32 s24, s7, 8
	s_mov_b32 s25, 0
	v_mov_b32_e32 v2, s24
	v_mov_b32_e32 v3, s25
	s_waitcnt lgkmcnt(0)
	v_cmp_gt_i64_e32 vcc, s[20:21], v[2:3]
	s_cbranch_vccnz .LBB81_2
; %bb.1:
	s_mov_b64 s[0:1], 0
	s_branch .LBB81_3
.LBB81_2:
	s_mov_b64 s[0:1], -1
.LBB81_3:
	s_load_dwordx4 s[16:19], s[4:5], 0x30
	v_mov_b32_e32 v24, 0
	s_andn2_b64 vcc, exec, s[0:1]
	v_mbcnt_lo_u32_b32 v11, -1, 0
	v_mov_b32_e32 v6, 0
	s_cbranch_vccnz .LBB81_10
; %bb.4:
	s_load_dword s0, s[4:5], 0x4c
	s_load_dword s7, s[4:5], 0x44
	s_load_dwordx8 s[8:15], s[4:5], 0x10
	v_lshlrev_b32_e32 v2, 4, v1
	v_add_co_u32_e32 v8, vcc, s24, v2
	s_waitcnt lgkmcnt(0)
	s_and_b32 s0, s0, 0xffff
	v_mad_u32_u24 v3, v1, s0, v0
	v_and_b32_e32 v7, 63, v3
	v_mbcnt_hi_u32_b32 v3, -1, v11
	v_lshlrev_b32_e32 v3, 2, v3
	v_addc_co_u32_e64 v9, s[2:3], 0, 0, vcc
	v_and_b32_e32 v12, 0x100, v3
	v_mul_lo_u32 v4, s23, v8
	v_mul_lo_u32 v10, s22, v9
	v_mad_u64_u32 v[2:3], s[2:3], s22, v8, 0
	v_mov_b32_e32 v6, 0
	v_lshl_add_u32 v5, s6, 6, v0
	v_add3_u32 v3, v3, v10, v4
	v_lshlrev_b64 v[2:3], 1, v[2:3]
	v_lshlrev_b64 v[4:5], 1, v[5:6]
	s_lshl_b32 s4, s7, 8
	v_add_co_u32_e32 v19, vcc, v2, v4
	v_addc_co_u32_e32 v20, vcc, v3, v5, vcc
	v_add_co_u32_e32 v2, vcc, v8, v7
	v_addc_co_u32_e32 v3, vcc, 0, v9, vcc
	s_mul_i32 s2, s23, s4
	s_mul_hi_u32 s3, s22, s4
	s_mov_b32 s5, 0
	s_add_i32 s3, s3, s2
	s_mul_i32 s2, s22, s4
	v_lshlrev_b64 v[4:5], 2, v[2:3]
	v_cmp_gt_u32_e64 s[0:1], 16, v7
	v_or_b32_e32 v13, 4, v12
	v_or_b32_e32 v14, 8, v12
	;; [unrolled: 1-line block ×10, first 2 shown]
	s_lshl_b64 s[26:27], s[4:5], 2
	s_lshl_b64 s[28:29], s[2:3], 1
	;; [unrolled: 1-line block ×3, first 2 shown]
	v_or_b32_e32 v26, 44, v12
	v_or_b32_e32 v27, 48, v12
	;; [unrolled: 1-line block ×5, first 2 shown]
	v_mov_b32_e32 v24, v6
	s_branch .LBB81_7
.LBB81_5:                               ;   in Loop: Header=BB81_7 Depth=1
	s_or_b64 exec, exec, s[30:31]
.LBB81_6:                               ;   in Loop: Header=BB81_7 Depth=1
	s_or_b64 exec, exec, s[2:3]
	v_mov_b32_e32 v8, s11
	v_add_co_u32_e32 v7, vcc, s10, v19
	v_addc_co_u32_e32 v8, vcc, v8, v20, vcc
	v_mov_b32_e32 v9, s9
	v_add_co_u32_e32 v36, vcc, s8, v19
	v_addc_co_u32_e32 v37, vcc, v9, v20, vcc
	v_mov_b32_e32 v33, s23
	v_add_co_u32_e32 v9, vcc, s22, v7
	v_addc_co_u32_e32 v10, vcc, v8, v33, vcc
	global_load_ushort v34, v[7:8], off
	global_load_ushort v43, v[9:10], off
	v_add_co_u32_e32 v7, vcc, s22, v36
	v_addc_co_u32_e32 v8, vcc, v37, v33, vcc
	v_add_co_u32_e32 v9, vcc, s22, v9
	v_addc_co_u32_e32 v10, vcc, v10, v33, vcc
	global_load_ushort v35, v[36:37], off
	global_load_ushort v44, v[7:8], off
	v_add_co_u32_e32 v36, vcc, s22, v7
	v_addc_co_u32_e32 v37, vcc, v8, v33, vcc
	v_add_co_u32_e32 v7, vcc, s22, v9
	v_addc_co_u32_e32 v8, vcc, v10, v33, vcc
	global_load_ushort v9, v[9:10], off
	v_add_co_u32_e32 v38, vcc, s22, v36
	v_addc_co_u32_e32 v39, vcc, v37, v33, vcc
	global_load_ushort v45, v[36:37], off
	global_load_ushort v46, v[7:8], off
	;; [unrolled: 1-line block ×3, first 2 shown]
	v_add_co_u32_e32 v7, vcc, s22, v7
	v_addc_co_u32_e32 v8, vcc, v8, v33, vcc
	v_add_co_u32_e32 v37, vcc, s22, v38
	v_addc_co_u32_e32 v38, vcc, v39, v33, vcc
	;; [unrolled: 2-line block ×3, first 2 shown]
	global_load_ushort v36, v[7:8], off
	v_add_co_u32_e32 v41, vcc, s22, v37
	global_load_ushort v37, v[37:38], off
	s_waitcnt vmcnt(11)
	ds_bpermute_b32 v48, v12, v32
	ds_bpermute_b32 v50, v13, v32
	s_waitcnt vmcnt(10)
	ds_bpermute_b32 v49, v12, v31
	ds_bpermute_b32 v52, v14, v32
	v_addc_co_u32_e32 v42, vcc, v38, v33, vcc
	ds_bpermute_b32 v51, v13, v31
	ds_bpermute_b32 v54, v15, v32
	;; [unrolled: 1-line block ×6, first 2 shown]
	s_add_u32 s24, s24, s4
	s_addc_u32 s25, s25, 0
	v_add_co_u32_e64 v19, s[2:3], s28, v19
	s_waitcnt vmcnt(9)
	v_cvt_f32_f16_e32 v34, v34
	s_waitcnt vmcnt(8)
	v_cvt_f32_f16_e32 v38, v43
	s_waitcnt lgkmcnt(9)
	v_sub_f32_e32 v34, v34, v48
	s_waitcnt vmcnt(7)
	v_cvt_f32_f16_e32 v35, v35
	s_waitcnt vmcnt(6)
	v_cvt_f32_f16_e32 v7, v44
	v_add_f32_e32 v6, v6, v35
	v_mul_f32_e32 v34, v34, v35
	s_waitcnt lgkmcnt(8)
	v_sub_f32_e32 v35, v38, v50
	s_waitcnt lgkmcnt(7)
	v_fmac_f32_e32 v24, v34, v49
	v_mul_f32_e32 v34, v35, v7
	s_waitcnt lgkmcnt(5)
	v_fmac_f32_e32 v24, v34, v51
	s_waitcnt vmcnt(5)
	v_cvt_f32_f16_e32 v43, v9
	global_load_ushort v38, v[41:42], off
	v_add_f32_e32 v6, v6, v7
	s_waitcnt vmcnt(5)
	v_cvt_f32_f16_e32 v8, v45
	s_waitcnt vmcnt(4)
	v_cvt_f32_f16_e32 v44, v46
	;; [unrolled: 2-line block ×3, first 2 shown]
	v_sub_f32_e32 v35, v43, v52
	v_mul_f32_e32 v34, v35, v8
	s_waitcnt lgkmcnt(4)
	v_sub_f32_e32 v35, v44, v54
	s_waitcnt lgkmcnt(3)
	v_fmac_f32_e32 v24, v34, v53
	v_mul_f32_e32 v34, v35, v9
	s_waitcnt lgkmcnt(2)
	v_fmac_f32_e32 v24, v34, v55
	v_add_co_u32_e32 v34, vcc, s22, v39
	global_load_ushort v39, v[39:40], off
	v_addc_co_u32_e32 v35, vcc, v40, v33, vcc
	v_add_co_u32_e32 v43, vcc, s22, v41
	v_addc_co_u32_e32 v44, vcc, v42, v33, vcc
	v_add_co_u32_e32 v40, vcc, s22, v34
	v_addc_co_u32_e32 v41, vcc, v35, v33, vcc
	global_load_ushort v34, v[34:35], off
	v_add_co_u32_e32 v45, vcc, s22, v43
	v_addc_co_u32_e32 v46, vcc, v44, v33, vcc
	global_load_ushort v35, v[43:44], off
	;; [unrolled: 3-line block ×3, first 2 shown]
	v_add_co_u32_e32 v47, vcc, s22, v45
	v_addc_co_u32_e32 v48, vcc, v46, v33, vcc
	v_add_co_u32_e32 v44, vcc, s22, v42
	global_load_ushort v42, v[42:43], off
	s_waitcnt vmcnt(7)
	v_cvt_f32_f16_e32 v36, v36
	global_load_ushort v40, v[45:46], off
	v_addc_co_u32_e32 v45, vcc, v43, v33, vcc
	v_add_co_u32_e32 v49, vcc, s22, v47
	global_load_ushort v43, v[47:48], off
	v_addc_co_u32_e32 v50, vcc, v48, v33, vcc
	v_add_co_u32_e32 v46, vcc, s22, v44
	v_addc_co_u32_e32 v47, vcc, v45, v33, vcc
	v_add_co_u32_e32 v51, vcc, s22, v49
	global_load_ushort v44, v[44:45], off
	v_addc_co_u32_e32 v52, vcc, v50, v33, vcc
	global_load_ushort v45, v[49:50], off
	v_add_co_u32_e32 v48, vcc, s22, v46
	v_addc_co_u32_e32 v49, vcc, v47, v33, vcc
	global_load_ushort v55, v[46:47], off
	v_add_co_u32_e32 v53, vcc, s22, v51
	v_addc_co_u32_e32 v54, vcc, v52, v33, vcc
	v_add_co_u32_e32 v50, vcc, s22, v48
	global_load_ushort v46, v[51:52], off
	v_addc_co_u32_e32 v51, vcc, v49, v33, vcc
	global_load_ushort v56, v[48:49], off
	v_add_co_u32_e32 v47, vcc, s22, v53
	v_addc_co_u32_e32 v48, vcc, v54, v33, vcc
	global_load_ushort v54, v[53:54], off
	v_add_co_u32_e32 v52, vcc, s22, v50
	;; [unrolled: 3-line block ×3, first 2 shown]
	v_addc_co_u32_e32 v50, vcc, v48, v33, vcc
	global_load_ushort v57, v[47:48], off
	global_load_ushort v58, v[52:53], off
	v_add_co_u32_e32 v47, vcc, s22, v52
	s_waitcnt vmcnt(17)
	v_cvt_f32_f16_e32 v60, v37
	ds_bpermute_b32 v37, v16, v31
	v_addc_co_u32_e32 v48, vcc, v53, v33, vcc
	global_load_ushort v52, v[49:50], off
	global_load_ushort v53, v[47:48], off
	v_add_co_u32_e32 v49, vcc, s22, v49
	v_addc_co_u32_e32 v50, vcc, v50, v33, vcc
	s_waitcnt lgkmcnt(2)
	v_sub_f32_e32 v10, v36, v10
	v_mul_f32_e32 v10, v10, v60
	v_add_co_u32_e32 v36, vcc, s22, v49
	global_load_ushort v59, v[49:50], off
	s_waitcnt lgkmcnt(0)
	v_fmac_f32_e32 v24, v10, v37
	v_addc_co_u32_e32 v37, vcc, v50, v33, vcc
	global_load_ushort v49, v[36:37], off
	v_add_co_u32_e32 v36, vcc, s22, v47
	v_addc_co_u32_e32 v37, vcc, v48, v33, vcc
	global_load_ushort v33, v[36:37], off
	s_waitcnt vmcnt(20)
	v_cvt_f32_f16_e32 v39, v39
	v_cvt_f32_f16_e32 v38, v38
	s_waitcnt vmcnt(18)
	v_cvt_f32_f16_e32 v35, v35
	ds_bpermute_b32 v36, v18, v31
	v_sub_f32_e32 v10, v39, v61
	ds_bpermute_b32 v39, v17, v31
	v_mul_f32_e32 v10, v10, v38
	ds_bpermute_b32 v37, v21, v32
	v_add_f32_e32 v6, v6, v8
	v_add_f32_e32 v6, v6, v9
	s_waitcnt lgkmcnt(1)
	v_fmac_f32_e32 v24, v10, v39
	v_cvt_f32_f16_e32 v10, v34
	ds_bpermute_b32 v34, v18, v32
	s_waitcnt vmcnt(17)
	v_cvt_f32_f16_e32 v39, v41
	ds_bpermute_b32 v41, v22, v31
	v_add_f32_e32 v6, v6, v60
	v_add_f32_e32 v6, v6, v38
	s_waitcnt lgkmcnt(1)
	v_sub_f32_e32 v10, v10, v34
	v_mul_f32_e32 v10, v10, v35
	v_fmac_f32_e32 v24, v10, v36
	v_sub_f32_e32 v10, v39, v37
	s_waitcnt vmcnt(15)
	v_cvt_f32_f16_e32 v34, v40
	ds_bpermute_b32 v36, v21, v31
	ds_bpermute_b32 v39, v22, v32
	v_cvt_f32_f16_e32 v37, v42
	s_waitcnt vmcnt(14)
	v_cvt_f32_f16_e32 v40, v43
	v_mul_f32_e32 v10, v10, v34
	s_waitcnt lgkmcnt(1)
	v_fmac_f32_e32 v24, v10, v36
	s_waitcnt lgkmcnt(0)
	v_sub_f32_e32 v10, v37, v39
	v_mul_f32_e32 v10, v10, v40
	ds_bpermute_b32 v36, v23, v32
	v_fmac_f32_e32 v24, v10, v41
	s_waitcnt vmcnt(13)
	v_cvt_f32_f16_e32 v10, v44
	s_waitcnt vmcnt(12)
	v_cvt_f32_f16_e32 v37, v45
	ds_bpermute_b32 v39, v23, v31
	ds_bpermute_b32 v41, v25, v32
	s_waitcnt vmcnt(11)
	v_cvt_f32_f16_e32 v42, v55
	s_waitcnt lgkmcnt(2)
	v_sub_f32_e32 v10, v10, v36
	v_mul_f32_e32 v10, v10, v37
	s_waitcnt lgkmcnt(1)
	v_fmac_f32_e32 v24, v10, v39
	s_waitcnt lgkmcnt(0)
	v_sub_f32_e32 v10, v42, v41
	s_waitcnt vmcnt(10)
	v_cvt_f32_f16_e32 v36, v46
	ds_bpermute_b32 v39, v25, v31
	ds_bpermute_b32 v42, v26, v32
	s_waitcnt vmcnt(9)
	v_cvt_f32_f16_e32 v41, v56
	s_waitcnt vmcnt(8)
	v_cvt_f32_f16_e32 v43, v54
	ds_bpermute_b32 v44, v26, v31
	v_mul_f32_e32 v10, v10, v36
	s_waitcnt lgkmcnt(2)
	v_fmac_f32_e32 v24, v10, v39
	s_waitcnt lgkmcnt(1)
	v_sub_f32_e32 v10, v41, v42
	v_mul_f32_e32 v10, v10, v43
	ds_bpermute_b32 v39, v27, v32
	s_waitcnt lgkmcnt(1)
	v_fmac_f32_e32 v24, v10, v44
	s_waitcnt vmcnt(7)
	v_cvt_f32_f16_e32 v10, v51
	s_waitcnt vmcnt(6)
	v_cvt_f32_f16_e32 v41, v57
	ds_bpermute_b32 v42, v27, v31
	ds_bpermute_b32 v44, v28, v32
	s_waitcnt vmcnt(5)
	v_cvt_f32_f16_e32 v45, v58
	s_waitcnt lgkmcnt(2)
	v_sub_f32_e32 v10, v10, v39
	v_mul_f32_e32 v10, v10, v41
	s_waitcnt lgkmcnt(1)
	v_fmac_f32_e32 v24, v10, v42
	s_waitcnt lgkmcnt(0)
	v_sub_f32_e32 v10, v45, v44
	s_waitcnt vmcnt(4)
	v_cvt_f32_f16_e32 v39, v52
	ds_bpermute_b32 v42, v28, v31
	ds_bpermute_b32 v45, v29, v32
	s_waitcnt vmcnt(3)
	v_cvt_f32_f16_e32 v44, v53
	v_add_f32_e32 v6, v6, v35
	ds_bpermute_b32 v47, v29, v31
	v_add_f32_e32 v6, v6, v34
	v_add_f32_e32 v6, v6, v40
	s_waitcnt vmcnt(2)
	v_cvt_f32_f16_e32 v46, v59
	v_mul_f32_e32 v10, v10, v39
	v_add_f32_e32 v6, v6, v37
	ds_bpermute_b32 v8, v30, v32
	s_waitcnt lgkmcnt(3)
	v_fmac_f32_e32 v24, v10, v42
	s_waitcnt lgkmcnt(2)
	v_sub_f32_e32 v10, v44, v45
	v_add_f32_e32 v6, v6, v36
	v_mul_f32_e32 v10, v10, v46
	v_add_f32_e32 v6, v6, v43
	s_waitcnt vmcnt(0)
	v_cvt_f32_f16_e32 v9, v33
	v_cvt_f32_f16_e32 v7, v49
	s_waitcnt lgkmcnt(1)
	v_fmac_f32_e32 v24, v10, v47
	v_add_f32_e32 v6, v6, v41
	ds_bpermute_b32 v10, v30, v31
	v_add_f32_e32 v6, v6, v39
	v_add_f32_e32 v6, v6, v46
	s_waitcnt lgkmcnt(1)
	v_sub_f32_e32 v8, v9, v8
	v_mul_f32_e32 v8, v8, v7
	v_add_f32_e32 v6, v6, v7
	v_mov_b32_e32 v7, s27
	v_add_co_u32_e32 v4, vcc, s26, v4
	v_addc_co_u32_e32 v5, vcc, v5, v7, vcc
	s_waitcnt lgkmcnt(0)
	v_fmac_f32_e32 v24, v8, v10
	v_add_co_u32_e32 v2, vcc, s4, v2
	v_mov_b32_e32 v7, s20
	v_addc_co_u32_e32 v3, vcc, 0, v3, vcc
	v_mov_b32_e32 v8, s21
	v_cmp_lt_i64_e32 vcc, s[24:25], v[7:8]
	v_mov_b32_e32 v9, s29
	v_addc_co_u32_e64 v20, s[2:3], v20, v9, s[2:3]
	s_cbranch_vccz .LBB81_10
.LBB81_7:                               ; =>This Inner Loop Header: Depth=1
	v_mov_b32_e32 v31, 0
	v_mov_b32_e32 v32, 0
	s_and_saveexec_b64 s[2:3], s[0:1]
	s_cbranch_execz .LBB81_6
; %bb.8:                                ;   in Loop: Header=BB81_7 Depth=1
	v_cmp_gt_i64_e32 vcc, s[20:21], v[2:3]
	v_mov_b32_e32 v32, 0
	v_mov_b32_e32 v31, 0
	s_and_saveexec_b64 s[30:31], vcc
	s_cbranch_execz .LBB81_5
; %bb.9:                                ;   in Loop: Header=BB81_7 Depth=1
	v_mov_b32_e32 v8, s15
	v_add_co_u32_e32 v7, vcc, s14, v4
	v_addc_co_u32_e32 v8, vcc, v8, v5, vcc
	v_mov_b32_e32 v10, s13
	v_add_co_u32_e32 v9, vcc, s12, v4
	v_addc_co_u32_e32 v10, vcc, v10, v5, vcc
	global_load_dword v32, v[9:10], off
	global_load_dword v31, v[7:8], off
	s_branch .LBB81_5
.LBB81_10:
	s_movk_i32 s0, 0x41
	v_mad_u32_u24 v2, v1, s0, v0
	v_lshl_add_u32 v2, v2, 2, 0
	ds_write_b32 v2, v24
	ds_write_b32 v2, v6 offset:4160
	v_lshrrev_b32_e32 v2, 6, v0
	v_add_u32_e32 v2, v2, v1
	v_cmp_gt_u32_e32 vcc, 64, v2
	s_waitcnt lgkmcnt(0)
	s_barrier
	s_and_saveexec_b64 s[0:1], vcc
	s_cbranch_execz .LBB81_42
; %bb.11:
	v_and_b32_e32 v1, 63, v0
	v_cmp_gt_u32_e64 s[0:1], 16, v1
	v_mul_u32_u24_e32 v3, 0x41, v1
                                        ; implicit-def: $vgpr1
                                        ; implicit-def: $vgpr5
	s_and_saveexec_b64 s[2:3], s[0:1]
	s_cbranch_execz .LBB81_13
; %bb.12:
	v_add_u32_e32 v1, v2, v3
	v_lshl_add_u32 v1, v1, 2, 0
	ds_read_b32 v5, v1
	ds_read_b32 v1, v1 offset:4160
.LBB81_13:
	s_or_b64 exec, exec, s[2:3]
	v_mbcnt_hi_u32_b32 v7, -1, v11
	v_and_b32_e32 v4, 64, v7
	v_add_u32_e32 v8, 64, v4
	v_xor_b32_e32 v4, 8, v7
	v_cmp_lt_i32_e32 vcc, v4, v8
	v_cndmask_b32_e32 v4, v7, v4, vcc
	v_lshlrev_b32_e32 v4, 2, v4
	s_waitcnt lgkmcnt(1)
	ds_bpermute_b32 v6, v4, v5
	s_waitcnt lgkmcnt(1)
	ds_bpermute_b32 v9, v4, v1
	v_cmp_eq_u32_e64 s[2:3], 0, v0
	s_mov_b32 s7, 0
	s_lshl_b64 s[4:5], s[6:7], 6
	s_waitcnt lgkmcnt(1)
	v_add_f32_e32 v6, v5, v6
	v_xor_b32_e32 v5, 4, v7
	v_cmp_lt_i32_e32 vcc, v5, v8
	v_cndmask_b32_e32 v5, v7, v5, vcc
	v_lshlrev_b32_e32 v5, 2, v5
	s_waitcnt lgkmcnt(0)
	v_add_f32_e32 v1, v1, v9
	ds_bpermute_b32 v9, v5, v6
	ds_bpermute_b32 v10, v5, v1
	s_cmp_lg_u64 s[16:17], 0
	s_cselect_b64 s[8:9], -1, 0
	s_cmp_lg_u64 s[18:19], 0
	s_waitcnt lgkmcnt(1)
	v_add_f32_e32 v9, v6, v9
	v_xor_b32_e32 v6, 2, v7
	v_cmp_lt_i32_e32 vcc, v6, v8
	v_cndmask_b32_e32 v6, v7, v6, vcc
	v_lshlrev_b32_e32 v6, 2, v6
	s_waitcnt lgkmcnt(0)
	v_add_f32_e32 v1, v1, v10
	ds_bpermute_b32 v10, v6, v9
	ds_bpermute_b32 v11, v6, v1
	s_cselect_b64 s[6:7], -1, 0
	s_waitcnt lgkmcnt(1)
	v_add_f32_e32 v0, v9, v10
	v_xor_b32_e32 v9, 1, v7
	v_cmp_lt_i32_e32 vcc, v9, v8
	v_cndmask_b32_e32 v7, v7, v9, vcc
	s_waitcnt lgkmcnt(0)
	v_add_f32_e32 v1, v1, v11
	v_lshlrev_b32_e32 v7, 2, v7
	ds_bpermute_b32 v8, v7, v0
	ds_bpermute_b32 v9, v7, v1
	s_waitcnt lgkmcnt(1)
	v_add_f32_e32 v8, v0, v8
	s_waitcnt lgkmcnt(0)
	v_add_f32_e32 v9, v1, v9
	s_and_saveexec_b64 s[10:11], s[2:3]
	s_cbranch_execz .LBB81_18
; %bb.14:
	v_mov_b32_e32 v1, s5
	v_or_b32_e32 v0, s4, v2
	v_lshlrev_b64 v[0:1], 1, v[0:1]
	s_andn2_b64 vcc, exec, s[8:9]
	s_cbranch_vccnz .LBB81_16
; %bb.15:
	v_cvt_f16_f32_e32 v12, v8
	v_mov_b32_e32 v11, s17
	v_add_co_u32_e32 v10, vcc, s16, v0
	v_addc_co_u32_e32 v11, vcc, v11, v1, vcc
	global_store_short v[10:11], v12, off
.LBB81_16:
	s_andn2_b64 vcc, exec, s[6:7]
	s_cbranch_vccnz .LBB81_18
; %bb.17:
	v_cvt_f16_f32_e32 v11, v9
	v_mov_b32_e32 v10, s19
	v_add_co_u32_e32 v0, vcc, s18, v0
	v_addc_co_u32_e32 v1, vcc, v10, v1, vcc
	global_store_short v[0:1], v11, off
.LBB81_18:
	s_or_b64 exec, exec, s[10:11]
	v_cmp_gt_u32_e32 vcc, 48, v2
	s_and_b64 exec, exec, vcc
	s_cbranch_execz .LBB81_42
; %bb.19:
	s_and_saveexec_b64 s[10:11], s[0:1]
	s_cbranch_execz .LBB81_21
; %bb.20:
	v_add_u32_e32 v0, v2, v3
	v_lshl_add_u32 v0, v0, 2, 0
	ds_read_b32 v8, v0 offset:64
	ds_read_b32 v9, v0 offset:4224
.LBB81_21:
	s_or_b64 exec, exec, s[10:11]
	s_waitcnt lgkmcnt(1)
	ds_bpermute_b32 v0, v4, v8
	s_waitcnt lgkmcnt(1)
	ds_bpermute_b32 v1, v4, v9
	s_waitcnt lgkmcnt(1)
	v_add_f32_e32 v0, v8, v0
	s_waitcnt lgkmcnt(0)
	v_add_f32_e32 v1, v9, v1
	ds_bpermute_b32 v8, v5, v0
	ds_bpermute_b32 v9, v5, v1
	s_waitcnt lgkmcnt(1)
	v_add_f32_e32 v0, v0, v8
	s_waitcnt lgkmcnt(0)
	v_add_f32_e32 v1, v1, v9
	ds_bpermute_b32 v8, v6, v0
	;; [unrolled: 6-line block ×3, first 2 shown]
	ds_bpermute_b32 v9, v7, v1
	s_waitcnt lgkmcnt(1)
	v_add_f32_e32 v0, v0, v8
	s_waitcnt lgkmcnt(0)
	v_add_f32_e32 v1, v1, v9
	s_and_saveexec_b64 s[10:11], s[2:3]
	s_cbranch_execz .LBB81_26
; %bb.22:
	s_andn2_b64 vcc, exec, s[8:9]
	s_cbranch_vccnz .LBB81_24
; %bb.23:
	v_mov_b32_e32 v9, s5
	v_add_co_u32_e32 v8, vcc, s4, v2
	v_addc_co_u32_e32 v9, vcc, 0, v9, vcc
	v_lshlrev_b64 v[8:9], 1, v[8:9]
	v_cvt_f16_f32_e32 v11, v0
	v_mov_b32_e32 v10, s17
	v_add_co_u32_e32 v8, vcc, s16, v8
	v_addc_co_u32_e32 v9, vcc, v10, v9, vcc
	global_store_short v[8:9], v11, off offset:32
.LBB81_24:
	s_andn2_b64 vcc, exec, s[6:7]
	s_cbranch_vccnz .LBB81_26
; %bb.25:
	v_mov_b32_e32 v9, s5
	v_add_co_u32_e32 v8, vcc, s4, v2
	v_addc_co_u32_e32 v9, vcc, 0, v9, vcc
	v_lshlrev_b64 v[8:9], 1, v[8:9]
	v_cvt_f16_f32_e32 v11, v1
	v_mov_b32_e32 v10, s19
	v_add_co_u32_e32 v8, vcc, s18, v8
	v_addc_co_u32_e32 v9, vcc, v10, v9, vcc
	global_store_short v[8:9], v11, off offset:32
.LBB81_26:
	s_or_b64 exec, exec, s[10:11]
	v_cmp_gt_u32_e32 vcc, 32, v2
	s_and_b64 exec, exec, vcc
	s_cbranch_execz .LBB81_42
; %bb.27:
	s_and_saveexec_b64 s[10:11], s[0:1]
	s_cbranch_execz .LBB81_29
; %bb.28:
	v_add_u32_e32 v0, v2, v3
	v_lshl_add_u32 v1, v0, 2, 0
	ds_read_b32 v0, v1 offset:128
	ds_read_b32 v1, v1 offset:4288
.LBB81_29:
	s_or_b64 exec, exec, s[10:11]
	s_waitcnt lgkmcnt(1)
	ds_bpermute_b32 v8, v4, v0
	s_waitcnt lgkmcnt(1)
	ds_bpermute_b32 v9, v4, v1
	s_waitcnt lgkmcnt(1)
	v_add_f32_e32 v0, v0, v8
	s_waitcnt lgkmcnt(0)
	v_add_f32_e32 v1, v1, v9
	ds_bpermute_b32 v8, v5, v0
	ds_bpermute_b32 v9, v5, v1
	s_waitcnt lgkmcnt(1)
	v_add_f32_e32 v0, v0, v8
	s_waitcnt lgkmcnt(0)
	v_add_f32_e32 v1, v1, v9
	ds_bpermute_b32 v8, v6, v0
	;; [unrolled: 6-line block ×3, first 2 shown]
	ds_bpermute_b32 v9, v7, v1
	s_waitcnt lgkmcnt(1)
	v_add_f32_e32 v0, v0, v8
	s_waitcnt lgkmcnt(0)
	v_add_f32_e32 v1, v1, v9
	s_and_saveexec_b64 s[10:11], s[2:3]
	s_cbranch_execz .LBB81_34
; %bb.30:
	s_andn2_b64 vcc, exec, s[8:9]
	s_cbranch_vccnz .LBB81_32
; %bb.31:
	v_mov_b32_e32 v9, s5
	v_add_co_u32_e32 v8, vcc, s4, v2
	v_addc_co_u32_e32 v9, vcc, 0, v9, vcc
	v_lshlrev_b64 v[8:9], 1, v[8:9]
	v_cvt_f16_f32_e32 v11, v0
	v_mov_b32_e32 v10, s17
	v_add_co_u32_e32 v8, vcc, s16, v8
	v_addc_co_u32_e32 v9, vcc, v10, v9, vcc
	global_store_short v[8:9], v11, off offset:64
.LBB81_32:
	s_andn2_b64 vcc, exec, s[6:7]
	s_cbranch_vccnz .LBB81_34
; %bb.33:
	v_mov_b32_e32 v9, s5
	v_add_co_u32_e32 v8, vcc, s4, v2
	v_addc_co_u32_e32 v9, vcc, 0, v9, vcc
	v_lshlrev_b64 v[8:9], 1, v[8:9]
	v_cvt_f16_f32_e32 v11, v1
	v_mov_b32_e32 v10, s19
	v_add_co_u32_e32 v8, vcc, s18, v8
	v_addc_co_u32_e32 v9, vcc, v10, v9, vcc
	global_store_short v[8:9], v11, off offset:64
.LBB81_34:
	s_or_b64 exec, exec, s[10:11]
	v_cmp_gt_u32_e32 vcc, 16, v2
	s_and_b64 exec, exec, vcc
	s_cbranch_execz .LBB81_42
; %bb.35:
	s_and_saveexec_b64 s[10:11], s[0:1]
	s_cbranch_execz .LBB81_37
; %bb.36:
	v_add_u32_e32 v0, v2, v3
	v_lshl_add_u32 v1, v0, 2, 0
	ds_read_b32 v0, v1 offset:192
	ds_read_b32 v1, v1 offset:4352
.LBB81_37:
	s_or_b64 exec, exec, s[10:11]
	s_waitcnt lgkmcnt(1)
	ds_bpermute_b32 v3, v4, v0
	s_waitcnt lgkmcnt(1)
	ds_bpermute_b32 v4, v4, v1
	s_waitcnt lgkmcnt(1)
	v_add_f32_e32 v0, v0, v3
	s_waitcnt lgkmcnt(0)
	v_add_f32_e32 v1, v1, v4
	ds_bpermute_b32 v3, v5, v0
	ds_bpermute_b32 v4, v5, v1
	s_waitcnt lgkmcnt(1)
	v_add_f32_e32 v0, v0, v3
	s_waitcnt lgkmcnt(0)
	v_add_f32_e32 v1, v1, v4
	ds_bpermute_b32 v3, v6, v0
	;; [unrolled: 6-line block ×3, first 2 shown]
	ds_bpermute_b32 v1, v7, v0
	s_and_b64 exec, exec, s[2:3]
	s_cbranch_execz .LBB81_42
; %bb.38:
	s_andn2_b64 vcc, exec, s[8:9]
	s_cbranch_vccnz .LBB81_40
; %bb.39:
	s_waitcnt lgkmcnt(1)
	v_add_f32_e32 v5, v3, v4
	v_mov_b32_e32 v4, s5
	v_add_co_u32_e32 v3, vcc, s4, v2
	v_addc_co_u32_e32 v4, vcc, 0, v4, vcc
	v_lshlrev_b64 v[3:4], 1, v[3:4]
	v_cvt_f16_f32_e32 v5, v5
	v_mov_b32_e32 v6, s17
	v_add_co_u32_e32 v3, vcc, s16, v3
	v_addc_co_u32_e32 v4, vcc, v6, v4, vcc
	global_store_short v[3:4], v5, off offset:96
.LBB81_40:
	s_andn2_b64 vcc, exec, s[6:7]
	s_cbranch_vccnz .LBB81_42
; %bb.41:
	s_waitcnt lgkmcnt(0)
	v_add_f32_e32 v3, v0, v1
	v_mov_b32_e32 v1, s5
	v_add_co_u32_e32 v0, vcc, s4, v2
	v_addc_co_u32_e32 v1, vcc, 0, v1, vcc
	v_lshlrev_b64 v[0:1], 1, v[0:1]
	v_cvt_f16_f32_e32 v3, v3
	v_mov_b32_e32 v2, s19
	v_add_co_u32_e32 v0, vcc, s18, v0
	v_addc_co_u32_e32 v1, vcc, v2, v1, vcc
	global_store_short v[0:1], v3, off offset:96
.LBB81_42:
	s_endpgm
	.section	.rodata,"a",@progbits
	.p2align	6, 0x0
	.amdhsa_kernel _ZN2at6native12_GLOBAL__N_135GammaBetaBackwardCUDAKernelTemplateIN3c104HalfEfLj64ELj16ELj256ELb0ELb1ELb0EEEvllPKT_S7_PKT0_SA_PS5_SB_
		.amdhsa_group_segment_fixed_size 0
		.amdhsa_private_segment_fixed_size 0
		.amdhsa_kernarg_size 320
		.amdhsa_user_sgpr_count 6
		.amdhsa_user_sgpr_private_segment_buffer 1
		.amdhsa_user_sgpr_dispatch_ptr 0
		.amdhsa_user_sgpr_queue_ptr 0
		.amdhsa_user_sgpr_kernarg_segment_ptr 1
		.amdhsa_user_sgpr_dispatch_id 0
		.amdhsa_user_sgpr_flat_scratch_init 0
		.amdhsa_user_sgpr_private_segment_size 0
		.amdhsa_uses_dynamic_stack 0
		.amdhsa_system_sgpr_private_segment_wavefront_offset 0
		.amdhsa_system_sgpr_workgroup_id_x 1
		.amdhsa_system_sgpr_workgroup_id_y 1
		.amdhsa_system_sgpr_workgroup_id_z 0
		.amdhsa_system_sgpr_workgroup_info 0
		.amdhsa_system_vgpr_workitem_id 1
		.amdhsa_next_free_vgpr 62
		.amdhsa_next_free_sgpr 32
		.amdhsa_reserve_vcc 1
		.amdhsa_reserve_flat_scratch 0
		.amdhsa_float_round_mode_32 0
		.amdhsa_float_round_mode_16_64 0
		.amdhsa_float_denorm_mode_32 3
		.amdhsa_float_denorm_mode_16_64 3
		.amdhsa_dx10_clamp 1
		.amdhsa_ieee_mode 1
		.amdhsa_fp16_overflow 0
		.amdhsa_exception_fp_ieee_invalid_op 0
		.amdhsa_exception_fp_denorm_src 0
		.amdhsa_exception_fp_ieee_div_zero 0
		.amdhsa_exception_fp_ieee_overflow 0
		.amdhsa_exception_fp_ieee_underflow 0
		.amdhsa_exception_fp_ieee_inexact 0
		.amdhsa_exception_int_div_zero 0
	.end_amdhsa_kernel
	.section	.text._ZN2at6native12_GLOBAL__N_135GammaBetaBackwardCUDAKernelTemplateIN3c104HalfEfLj64ELj16ELj256ELb0ELb1ELb0EEEvllPKT_S7_PKT0_SA_PS5_SB_,"axG",@progbits,_ZN2at6native12_GLOBAL__N_135GammaBetaBackwardCUDAKernelTemplateIN3c104HalfEfLj64ELj16ELj256ELb0ELb1ELb0EEEvllPKT_S7_PKT0_SA_PS5_SB_,comdat
.Lfunc_end81:
	.size	_ZN2at6native12_GLOBAL__N_135GammaBetaBackwardCUDAKernelTemplateIN3c104HalfEfLj64ELj16ELj256ELb0ELb1ELb0EEEvllPKT_S7_PKT0_SA_PS5_SB_, .Lfunc_end81-_ZN2at6native12_GLOBAL__N_135GammaBetaBackwardCUDAKernelTemplateIN3c104HalfEfLj64ELj16ELj256ELb0ELb1ELb0EEEvllPKT_S7_PKT0_SA_PS5_SB_
                                        ; -- End function
	.set _ZN2at6native12_GLOBAL__N_135GammaBetaBackwardCUDAKernelTemplateIN3c104HalfEfLj64ELj16ELj256ELb0ELb1ELb0EEEvllPKT_S7_PKT0_SA_PS5_SB_.num_vgpr, 62
	.set _ZN2at6native12_GLOBAL__N_135GammaBetaBackwardCUDAKernelTemplateIN3c104HalfEfLj64ELj16ELj256ELb0ELb1ELb0EEEvllPKT_S7_PKT0_SA_PS5_SB_.num_agpr, 0
	.set _ZN2at6native12_GLOBAL__N_135GammaBetaBackwardCUDAKernelTemplateIN3c104HalfEfLj64ELj16ELj256ELb0ELb1ELb0EEEvllPKT_S7_PKT0_SA_PS5_SB_.numbered_sgpr, 32
	.set _ZN2at6native12_GLOBAL__N_135GammaBetaBackwardCUDAKernelTemplateIN3c104HalfEfLj64ELj16ELj256ELb0ELb1ELb0EEEvllPKT_S7_PKT0_SA_PS5_SB_.num_named_barrier, 0
	.set _ZN2at6native12_GLOBAL__N_135GammaBetaBackwardCUDAKernelTemplateIN3c104HalfEfLj64ELj16ELj256ELb0ELb1ELb0EEEvllPKT_S7_PKT0_SA_PS5_SB_.private_seg_size, 0
	.set _ZN2at6native12_GLOBAL__N_135GammaBetaBackwardCUDAKernelTemplateIN3c104HalfEfLj64ELj16ELj256ELb0ELb1ELb0EEEvllPKT_S7_PKT0_SA_PS5_SB_.uses_vcc, 1
	.set _ZN2at6native12_GLOBAL__N_135GammaBetaBackwardCUDAKernelTemplateIN3c104HalfEfLj64ELj16ELj256ELb0ELb1ELb0EEEvllPKT_S7_PKT0_SA_PS5_SB_.uses_flat_scratch, 0
	.set _ZN2at6native12_GLOBAL__N_135GammaBetaBackwardCUDAKernelTemplateIN3c104HalfEfLj64ELj16ELj256ELb0ELb1ELb0EEEvllPKT_S7_PKT0_SA_PS5_SB_.has_dyn_sized_stack, 0
	.set _ZN2at6native12_GLOBAL__N_135GammaBetaBackwardCUDAKernelTemplateIN3c104HalfEfLj64ELj16ELj256ELb0ELb1ELb0EEEvllPKT_S7_PKT0_SA_PS5_SB_.has_recursion, 0
	.set _ZN2at6native12_GLOBAL__N_135GammaBetaBackwardCUDAKernelTemplateIN3c104HalfEfLj64ELj16ELj256ELb0ELb1ELb0EEEvllPKT_S7_PKT0_SA_PS5_SB_.has_indirect_call, 0
	.section	.AMDGPU.csdata,"",@progbits
; Kernel info:
; codeLenInByte = 3280
; TotalNumSgprs: 36
; NumVgprs: 62
; ScratchSize: 0
; MemoryBound: 0
; FloatMode: 240
; IeeeMode: 1
; LDSByteSize: 0 bytes/workgroup (compile time only)
; SGPRBlocks: 4
; VGPRBlocks: 15
; NumSGPRsForWavesPerEU: 36
; NumVGPRsForWavesPerEU: 62
; Occupancy: 4
; WaveLimiterHint : 0
; COMPUTE_PGM_RSRC2:SCRATCH_EN: 0
; COMPUTE_PGM_RSRC2:USER_SGPR: 6
; COMPUTE_PGM_RSRC2:TRAP_HANDLER: 0
; COMPUTE_PGM_RSRC2:TGID_X_EN: 1
; COMPUTE_PGM_RSRC2:TGID_Y_EN: 1
; COMPUTE_PGM_RSRC2:TGID_Z_EN: 0
; COMPUTE_PGM_RSRC2:TIDIG_COMP_CNT: 1
	.section	.text._ZN2at6native12_GLOBAL__N_135GammaBetaBackwardCUDAKernelTemplateIN3c104HalfEfLj64ELj16ELj256ELb0ELb0ELb0EEEvllPKT_S7_PKT0_SA_PS5_SB_,"axG",@progbits,_ZN2at6native12_GLOBAL__N_135GammaBetaBackwardCUDAKernelTemplateIN3c104HalfEfLj64ELj16ELj256ELb0ELb0ELb0EEEvllPKT_S7_PKT0_SA_PS5_SB_,comdat
	.globl	_ZN2at6native12_GLOBAL__N_135GammaBetaBackwardCUDAKernelTemplateIN3c104HalfEfLj64ELj16ELj256ELb0ELb0ELb0EEEvllPKT_S7_PKT0_SA_PS5_SB_ ; -- Begin function _ZN2at6native12_GLOBAL__N_135GammaBetaBackwardCUDAKernelTemplateIN3c104HalfEfLj64ELj16ELj256ELb0ELb0ELb0EEEvllPKT_S7_PKT0_SA_PS5_SB_
	.p2align	8
	.type	_ZN2at6native12_GLOBAL__N_135GammaBetaBackwardCUDAKernelTemplateIN3c104HalfEfLj64ELj16ELj256ELb0ELb0ELb0EEEvllPKT_S7_PKT0_SA_PS5_SB_,@function
_ZN2at6native12_GLOBAL__N_135GammaBetaBackwardCUDAKernelTemplateIN3c104HalfEfLj64ELj16ELj256ELb0ELb0ELb0EEEvllPKT_S7_PKT0_SA_PS5_SB_: ; @_ZN2at6native12_GLOBAL__N_135GammaBetaBackwardCUDAKernelTemplateIN3c104HalfEfLj64ELj16ELj256ELb0ELb0ELb0EEEvllPKT_S7_PKT0_SA_PS5_SB_
; %bb.0:
	s_mov_b64 s[38:39], s[2:3]
	s_mov_b64 s[36:37], s[0:1]
	s_add_u32 s36, s36, s8
	s_addc_u32 s37, s37, 0
	buffer_store_dword v1, off, s[36:39], 0 offset:216 ; 4-byte Folded Spill
	s_load_dwordx8 s[12:19], s[4:5], 0x0
	s_load_dwordx4 s[20:23], s[4:5], 0x20
	s_lshl_b32 s10, s7, 8
	v_mov_b32_e32 v15, v0
	s_lshl_b32 s33, s6, 6
	s_mov_b32 s11, 0
	v_mov_b32_e32 v0, s10
	s_or_b32 s0, s33, 63
	v_mov_b32_e32 v1, s11
	v_mov_b32_e32 v35, s0
	;; [unrolled: 1-line block ×3, first 2 shown]
	s_waitcnt lgkmcnt(0)
	v_cmp_gt_i64_e64 s[0:1], s[12:13], v[0:1]
	v_cmp_le_i64_e32 vcc, s[14:15], v[35:36]
	v_cndmask_b32_e64 v0, 0, 1, s[0:1]
	v_cmp_ne_u32_e64 s[0:1], 1, v0
	s_cbranch_vccz .LBB82_81
; %bb.1:
	s_and_b64 vcc, exec, s[0:1]
	v_mov_b32_e32 v5, 0
	s_cbranch_vccnz .LBB82_83
; %bb.2:
	buffer_load_dword v0, off, s[36:39], 0 offset:216 ; 4-byte Folded Reload
	v_mov_b32_e32 v6, s17
	v_mov_b32_e32 v8, s19
	s_load_dword s7, s[4:5], 0x44
	s_add_u32 s24, s4, 64
	s_addc_u32 s25, s5, 0
	s_mov_b64 s[30:31], s[10:11]
	v_mov_b32_e32 v42, 0
	s_waitcnt lgkmcnt(0)
	s_lshl_b32 s7, s7, 8
	s_mul_i32 s8, s15, s7
	s_mul_hi_u32 s9, s14, s7
	s_add_i32 s9, s9, s8
	s_mul_i32 s8, s14, s7
	s_lshl_b64 s[26:27], s[8:9], 1
	s_add_u32 s28, s10, 0xff
	s_addc_u32 s29, 0, 0
	buffer_store_dword v15, off, s[36:39], 0 offset:364 ; 4-byte Folded Spill
	s_waitcnt vmcnt(1)
	v_lshlrev_b32_e32 v0, 4, v0
	v_add_co_u32_e32 v2, vcc, s10, v0
	v_addc_co_u32_e64 v3, s[2:3], 0, 0, vcc
	buffer_store_dword v0, off, s[36:39], 0 offset:236 ; 4-byte Folded Spill
	v_mul_lo_u32 v4, s15, v2
	v_mul_lo_u32 v5, s14, v3
	v_mad_u64_u32 v[0:1], s[2:3], s14, v2, 0
	v_add3_u32 v1, v1, v5, v4
	v_lshlrev_b64 v[4:5], 1, v[0:1]
	v_add_co_u32_e32 v7, vcc, s16, v4
	v_addc_co_u32_e32 v6, vcc, v6, v5, vcc
	buffer_store_dword v6, off, s[36:39], 0 offset:4 ; 4-byte Folded Spill
	v_add_co_u32_e32 v6, vcc, 15, v2
	buffer_store_dword v7, off, s[36:39], 0 ; 4-byte Folded Spill
	v_addc_co_u32_e32 v7, vcc, 0, v3, vcc
	v_mul_lo_u32 v9, s15, v6
	v_mul_lo_u32 v10, s14, v7
	v_mad_u64_u32 v[6:7], s[2:3], s14, v6, 0
	v_add_co_u32_e32 v4, vcc, s18, v4
	buffer_store_dword v4, off, s[36:39], 0 offset:8 ; 4-byte Folded Spill
	v_addc_co_u32_e32 v4, vcc, v8, v5, vcc
	v_add3_u32 v7, v7, v10, v9
	buffer_store_dword v4, off, s[36:39], 0 offset:12 ; 4-byte Folded Spill
	v_lshlrev_b64 v[4:5], 1, v[6:7]
	v_mov_b32_e32 v6, s17
	v_add_co_u32_e32 v7, vcc, s16, v4
	v_addc_co_u32_e32 v6, vcc, v6, v5, vcc
	buffer_store_dword v6, off, s[36:39], 0 offset:24 ; 4-byte Folded Spill
	v_add_co_u32_e32 v6, vcc, 14, v2
	buffer_store_dword v7, off, s[36:39], 0 offset:16 ; 4-byte Folded Spill
	v_addc_co_u32_e32 v7, vcc, 0, v3, vcc
	v_mul_lo_u32 v9, s15, v6
	v_mul_lo_u32 v10, s14, v7
	v_mad_u64_u32 v[6:7], s[2:3], s14, v6, 0
	v_add_co_u32_e32 v4, vcc, s18, v4
	buffer_store_dword v4, off, s[36:39], 0 offset:32 ; 4-byte Folded Spill
	v_addc_co_u32_e32 v4, vcc, v8, v5, vcc
	v_add3_u32 v7, v7, v10, v9
	buffer_store_dword v4, off, s[36:39], 0 offset:40 ; 4-byte Folded Spill
	v_lshlrev_b64 v[4:5], 1, v[6:7]
	v_mov_b32_e32 v6, s17
	v_add_co_u32_e32 v7, vcc, s16, v4
	v_addc_co_u32_e32 v6, vcc, v6, v5, vcc
	buffer_store_dword v6, off, s[36:39], 0 offset:56 ; 4-byte Folded Spill
	v_add_co_u32_e32 v6, vcc, 13, v2
	buffer_store_dword v7, off, s[36:39], 0 offset:48 ; 4-byte Folded Spill
	;; [unrolled: 16-line block ×9, first 2 shown]
	v_addc_co_u32_e32 v7, vcc, 0, v3, vcc
	v_mul_lo_u32 v9, s15, v6
	v_mul_lo_u32 v10, s14, v7
	v_mad_u64_u32 v[6:7], s[2:3], s14, v6, 0
	v_add_co_u32_e32 v4, vcc, s18, v4
	buffer_store_dword v4, off, s[36:39], 0 offset:204 ; 4-byte Folded Spill
	v_addc_co_u32_e32 v4, vcc, v8, v5, vcc
	v_add3_u32 v7, v7, v10, v9
	buffer_store_dword v4, off, s[36:39], 0 offset:208 ; 4-byte Folded Spill
	v_lshlrev_b64 v[4:5], 1, v[6:7]
	v_mov_b32_e32 v6, s17
	v_add_co_u32_e32 v7, vcc, s16, v4
	v_addc_co_u32_e32 v62, vcc, v6, v5, vcc
	v_add_co_u32_e32 v6, vcc, 5, v2
	buffer_store_dword v7, off, s[36:39], 0 offset:212 ; 4-byte Folded Spill
	v_addc_co_u32_e32 v7, vcc, 0, v3, vcc
	v_mul_lo_u32 v9, s15, v6
	v_mul_lo_u32 v10, s14, v7
	v_mad_u64_u32 v[6:7], s[2:3], s14, v6, 0
	v_add_co_u32_e32 v63, vcc, s18, v4
	v_add3_u32 v7, v7, v10, v9
	v_addc_co_u32_e32 v19, vcc, v8, v5, vcc
	v_lshlrev_b64 v[4:5], 1, v[6:7]
	v_mov_b32_e32 v6, s17
	v_add_co_u32_e32 v20, vcc, s16, v4
	v_addc_co_u32_e32 v21, vcc, v6, v5, vcc
	v_mov_b32_e32 v6, s19
	v_add_co_u32_e32 v22, vcc, s18, v4
	v_addc_co_u32_e32 v23, vcc, v6, v5, vcc
	v_add_co_u32_e32 v4, vcc, 4, v2
	v_addc_co_u32_e32 v5, vcc, 0, v3, vcc
	v_mul_lo_u32 v6, s15, v4
	v_mul_lo_u32 v7, s14, v5
	v_mad_u64_u32 v[4:5], s[2:3], s14, v4, 0
	v_add_co_u32_e32 v0, vcc, s14, v0
	v_add3_u32 v5, v5, v7, v6
	v_lshlrev_b64 v[4:5], 1, v[4:5]
	v_mov_b32_e32 v6, s15
	v_addc_co_u32_e32 v1, vcc, v1, v6, vcc
	v_mov_b32_e32 v6, s17
	v_add_co_u32_e32 v24, vcc, s16, v4
	v_addc_co_u32_e32 v25, vcc, v6, v5, vcc
	v_mov_b32_e32 v6, s19
	v_add_co_u32_e32 v26, vcc, s18, v4
	v_addc_co_u32_e32 v27, vcc, v6, v5, vcc
	v_add_co_u32_e32 v4, vcc, 3, v2
	v_addc_co_u32_e32 v5, vcc, 0, v3, vcc
	v_mul_lo_u32 v6, s14, v5
	v_mul_lo_u32 v7, s15, v4
	v_mad_u64_u32 v[4:5], s[2:3], s14, v4, 0
	v_lshlrev_b64 v[0:1], 1, v[0:1]
	v_add3_u32 v5, v5, v6, v7
	v_lshlrev_b64 v[4:5], 1, v[4:5]
	v_mov_b32_e32 v6, s17
	v_add_co_u32_e32 v28, vcc, s16, v4
	v_addc_co_u32_e32 v29, vcc, v6, v5, vcc
	v_mov_b32_e32 v6, s19
	v_add_co_u32_e32 v30, vcc, s18, v4
	v_addc_co_u32_e32 v31, vcc, v6, v5, vcc
	v_add_co_u32_e32 v2, vcc, 2, v2
	v_addc_co_u32_e32 v3, vcc, 0, v3, vcc
	v_mul_lo_u32 v4, s14, v3
	v_mul_lo_u32 v5, s15, v2
	v_mad_u64_u32 v[2:3], s[2:3], s14, v2, 0
	v_add3_u32 v3, v3, v4, v5
	v_lshlrev_b64 v[2:3], 1, v[2:3]
	v_mov_b32_e32 v4, s17
	v_add_co_u32_e32 v32, vcc, s16, v2
	v_addc_co_u32_e32 v33, vcc, v4, v3, vcc
	v_mov_b32_e32 v4, s19
	v_add_co_u32_e32 v34, vcc, s18, v2
	v_addc_co_u32_e32 v35, vcc, v4, v3, vcc
	;; [unrolled: 3-line block ×4, first 2 shown]
	v_mov_b32_e32 v2, 0
	v_mbcnt_lo_u32_b32 v3, -1, 0
	v_add_u32_e32 v0, s33, v15
	v_mov_b32_e32 v1, v2
	v_mbcnt_hi_u32_b32 v3, -1, v3
	v_cmp_gt_i64_e64 s[2:3], s[14:15], v[0:1]
	v_lshlrev_b64 v[0:1], 1, v[0:1]
	v_lshlrev_b32_e32 v3, 2, v3
	v_and_b32_e32 v41, 0x100, v3
	v_mov_b32_e32 v3, 0
	buffer_store_dword v3, off, s[36:39], 0 offset:220 ; 4-byte Folded Spill
.LBB82_3:                               ; =>This Inner Loop Header: Depth=1
	v_mov_b32_e32 v3, s12
	v_mov_b32_e32 v4, s13
	v_cmp_ge_i64_e32 vcc, s[28:29], v[3:4]
	buffer_load_dword v4, off, s[36:39], 0 offset:236 ; 4-byte Folded Reload
	v_mov_b32_e32 v3, s29
	s_and_b64 vcc, exec, vcc
                                        ; implicit-def: $vgpr48
                                        ; implicit-def: $vgpr47
                                        ; implicit-def: $vgpr36
	s_waitcnt vmcnt(0)
	v_add_co_u32_e64 v43, s[8:9], s28, v4
	v_addc_co_u32_e64 v44, s[8:9], 0, v3, s[8:9]
	s_mov_b64 s[8:9], -1
                                        ; implicit-def: $vgpr3_vgpr4_vgpr5_vgpr6_vgpr7_vgpr8_vgpr9_vgpr10_vgpr11_vgpr12_vgpr13_vgpr14_vgpr15_vgpr16_vgpr17_vgpr18
                                        ; implicit-def: $vgpr4
                                        ; implicit-def: $vgpr3
	s_cbranch_vccz .LBB82_41
; %bb.4:                                ;   in Loop: Header=BB82_3 Depth=1
	s_load_dword s8, s[24:25], 0xc
	buffer_load_dword v3, off, s[36:39], 0 offset:364 ; 4-byte Folded Reload
	buffer_load_dword v4, off, s[36:39], 0 offset:216 ; 4-byte Folded Reload
	v_mov_b32_e32 v36, 0
	v_mov_b32_e32 v45, 0
	;; [unrolled: 1-line block ×3, first 2 shown]
	s_waitcnt lgkmcnt(0)
	s_and_b32 s8, s8, 0xffff
	s_waitcnt vmcnt(0)
	v_mad_u32_u24 v3, v4, s8, v3
	v_and_b32_e32 v3, 63, v3
	v_cmp_gt_u32_e32 vcc, 16, v3
	s_and_saveexec_b64 s[8:9], vcc
	s_cbranch_execz .LBB82_8
; %bb.5:                                ;   in Loop: Header=BB82_3 Depth=1
	v_add_co_u32_e32 v3, vcc, v43, v3
	v_addc_co_u32_e32 v4, vcc, 0, v44, vcc
	v_add_co_u32_e32 v3, vcc, 0xffffff01, v3
	v_addc_co_u32_e32 v4, vcc, -1, v4, vcc
	v_cmp_gt_i64_e32 vcc, s[12:13], v[3:4]
	v_mov_b32_e32 v46, 0
	v_mov_b32_e32 v45, 0
	s_and_saveexec_b64 s[34:35], vcc
	s_cbranch_execz .LBB82_7
; %bb.6:                                ;   in Loop: Header=BB82_3 Depth=1
	v_lshlrev_b64 v[3:4], 2, v[3:4]
	v_mov_b32_e32 v6, s23
	v_add_co_u32_e32 v5, vcc, s22, v3
	v_addc_co_u32_e32 v6, vcc, v6, v4, vcc
	v_mov_b32_e32 v7, s21
	v_add_co_u32_e32 v3, vcc, s20, v3
	v_addc_co_u32_e32 v4, vcc, v7, v4, vcc
	global_load_dword v46, v[3:4], off
	global_load_dword v45, v[5:6], off
.LBB82_7:                               ;   in Loop: Header=BB82_3 Depth=1
	s_or_b64 exec, exec, s[34:35]
.LBB82_8:                               ;   in Loop: Header=BB82_3 Depth=1
	s_or_b64 exec, exec, s[8:9]
	v_add_co_u32_e32 v3, vcc, 0xffffff01, v43
	v_addc_co_u32_e32 v4, vcc, -1, v44, vcc
	v_cmp_gt_i64_e32 vcc, s[12:13], v[3:4]
	v_mov_b32_e32 v3, v2
	v_mov_b32_e32 v4, v2
	;; [unrolled: 1-line block ×31, first 2 shown]
	s_and_b64 s[34:35], s[2:3], vcc
	s_and_saveexec_b64 s[8:9], s[34:35]
	s_cbranch_execz .LBB82_10
; %bb.9:                                ;   in Loop: Header=BB82_3 Depth=1
	buffer_load_dword v3, off, s[36:39], 0  ; 4-byte Folded Reload
	buffer_load_dword v4, off, s[36:39], 0 offset:4 ; 4-byte Folded Reload
	v_mov_b32_e32 v5, v2
	v_mov_b32_e32 v6, v2
	;; [unrolled: 1-line block ×12, first 2 shown]
	s_waitcnt vmcnt(1)
	v_add_co_u32_e32 v3, vcc, v3, v0
	s_waitcnt vmcnt(0)
	v_addc_co_u32_e32 v4, vcc, v4, v1, vcc
	global_load_ushort v16, v[3:4], off
	s_nop 0
	buffer_load_dword v3, off, s[36:39], 0 offset:8 ; 4-byte Folded Reload
	buffer_load_dword v4, off, s[36:39], 0 offset:12 ; 4-byte Folded Reload
	s_waitcnt vmcnt(1)
	v_add_co_u32_e32 v3, vcc, v3, v0
	s_waitcnt vmcnt(0)
	v_addc_co_u32_e32 v4, vcc, v4, v1, vcc
	global_load_ushort v17, v[3:4], off
	v_cvt_f32_f16_e32 v3, v16
	v_mov_b32_e32 v4, v2
	v_mov_b32_e32 v16, v2
	s_waitcnt vmcnt(0)
	v_cvt_f32_f16_e32 v36, v17
	v_mov_b32_e32 v17, v2
.LBB82_10:                              ;   in Loop: Header=BB82_3 Depth=1
	s_or_b64 exec, exec, s[8:9]
	v_add_co_u32_e32 v47, vcc, 0xffffff02, v43
	v_addc_co_u32_e32 v48, vcc, -1, v44, vcc
	v_cmp_gt_i64_e32 vcc, s[12:13], v[47:48]
	v_mov_b32_e32 v61, 0
	s_and_b64 s[34:35], s[2:3], vcc
	v_mov_b32_e32 v47, 0
	buffer_store_dword v47, off, s[36:39], 0 offset:224 ; 4-byte Folded Spill
	s_and_saveexec_b64 s[8:9], s[34:35]
	s_cbranch_execz .LBB82_12
; %bb.11:                               ;   in Loop: Header=BB82_3 Depth=1
	v_add_co_u32_e32 v47, vcc, v37, v0
	v_addc_co_u32_e32 v48, vcc, v38, v1, vcc
	global_load_ushort v4, v[47:48], off
	v_add_co_u32_e32 v47, vcc, v39, v0
	v_addc_co_u32_e32 v48, vcc, v40, v1, vcc
	global_load_ushort v47, v[47:48], off
	s_waitcnt vmcnt(1)
	v_cvt_f32_f16_e32 v4, v4
	s_waitcnt vmcnt(0)
	v_cvt_f32_f16_e32 v47, v47
	buffer_store_dword v47, off, s[36:39], 0 offset:224 ; 4-byte Folded Spill
.LBB82_12:                              ;   in Loop: Header=BB82_3 Depth=1
	s_or_b64 exec, exec, s[8:9]
	v_add_co_u32_e32 v47, vcc, 0xffffff03, v43
	v_addc_co_u32_e32 v48, vcc, -1, v44, vcc
	v_cmp_gt_i64_e32 vcc, s[12:13], v[47:48]
	s_and_b64 s[34:35], s[2:3], vcc
	s_and_saveexec_b64 s[8:9], s[34:35]
	s_cbranch_execz .LBB82_14
; %bb.13:                               ;   in Loop: Header=BB82_3 Depth=1
	v_add_co_u32_e32 v47, vcc, v32, v0
	v_addc_co_u32_e32 v48, vcc, v33, v1, vcc
	global_load_ushort v5, v[47:48], off
	v_add_co_u32_e32 v47, vcc, v34, v0
	v_addc_co_u32_e32 v48, vcc, v35, v1, vcc
	global_load_ushort v47, v[47:48], off
	s_waitcnt vmcnt(1)
	v_cvt_f32_f16_e32 v5, v5
	s_waitcnt vmcnt(0)
	v_cvt_f32_f16_e32 v61, v47
.LBB82_14:                              ;   in Loop: Header=BB82_3 Depth=1
	s_or_b64 exec, exec, s[8:9]
	v_add_co_u32_e32 v47, vcc, 0xffffff04, v43
	v_addc_co_u32_e32 v48, vcc, -1, v44, vcc
	v_cmp_gt_i64_e32 vcc, s[12:13], v[47:48]
	v_mov_b32_e32 v47, 0
	s_and_b64 s[34:35], s[2:3], vcc
	v_mov_b32_e32 v50, 0
	buffer_store_dword v47, off, s[36:39], 0 offset:228 ; 4-byte Folded Spill
	s_and_saveexec_b64 s[8:9], s[34:35]
	s_cbranch_execz .LBB82_16
; %bb.15:                               ;   in Loop: Header=BB82_3 Depth=1
	v_add_co_u32_e32 v47, vcc, v28, v0
	v_addc_co_u32_e32 v48, vcc, v29, v1, vcc
	global_load_ushort v6, v[47:48], off
	v_add_co_u32_e32 v47, vcc, v30, v0
	v_addc_co_u32_e32 v48, vcc, v31, v1, vcc
	global_load_ushort v47, v[47:48], off
	s_waitcnt vmcnt(1)
	v_cvt_f32_f16_e32 v6, v6
	s_waitcnt vmcnt(0)
	v_cvt_f32_f16_e32 v50, v47
.LBB82_16:                              ;   in Loop: Header=BB82_3 Depth=1
	s_or_b64 exec, exec, s[8:9]
	v_add_co_u32_e32 v47, vcc, 0xffffff05, v43
	v_addc_co_u32_e32 v48, vcc, -1, v44, vcc
	v_cmp_gt_i64_e32 vcc, s[12:13], v[47:48]
	s_and_b64 s[34:35], s[2:3], vcc
	s_and_saveexec_b64 s[8:9], s[34:35]
	s_cbranch_execz .LBB82_18
; %bb.17:                               ;   in Loop: Header=BB82_3 Depth=1
	v_add_co_u32_e32 v47, vcc, v24, v0
	v_addc_co_u32_e32 v48, vcc, v25, v1, vcc
	global_load_ushort v7, v[47:48], off
	v_add_co_u32_e32 v47, vcc, v26, v0
	v_addc_co_u32_e32 v48, vcc, v27, v1, vcc
	global_load_ushort v47, v[47:48], off
	s_waitcnt vmcnt(1)
	v_cvt_f32_f16_e32 v7, v7
	s_waitcnt vmcnt(0)
	v_cvt_f32_f16_e32 v47, v47
	buffer_store_dword v47, off, s[36:39], 0 offset:228 ; 4-byte Folded Spill
.LBB82_18:                              ;   in Loop: Header=BB82_3 Depth=1
	s_or_b64 exec, exec, s[8:9]
	v_add_co_u32_e32 v47, vcc, 0xffffff06, v43
	v_addc_co_u32_e32 v48, vcc, -1, v44, vcc
	v_cmp_gt_i64_e32 vcc, s[12:13], v[47:48]
	v_mov_b32_e32 v47, 0
	s_and_b64 s[34:35], s[2:3], vcc
	v_mov_b32_e32 v51, 0
	buffer_store_dword v47, off, s[36:39], 0 offset:232 ; 4-byte Folded Spill
	s_and_saveexec_b64 s[8:9], s[34:35]
	s_cbranch_execz .LBB82_20
; %bb.19:                               ;   in Loop: Header=BB82_3 Depth=1
	v_add_co_u32_e32 v47, vcc, v20, v0
	v_addc_co_u32_e32 v48, vcc, v21, v1, vcc
	global_load_ushort v8, v[47:48], off
	v_add_co_u32_e32 v47, vcc, v22, v0
	v_addc_co_u32_e32 v48, vcc, v23, v1, vcc
	global_load_ushort v47, v[47:48], off
	s_waitcnt vmcnt(1)
	v_cvt_f32_f16_e32 v8, v8
	s_waitcnt vmcnt(0)
	v_cvt_f32_f16_e32 v51, v47
.LBB82_20:                              ;   in Loop: Header=BB82_3 Depth=1
	s_or_b64 exec, exec, s[8:9]
	v_add_co_u32_e32 v47, vcc, 0xffffff07, v43
	v_addc_co_u32_e32 v48, vcc, -1, v44, vcc
	v_cmp_gt_i64_e32 vcc, s[12:13], v[47:48]
	s_and_b64 s[34:35], s[2:3], vcc
	s_and_saveexec_b64 s[8:9], s[34:35]
	s_cbranch_execz .LBB82_22
; %bb.21:                               ;   in Loop: Header=BB82_3 Depth=1
	buffer_load_dword v9, off, s[36:39], 0 offset:212 ; 4-byte Folded Reload
	s_waitcnt vmcnt(0)
	v_add_co_u32_e32 v47, vcc, v9, v0
	v_addc_co_u32_e32 v48, vcc, v62, v1, vcc
	global_load_ushort v9, v[47:48], off
	v_add_co_u32_e32 v47, vcc, v63, v0
	v_addc_co_u32_e32 v48, vcc, v19, v1, vcc
	global_load_ushort v47, v[47:48], off
	s_waitcnt vmcnt(1)
	v_cvt_f32_f16_e32 v9, v9
	s_waitcnt vmcnt(0)
	v_cvt_f32_f16_e32 v47, v47
	buffer_store_dword v47, off, s[36:39], 0 offset:232 ; 4-byte Folded Spill
.LBB82_22:                              ;   in Loop: Header=BB82_3 Depth=1
	s_or_b64 exec, exec, s[8:9]
	v_add_co_u32_e32 v47, vcc, 0xffffff08, v43
	v_addc_co_u32_e32 v48, vcc, -1, v44, vcc
	v_cmp_gt_i64_e32 vcc, s[12:13], v[47:48]
	v_mov_b32_e32 v48, 0
	s_and_b64 s[34:35], s[2:3], vcc
	v_mov_b32_e32 v49, 0
	s_and_saveexec_b64 s[8:9], s[34:35]
	s_cbranch_execz .LBB82_24
; %bb.23:                               ;   in Loop: Header=BB82_3 Depth=1
	buffer_load_dword v10, off, s[36:39], 0 offset:196 ; 4-byte Folded Reload
	buffer_load_dword v47, off, s[36:39], 0 offset:204 ; 4-byte Folded Reload
	s_waitcnt vmcnt(1)
	v_add_co_u32_e32 v52, vcc, v10, v0
	buffer_load_dword v10, off, s[36:39], 0 offset:200 ; 4-byte Folded Reload
	s_waitcnt vmcnt(0)
	v_addc_co_u32_e32 v53, vcc, v10, v1, vcc
	global_load_ushort v10, v[52:53], off
	v_add_co_u32_e32 v52, vcc, v47, v0
	buffer_load_dword v47, off, s[36:39], 0 offset:208 ; 4-byte Folded Reload
	s_waitcnt vmcnt(1)
	v_cvt_f32_f16_e32 v10, v10
	s_waitcnt vmcnt(0)
	v_addc_co_u32_e32 v53, vcc, v47, v1, vcc
	global_load_ushort v47, v[52:53], off
	s_waitcnt vmcnt(0)
	v_cvt_f32_f16_e32 v49, v47
.LBB82_24:                              ;   in Loop: Header=BB82_3 Depth=1
	s_or_b64 exec, exec, s[8:9]
	v_add_co_u32_e32 v52, vcc, 0xffffff09, v43
	v_addc_co_u32_e32 v53, vcc, -1, v44, vcc
	v_cmp_gt_i64_e32 vcc, s[12:13], v[52:53]
	s_and_b64 s[34:35], s[2:3], vcc
	s_and_saveexec_b64 s[8:9], s[34:35]
	s_cbranch_execz .LBB82_26
; %bb.25:                               ;   in Loop: Header=BB82_3 Depth=1
	buffer_load_dword v11, off, s[36:39], 0 offset:180 ; 4-byte Folded Reload
	s_waitcnt vmcnt(0)
	v_add_co_u32_e32 v47, vcc, v11, v0
	buffer_load_dword v11, off, s[36:39], 0 offset:184 ; 4-byte Folded Reload
	s_waitcnt vmcnt(0)
	v_addc_co_u32_e32 v48, vcc, v11, v1, vcc
	global_load_ushort v11, v[47:48], off
	s_waitcnt vmcnt(0)
	v_cvt_f32_f16_e32 v11, v11
	buffer_load_dword v47, off, s[36:39], 0 offset:188 ; 4-byte Folded Reload
	buffer_load_dword v48, off, s[36:39], 0 offset:192 ; 4-byte Folded Reload
	s_waitcnt vmcnt(1)
	v_add_co_u32_e32 v47, vcc, v47, v0
	s_waitcnt vmcnt(0)
	v_addc_co_u32_e32 v48, vcc, v48, v1, vcc
	global_load_ushort v47, v[47:48], off
	s_waitcnt vmcnt(0)
	v_cvt_f32_f16_e32 v48, v47
.LBB82_26:                              ;   in Loop: Header=BB82_3 Depth=1
	s_or_b64 exec, exec, s[8:9]
	v_add_co_u32_e32 v52, vcc, 0xffffff0a, v43
	v_addc_co_u32_e32 v53, vcc, -1, v44, vcc
	v_cmp_gt_i64_e32 vcc, s[12:13], v[52:53]
	v_mov_b32_e32 v52, 0
	s_and_b64 s[34:35], s[2:3], vcc
	v_mov_b32_e32 v54, 0
	s_and_saveexec_b64 s[8:9], s[34:35]
	s_cbranch_execz .LBB82_28
; %bb.27:                               ;   in Loop: Header=BB82_3 Depth=1
	buffer_load_dword v12, off, s[36:39], 0 offset:164 ; 4-byte Folded Reload
	buffer_load_dword v47, off, s[36:39], 0 offset:172 ; 4-byte Folded Reload
	s_waitcnt vmcnt(1)
	v_add_co_u32_e32 v53, vcc, v12, v0
	buffer_load_dword v12, off, s[36:39], 0 offset:168 ; 4-byte Folded Reload
	s_waitcnt vmcnt(0)
	v_addc_co_u32_e32 v54, vcc, v12, v1, vcc
	global_load_ushort v12, v[53:54], off
	v_add_co_u32_e32 v53, vcc, v47, v0
	buffer_load_dword v47, off, s[36:39], 0 offset:176 ; 4-byte Folded Reload
	s_waitcnt vmcnt(1)
	v_cvt_f32_f16_e32 v12, v12
	s_waitcnt vmcnt(0)
	v_addc_co_u32_e32 v54, vcc, v47, v1, vcc
	global_load_ushort v47, v[53:54], off
	s_waitcnt vmcnt(0)
	v_cvt_f32_f16_e32 v54, v47
.LBB82_28:                              ;   in Loop: Header=BB82_3 Depth=1
	s_or_b64 exec, exec, s[8:9]
	v_add_co_u32_e32 v55, vcc, 0xffffff0b, v43
	v_addc_co_u32_e32 v56, vcc, -1, v44, vcc
	v_cmp_gt_i64_e32 vcc, s[12:13], v[55:56]
	s_and_b64 s[34:35], s[2:3], vcc
	s_and_saveexec_b64 s[8:9], s[34:35]
	s_cbranch_execz .LBB82_30
; %bb.29:                               ;   in Loop: Header=BB82_3 Depth=1
	buffer_load_dword v13, off, s[36:39], 0 offset:148 ; 4-byte Folded Reload
	buffer_load_dword v47, off, s[36:39], 0 offset:156 ; 4-byte Folded Reload
	s_waitcnt vmcnt(1)
	v_add_co_u32_e32 v52, vcc, v13, v0
	buffer_load_dword v13, off, s[36:39], 0 offset:152 ; 4-byte Folded Reload
	s_waitcnt vmcnt(0)
	v_addc_co_u32_e32 v53, vcc, v13, v1, vcc
	global_load_ushort v13, v[52:53], off
	v_add_co_u32_e32 v52, vcc, v47, v0
	buffer_load_dword v47, off, s[36:39], 0 offset:160 ; 4-byte Folded Reload
	s_waitcnt vmcnt(1)
	v_cvt_f32_f16_e32 v13, v13
	s_waitcnt vmcnt(0)
	v_addc_co_u32_e32 v53, vcc, v47, v1, vcc
	global_load_ushort v47, v[52:53], off
	s_waitcnt vmcnt(0)
	v_cvt_f32_f16_e32 v52, v47
.LBB82_30:                              ;   in Loop: Header=BB82_3 Depth=1
	s_or_b64 exec, exec, s[8:9]
	v_add_co_u32_e32 v55, vcc, 0xffffff0c, v43
	v_addc_co_u32_e32 v56, vcc, -1, v44, vcc
	v_cmp_gt_i64_e32 vcc, s[12:13], v[55:56]
	v_mov_b32_e32 v53, 0
	s_and_b64 s[34:35], s[2:3], vcc
	v_mov_b32_e32 v56, 0
	s_and_saveexec_b64 s[8:9], s[34:35]
	s_cbranch_execz .LBB82_32
; %bb.31:                               ;   in Loop: Header=BB82_3 Depth=1
	buffer_load_dword v14, off, s[36:39], 0 offset:132 ; 4-byte Folded Reload
	buffer_load_dword v47, off, s[36:39], 0 offset:140 ; 4-byte Folded Reload
	s_waitcnt vmcnt(1)
	v_add_co_u32_e32 v55, vcc, v14, v0
	buffer_load_dword v14, off, s[36:39], 0 offset:136 ; 4-byte Folded Reload
	s_waitcnt vmcnt(0)
	v_addc_co_u32_e32 v56, vcc, v14, v1, vcc
	global_load_ushort v14, v[55:56], off
	v_add_co_u32_e32 v55, vcc, v47, v0
	buffer_load_dword v47, off, s[36:39], 0 offset:144 ; 4-byte Folded Reload
	s_waitcnt vmcnt(1)
	v_cvt_f32_f16_e32 v14, v14
	s_waitcnt vmcnt(0)
	v_addc_co_u32_e32 v56, vcc, v47, v1, vcc
	global_load_ushort v47, v[55:56], off
	s_waitcnt vmcnt(0)
	v_cvt_f32_f16_e32 v56, v47
.LBB82_32:                              ;   in Loop: Header=BB82_3 Depth=1
	s_or_b64 exec, exec, s[8:9]
	v_add_co_u32_e32 v57, vcc, 0xffffff0d, v43
	v_addc_co_u32_e32 v58, vcc, -1, v44, vcc
	v_cmp_gt_i64_e32 vcc, s[12:13], v[57:58]
	s_and_b64 s[34:35], s[2:3], vcc
	s_and_saveexec_b64 s[8:9], s[34:35]
	s_cbranch_execz .LBB82_34
; %bb.33:                               ;   in Loop: Header=BB82_3 Depth=1
	buffer_load_dword v15, off, s[36:39], 0 offset:112 ; 4-byte Folded Reload
	buffer_load_dword v47, off, s[36:39], 0 offset:124 ; 4-byte Folded Reload
	s_waitcnt vmcnt(1)
	v_add_co_u32_e32 v57, vcc, v15, v0
	buffer_load_dword v15, off, s[36:39], 0 offset:120 ; 4-byte Folded Reload
	s_waitcnt vmcnt(0)
	v_addc_co_u32_e32 v58, vcc, v15, v1, vcc
	global_load_ushort v15, v[57:58], off
	v_add_co_u32_e32 v57, vcc, v47, v0
	buffer_load_dword v47, off, s[36:39], 0 offset:128 ; 4-byte Folded Reload
	s_waitcnt vmcnt(1)
	v_cvt_f32_f16_e32 v15, v15
	s_waitcnt vmcnt(0)
	v_addc_co_u32_e32 v58, vcc, v47, v1, vcc
	global_load_ushort v47, v[57:58], off
	s_waitcnt vmcnt(0)
	v_cvt_f32_f16_e32 v53, v47
.LBB82_34:                              ;   in Loop: Header=BB82_3 Depth=1
	;; [unrolled: 54-line block ×3, first 2 shown]
	s_or_b64 exec, exec, s[8:9]
	v_add_co_u32_e32 v58, vcc, 0xffffff10, v43
	v_addc_co_u32_e32 v59, vcc, -1, v44, vcc
	v_cmp_gt_i64_e32 vcc, s[12:13], v[58:59]
	v_mov_b32_e32 v47, 0
	s_and_b64 s[34:35], s[2:3], vcc
	s_and_saveexec_b64 s[8:9], s[34:35]
	s_cbranch_execz .LBB82_40
; %bb.39:                               ;   in Loop: Header=BB82_3 Depth=1
	buffer_load_dword v18, off, s[36:39], 0 offset:16 ; 4-byte Folded Reload
	buffer_load_dword v47, off, s[36:39], 0 offset:32 ; 4-byte Folded Reload
	s_waitcnt vmcnt(1)
	v_add_co_u32_e32 v58, vcc, v18, v0
	buffer_load_dword v18, off, s[36:39], 0 offset:24 ; 4-byte Folded Reload
	s_waitcnt vmcnt(0)
	v_addc_co_u32_e32 v59, vcc, v18, v1, vcc
	global_load_ushort v18, v[58:59], off
	v_add_co_u32_e32 v58, vcc, v47, v0
	buffer_load_dword v47, off, s[36:39], 0 offset:40 ; 4-byte Folded Reload
	s_waitcnt vmcnt(1)
	v_cvt_f32_f16_e32 v18, v18
	s_waitcnt vmcnt(0)
	v_addc_co_u32_e32 v59, vcc, v47, v1, vcc
	global_load_ushort v47, v[58:59], off
	s_waitcnt vmcnt(0)
	v_cvt_f32_f16_e32 v47, v47
.LBB82_40:                              ;   in Loop: Header=BB82_3 Depth=1
	s_or_b64 exec, exec, s[8:9]
	s_waitcnt vmcnt(4)
	ds_bpermute_b32 v59, v41, v46
	s_waitcnt vmcnt(3)
	ds_bpermute_b32 v58, v41, v45
	s_mov_b64 s[8:9], 0
	buffer_load_dword v60, off, s[36:39], 0 offset:224 ; 4-byte Folded Reload
	s_waitcnt lgkmcnt(1)
	v_sub_f32_e32 v36, v36, v59
	v_mul_f32_e32 v36, v3, v36
	s_waitcnt lgkmcnt(0)
	v_fma_f32 v36, v36, v58, v42
	buffer_load_dword v58, off, s[36:39], 0 offset:220 ; 4-byte Folded Reload
	ds_bpermute_b32 v59, v41, v46 offset:4
	s_waitcnt vmcnt(1) lgkmcnt(0)
	v_sub_f32_e32 v59, v60, v59
	v_mul_f32_e32 v59, v4, v59
	s_waitcnt vmcnt(0)
	v_add_f32_e32 v3, v58, v3
	ds_bpermute_b32 v58, v41, v45 offset:4
	v_add_f32_e32 v3, v4, v3
	v_add_f32_e32 v3, v5, v3
	;; [unrolled: 1-line block ×3, first 2 shown]
	ds_bpermute_b32 v4, v41, v45 offset:8
	s_waitcnt lgkmcnt(1)
	v_fmac_f32_e32 v36, v59, v58
	ds_bpermute_b32 v58, v41, v46 offset:8
	v_add_f32_e32 v3, v7, v3
	v_add_f32_e32 v3, v8, v3
	;; [unrolled: 1-line block ×4, first 2 shown]
	s_waitcnt lgkmcnt(0)
	v_sub_f32_e32 v58, v61, v58
	v_mul_f32_e32 v58, v5, v58
	ds_bpermute_b32 v5, v41, v46 offset:12
	v_fmac_f32_e32 v36, v58, v4
	ds_bpermute_b32 v4, v41, v45 offset:12
	v_add_f32_e32 v3, v11, v3
	v_add_f32_e32 v3, v12, v3
	s_waitcnt lgkmcnt(1)
	v_sub_f32_e32 v5, v50, v5
	v_mul_f32_e32 v5, v6, v5
	buffer_load_dword v6, off, s[36:39], 0 offset:228 ; 4-byte Folded Reload
	s_waitcnt lgkmcnt(0)
	v_fmac_f32_e32 v36, v5, v4
	ds_bpermute_b32 v5, v41, v46 offset:16
	ds_bpermute_b32 v4, v41, v45 offset:16
	v_add_f32_e32 v3, v13, v3
	v_add_f32_e32 v3, v14, v3
	;; [unrolled: 1-line block ×5, first 2 shown]
	s_waitcnt vmcnt(0) lgkmcnt(1)
	v_sub_f32_e32 v5, v6, v5
	buffer_load_dword v6, off, s[36:39], 0 offset:232 ; 4-byte Folded Reload
	v_mul_f32_e32 v5, v7, v5
	s_waitcnt lgkmcnt(0)
	v_fmac_f32_e32 v36, v5, v4
	ds_bpermute_b32 v5, v41, v46 offset:20
	ds_bpermute_b32 v4, v41, v45 offset:20
	s_waitcnt lgkmcnt(1)
	v_sub_f32_e32 v5, v51, v5
	v_mul_f32_e32 v5, v8, v5
	s_waitcnt lgkmcnt(0)
	v_fmac_f32_e32 v36, v5, v4
	ds_bpermute_b32 v5, v41, v46 offset:24
	ds_bpermute_b32 v4, v41, v45 offset:24
	s_waitcnt vmcnt(0) lgkmcnt(1)
	v_sub_f32_e32 v5, v6, v5
	v_mul_f32_e32 v5, v9, v5
	s_waitcnt lgkmcnt(0)
	v_fmac_f32_e32 v36, v5, v4
	ds_bpermute_b32 v5, v41, v46 offset:28
	ds_bpermute_b32 v4, v41, v45 offset:28
	s_waitcnt lgkmcnt(1)
	v_sub_f32_e32 v5, v49, v5
	v_mul_f32_e32 v5, v10, v5
	s_waitcnt lgkmcnt(0)
	v_fmac_f32_e32 v36, v5, v4
	ds_bpermute_b32 v5, v41, v46 offset:32
	ds_bpermute_b32 v4, v41, v45 offset:32
	s_waitcnt lgkmcnt(1)
	v_sub_f32_e32 v5, v48, v5
	v_mul_f32_e32 v5, v11, v5
	s_waitcnt lgkmcnt(0)
	v_fmac_f32_e32 v36, v5, v4
	ds_bpermute_b32 v5, v41, v46 offset:36
	ds_bpermute_b32 v4, v41, v45 offset:36
	;; [unrolled: 1-line block ×3, first 2 shown]
	s_waitcnt lgkmcnt(2)
	v_sub_f32_e32 v5, v54, v5
	v_mul_f32_e32 v5, v12, v5
	s_waitcnt lgkmcnt(1)
	v_fmac_f32_e32 v36, v5, v4
	ds_bpermute_b32 v5, v41, v46 offset:40
	ds_bpermute_b32 v4, v41, v45 offset:40
	s_waitcnt lgkmcnt(1)
	v_sub_f32_e32 v5, v52, v5
	v_mul_f32_e32 v5, v13, v5
	s_waitcnt lgkmcnt(0)
	v_fmac_f32_e32 v36, v5, v4
	ds_bpermute_b32 v5, v41, v46 offset:44
	ds_bpermute_b32 v4, v41, v45 offset:44
	;; [unrolled: 7-line block ×5, first 2 shown]
	s_waitcnt lgkmcnt(1)
	v_sub_f32_e32 v5, v55, v5
	v_mul_f32_e32 v5, v17, v5
	s_waitcnt lgkmcnt(0)
	v_fmac_f32_e32 v36, v5, v4
	ds_bpermute_b32 v4, v41, v46 offset:60
.LBB82_41:                              ;   in Loop: Header=BB82_3 Depth=1
	s_and_b64 vcc, exec, s[8:9]
	s_cbranch_vccz .LBB82_77
; %bb.42:                               ;   in Loop: Header=BB82_3 Depth=1
	s_load_dword s8, s[24:25], 0x0
	v_mov_b32_e32 v46, 0
	v_mov_b32_e32 v36, 0
	;; [unrolled: 1-line block ×3, first 2 shown]
	s_waitcnt lgkmcnt(0)
	s_cmp_lt_u32 s6, s8
	s_cselect_b32 s8, 12, 18
	s_add_u32 s8, s24, s8
	s_addc_u32 s9, s25, 0
	global_load_ushort v3, v2, s[8:9]
	buffer_load_dword v4, off, s[36:39], 0 offset:364 ; 4-byte Folded Reload
	buffer_load_dword v5, off, s[36:39], 0 offset:216 ; 4-byte Folded Reload
	s_waitcnt vmcnt(0)
	v_mad_u32_u24 v3, v5, v3, v4
	v_and_b32_e32 v3, 63, v3
	v_cmp_gt_u32_e32 vcc, 16, v3
	s_and_saveexec_b64 s[8:9], vcc
	s_cbranch_execz .LBB82_46
; %bb.43:                               ;   in Loop: Header=BB82_3 Depth=1
	v_add_co_u32_e32 v3, vcc, v43, v3
	v_addc_co_u32_e32 v4, vcc, 0, v44, vcc
	v_add_co_u32_e32 v3, vcc, 0xffffff01, v3
	v_addc_co_u32_e32 v4, vcc, -1, v4, vcc
	v_cmp_gt_i64_e32 vcc, s[12:13], v[3:4]
	v_mov_b32_e32 v45, 0
	v_mov_b32_e32 v36, 0
	s_and_saveexec_b64 s[34:35], vcc
	s_cbranch_execz .LBB82_45
; %bb.44:                               ;   in Loop: Header=BB82_3 Depth=1
	v_lshlrev_b64 v[3:4], 2, v[3:4]
	v_mov_b32_e32 v6, s23
	v_add_co_u32_e32 v5, vcc, s22, v3
	v_addc_co_u32_e32 v6, vcc, v6, v4, vcc
	v_mov_b32_e32 v7, s21
	v_add_co_u32_e32 v3, vcc, s20, v3
	v_addc_co_u32_e32 v4, vcc, v7, v4, vcc
	global_load_dword v45, v[3:4], off
	global_load_dword v36, v[5:6], off
.LBB82_45:                              ;   in Loop: Header=BB82_3 Depth=1
	s_or_b64 exec, exec, s[34:35]
.LBB82_46:                              ;   in Loop: Header=BB82_3 Depth=1
	s_or_b64 exec, exec, s[8:9]
	v_mov_b32_e32 v3, v2
	v_mov_b32_e32 v4, v2
	;; [unrolled: 1-line block ×31, first 2 shown]
	s_and_saveexec_b64 s[8:9], s[2:3]
	s_cbranch_execz .LBB82_48
; %bb.47:                               ;   in Loop: Header=BB82_3 Depth=1
	buffer_load_dword v3, off, s[36:39], 0  ; 4-byte Folded Reload
	buffer_load_dword v4, off, s[36:39], 0 offset:4 ; 4-byte Folded Reload
	v_mov_b32_e32 v5, v2
	v_mov_b32_e32 v6, v2
	;; [unrolled: 1-line block ×12, first 2 shown]
	s_waitcnt vmcnt(1)
	v_add_co_u32_e32 v3, vcc, v3, v0
	s_waitcnt vmcnt(0)
	v_addc_co_u32_e32 v4, vcc, v4, v1, vcc
	global_load_ushort v16, v[3:4], off
	s_nop 0
	buffer_load_dword v3, off, s[36:39], 0 offset:8 ; 4-byte Folded Reload
	buffer_load_dword v4, off, s[36:39], 0 offset:12 ; 4-byte Folded Reload
	s_waitcnt vmcnt(1)
	v_add_co_u32_e32 v3, vcc, v3, v0
	s_waitcnt vmcnt(0)
	v_addc_co_u32_e32 v4, vcc, v4, v1, vcc
	global_load_ushort v17, v[3:4], off
	v_cvt_f32_f16_e32 v3, v16
	v_mov_b32_e32 v4, v2
	v_mov_b32_e32 v16, v2
	s_waitcnt vmcnt(0)
	v_cvt_f32_f16_e32 v46, v17
	v_mov_b32_e32 v17, v2
.LBB82_48:                              ;   in Loop: Header=BB82_3 Depth=1
	s_or_b64 exec, exec, s[8:9]
	v_mov_b32_e32 v52, 0
	v_mov_b32_e32 v59, 0
	s_and_saveexec_b64 s[8:9], s[2:3]
	s_cbranch_execz .LBB82_50
; %bb.49:                               ;   in Loop: Header=BB82_3 Depth=1
	v_add_co_u32_e32 v43, vcc, v37, v0
	v_addc_co_u32_e32 v44, vcc, v38, v1, vcc
	global_load_ushort v4, v[43:44], off
	v_add_co_u32_e32 v43, vcc, v39, v0
	v_addc_co_u32_e32 v44, vcc, v40, v1, vcc
	global_load_ushort v43, v[43:44], off
	s_waitcnt vmcnt(1)
	v_cvt_f32_f16_e32 v4, v4
	s_waitcnt vmcnt(0)
	v_cvt_f32_f16_e32 v59, v43
.LBB82_50:                              ;   in Loop: Header=BB82_3 Depth=1
	s_or_b64 exec, exec, s[8:9]
	s_and_saveexec_b64 s[8:9], s[2:3]
	s_cbranch_execz .LBB82_52
; %bb.51:                               ;   in Loop: Header=BB82_3 Depth=1
	v_add_co_u32_e32 v43, vcc, v32, v0
	v_addc_co_u32_e32 v44, vcc, v33, v1, vcc
	global_load_ushort v5, v[43:44], off
	v_add_co_u32_e32 v43, vcc, v34, v0
	v_addc_co_u32_e32 v44, vcc, v35, v1, vcc
	global_load_ushort v43, v[43:44], off
	s_waitcnt vmcnt(1)
	v_cvt_f32_f16_e32 v5, v5
	s_waitcnt vmcnt(0)
	v_cvt_f32_f16_e32 v52, v43
.LBB82_52:                              ;   in Loop: Header=BB82_3 Depth=1
	s_or_b64 exec, exec, s[8:9]
	v_mov_b32_e32 v51, 0
	v_mov_b32_e32 v58, 0
	s_and_saveexec_b64 s[8:9], s[2:3]
	s_cbranch_execz .LBB82_54
; %bb.53:                               ;   in Loop: Header=BB82_3 Depth=1
	v_add_co_u32_e32 v43, vcc, v28, v0
	v_addc_co_u32_e32 v44, vcc, v29, v1, vcc
	global_load_ushort v6, v[43:44], off
	v_add_co_u32_e32 v43, vcc, v30, v0
	v_addc_co_u32_e32 v44, vcc, v31, v1, vcc
	global_load_ushort v43, v[43:44], off
	s_waitcnt vmcnt(1)
	v_cvt_f32_f16_e32 v6, v6
	s_waitcnt vmcnt(0)
	v_cvt_f32_f16_e32 v58, v43
.LBB82_54:                              ;   in Loop: Header=BB82_3 Depth=1
	s_or_b64 exec, exec, s[8:9]
	s_and_saveexec_b64 s[8:9], s[2:3]
	s_cbranch_execz .LBB82_56
; %bb.55:                               ;   in Loop: Header=BB82_3 Depth=1
	v_add_co_u32_e32 v43, vcc, v24, v0
	v_addc_co_u32_e32 v44, vcc, v25, v1, vcc
	global_load_ushort v7, v[43:44], off
	v_add_co_u32_e32 v43, vcc, v26, v0
	v_addc_co_u32_e32 v44, vcc, v27, v1, vcc
	global_load_ushort v43, v[43:44], off
	s_waitcnt vmcnt(1)
	v_cvt_f32_f16_e32 v7, v7
	s_waitcnt vmcnt(0)
	v_cvt_f32_f16_e32 v51, v43
.LBB82_56:                              ;   in Loop: Header=BB82_3 Depth=1
	s_or_b64 exec, exec, s[8:9]
	v_mov_b32_e32 v50, 0
	v_mov_b32_e32 v57, 0
	s_and_saveexec_b64 s[8:9], s[2:3]
	s_cbranch_execz .LBB82_58
; %bb.57:                               ;   in Loop: Header=BB82_3 Depth=1
	v_add_co_u32_e32 v43, vcc, v20, v0
	v_addc_co_u32_e32 v44, vcc, v21, v1, vcc
	global_load_ushort v8, v[43:44], off
	v_add_co_u32_e32 v43, vcc, v22, v0
	v_addc_co_u32_e32 v44, vcc, v23, v1, vcc
	global_load_ushort v43, v[43:44], off
	s_waitcnt vmcnt(1)
	v_cvt_f32_f16_e32 v8, v8
	s_waitcnt vmcnt(0)
	v_cvt_f32_f16_e32 v57, v43
.LBB82_58:                              ;   in Loop: Header=BB82_3 Depth=1
	s_or_b64 exec, exec, s[8:9]
	s_and_saveexec_b64 s[8:9], s[2:3]
	s_cbranch_execz .LBB82_60
; %bb.59:                               ;   in Loop: Header=BB82_3 Depth=1
	buffer_load_dword v9, off, s[36:39], 0 offset:212 ; 4-byte Folded Reload
	s_waitcnt vmcnt(0)
	v_add_co_u32_e32 v43, vcc, v9, v0
	v_addc_co_u32_e32 v44, vcc, v62, v1, vcc
	global_load_ushort v9, v[43:44], off
	v_add_co_u32_e32 v43, vcc, v63, v0
	v_addc_co_u32_e32 v44, vcc, v19, v1, vcc
	global_load_ushort v43, v[43:44], off
	s_waitcnt vmcnt(1)
	v_cvt_f32_f16_e32 v9, v9
	s_waitcnt vmcnt(0)
	v_cvt_f32_f16_e32 v50, v43
.LBB82_60:                              ;   in Loop: Header=BB82_3 Depth=1
	s_or_b64 exec, exec, s[8:9]
	v_mov_b32_e32 v49, 0
	v_mov_b32_e32 v56, 0
	s_and_saveexec_b64 s[8:9], s[2:3]
	s_cbranch_execz .LBB82_62
; %bb.61:                               ;   in Loop: Header=BB82_3 Depth=1
	buffer_load_dword v10, off, s[36:39], 0 offset:196 ; 4-byte Folded Reload
	s_waitcnt vmcnt(0)
	v_add_co_u32_e32 v43, vcc, v10, v0
	buffer_load_dword v10, off, s[36:39], 0 offset:200 ; 4-byte Folded Reload
	s_waitcnt vmcnt(0)
	v_addc_co_u32_e32 v44, vcc, v10, v1, vcc
	global_load_ushort v10, v[43:44], off
	s_waitcnt vmcnt(0)
	v_cvt_f32_f16_e32 v10, v10
	buffer_load_dword v43, off, s[36:39], 0 offset:204 ; 4-byte Folded Reload
	buffer_load_dword v44, off, s[36:39], 0 offset:208 ; 4-byte Folded Reload
	s_waitcnt vmcnt(1)
	v_add_co_u32_e32 v43, vcc, v43, v0
	s_waitcnt vmcnt(0)
	v_addc_co_u32_e32 v44, vcc, v44, v1, vcc
	global_load_ushort v43, v[43:44], off
	s_waitcnt vmcnt(0)
	v_cvt_f32_f16_e32 v56, v43
.LBB82_62:                              ;   in Loop: Header=BB82_3 Depth=1
	s_or_b64 exec, exec, s[8:9]
	s_and_saveexec_b64 s[8:9], s[2:3]
	s_cbranch_execz .LBB82_64
; %bb.63:                               ;   in Loop: Header=BB82_3 Depth=1
	buffer_load_dword v11, off, s[36:39], 0 offset:180 ; 4-byte Folded Reload
	s_waitcnt vmcnt(0)
	v_add_co_u32_e32 v43, vcc, v11, v0
	buffer_load_dword v11, off, s[36:39], 0 offset:184 ; 4-byte Folded Reload
	s_waitcnt vmcnt(0)
	v_addc_co_u32_e32 v44, vcc, v11, v1, vcc
	global_load_ushort v11, v[43:44], off
	s_waitcnt vmcnt(0)
	v_cvt_f32_f16_e32 v11, v11
	buffer_load_dword v43, off, s[36:39], 0 offset:188 ; 4-byte Folded Reload
	buffer_load_dword v44, off, s[36:39], 0 offset:192 ; 4-byte Folded Reload
	s_waitcnt vmcnt(1)
	v_add_co_u32_e32 v43, vcc, v43, v0
	s_waitcnt vmcnt(0)
	v_addc_co_u32_e32 v44, vcc, v44, v1, vcc
	global_load_ushort v43, v[43:44], off
	s_waitcnt vmcnt(0)
	v_cvt_f32_f16_e32 v49, v43
.LBB82_64:                              ;   in Loop: Header=BB82_3 Depth=1
	s_or_b64 exec, exec, s[8:9]
	v_mov_b32_e32 v48, 0
	v_mov_b32_e32 v55, 0
	s_and_saveexec_b64 s[8:9], s[2:3]
	s_cbranch_execz .LBB82_66
; %bb.65:                               ;   in Loop: Header=BB82_3 Depth=1
	buffer_load_dword v12, off, s[36:39], 0 offset:164 ; 4-byte Folded Reload
	s_waitcnt vmcnt(0)
	v_add_co_u32_e32 v43, vcc, v12, v0
	buffer_load_dword v12, off, s[36:39], 0 offset:168 ; 4-byte Folded Reload
	s_waitcnt vmcnt(0)
	v_addc_co_u32_e32 v44, vcc, v12, v1, vcc
	global_load_ushort v12, v[43:44], off
	s_waitcnt vmcnt(0)
	v_cvt_f32_f16_e32 v12, v12
	buffer_load_dword v43, off, s[36:39], 0 offset:172 ; 4-byte Folded Reload
	buffer_load_dword v44, off, s[36:39], 0 offset:176 ; 4-byte Folded Reload
	s_waitcnt vmcnt(1)
	v_add_co_u32_e32 v43, vcc, v43, v0
	s_waitcnt vmcnt(0)
	v_addc_co_u32_e32 v44, vcc, v44, v1, vcc
	global_load_ushort v43, v[43:44], off
	s_waitcnt vmcnt(0)
	v_cvt_f32_f16_e32 v55, v43
.LBB82_66:                              ;   in Loop: Header=BB82_3 Depth=1
	s_or_b64 exec, exec, s[8:9]
	s_and_saveexec_b64 s[8:9], s[2:3]
	s_cbranch_execz .LBB82_68
; %bb.67:                               ;   in Loop: Header=BB82_3 Depth=1
	buffer_load_dword v13, off, s[36:39], 0 offset:148 ; 4-byte Folded Reload
	s_waitcnt vmcnt(0)
	v_add_co_u32_e32 v43, vcc, v13, v0
	buffer_load_dword v13, off, s[36:39], 0 offset:152 ; 4-byte Folded Reload
	s_waitcnt vmcnt(0)
	v_addc_co_u32_e32 v44, vcc, v13, v1, vcc
	global_load_ushort v13, v[43:44], off
	s_waitcnt vmcnt(0)
	v_cvt_f32_f16_e32 v13, v13
	buffer_load_dword v43, off, s[36:39], 0 offset:156 ; 4-byte Folded Reload
	buffer_load_dword v44, off, s[36:39], 0 offset:160 ; 4-byte Folded Reload
	s_waitcnt vmcnt(1)
	v_add_co_u32_e32 v43, vcc, v43, v0
	s_waitcnt vmcnt(0)
	v_addc_co_u32_e32 v44, vcc, v44, v1, vcc
	global_load_ushort v43, v[43:44], off
	s_waitcnt vmcnt(0)
	v_cvt_f32_f16_e32 v48, v43
.LBB82_68:                              ;   in Loop: Header=BB82_3 Depth=1
	s_or_b64 exec, exec, s[8:9]
	v_mov_b32_e32 v44, 0
	v_mov_b32_e32 v54, 0
	s_and_saveexec_b64 s[8:9], s[2:3]
	s_cbranch_execz .LBB82_70
; %bb.69:                               ;   in Loop: Header=BB82_3 Depth=1
	buffer_load_dword v14, off, s[36:39], 0 offset:132 ; 4-byte Folded Reload
	buffer_load_dword v43, off, s[36:39], 0 offset:140 ; 4-byte Folded Reload
	s_waitcnt vmcnt(1)
	v_add_co_u32_e32 v53, vcc, v14, v0
	buffer_load_dword v14, off, s[36:39], 0 offset:136 ; 4-byte Folded Reload
	s_waitcnt vmcnt(0)
	v_addc_co_u32_e32 v54, vcc, v14, v1, vcc
	global_load_ushort v14, v[53:54], off
	v_add_co_u32_e32 v53, vcc, v43, v0
	buffer_load_dword v43, off, s[36:39], 0 offset:144 ; 4-byte Folded Reload
	s_waitcnt vmcnt(1)
	v_cvt_f32_f16_e32 v14, v14
	s_waitcnt vmcnt(0)
	v_addc_co_u32_e32 v54, vcc, v43, v1, vcc
	global_load_ushort v43, v[53:54], off
	s_waitcnt vmcnt(0)
	v_cvt_f32_f16_e32 v54, v43
.LBB82_70:                              ;   in Loop: Header=BB82_3 Depth=1
	s_or_b64 exec, exec, s[8:9]
	s_and_saveexec_b64 s[8:9], s[2:3]
	s_cbranch_execz .LBB82_72
; %bb.71:                               ;   in Loop: Header=BB82_3 Depth=1
	buffer_load_dword v15, off, s[36:39], 0 offset:112 ; 4-byte Folded Reload
	s_waitcnt vmcnt(0)
	v_add_co_u32_e32 v43, vcc, v15, v0
	buffer_load_dword v15, off, s[36:39], 0 offset:120 ; 4-byte Folded Reload
	s_waitcnt vmcnt(0)
	v_addc_co_u32_e32 v44, vcc, v15, v1, vcc
	global_load_ushort v15, v[43:44], off
	s_waitcnt vmcnt(0)
	v_cvt_f32_f16_e32 v15, v15
	buffer_load_dword v43, off, s[36:39], 0 offset:124 ; 4-byte Folded Reload
	buffer_load_dword v44, off, s[36:39], 0 offset:128 ; 4-byte Folded Reload
	s_waitcnt vmcnt(1)
	v_add_co_u32_e32 v43, vcc, v43, v0
	s_waitcnt vmcnt(0)
	v_addc_co_u32_e32 v44, vcc, v44, v1, vcc
	global_load_ushort v43, v[43:44], off
	s_waitcnt vmcnt(0)
	v_cvt_f32_f16_e32 v44, v43
.LBB82_72:                              ;   in Loop: Header=BB82_3 Depth=1
	s_or_b64 exec, exec, s[8:9]
	v_mov_b32_e32 v43, 0
	v_mov_b32_e32 v53, 0
	s_and_saveexec_b64 s[8:9], s[2:3]
	s_cbranch_execnz .LBB82_79
; %bb.73:                               ;   in Loop: Header=BB82_3 Depth=1
	s_or_b64 exec, exec, s[8:9]
	s_and_saveexec_b64 s[8:9], s[2:3]
	s_cbranch_execnz .LBB82_80
.LBB82_74:                              ;   in Loop: Header=BB82_3 Depth=1
	s_or_b64 exec, exec, s[8:9]
	v_mov_b32_e32 v47, 0
	s_and_saveexec_b64 s[8:9], s[2:3]
	s_cbranch_execz .LBB82_76
.LBB82_75:                              ;   in Loop: Header=BB82_3 Depth=1
	buffer_load_dword v18, off, s[36:39], 0 offset:16 ; 4-byte Folded Reload
	buffer_load_dword v47, off, s[36:39], 0 offset:32 ; 4-byte Folded Reload
	s_waitcnt vmcnt(1)
	v_add_co_u32_e32 v60, vcc, v18, v0
	buffer_load_dword v18, off, s[36:39], 0 offset:24 ; 4-byte Folded Reload
	s_waitcnt vmcnt(0)
	v_addc_co_u32_e32 v61, vcc, v18, v1, vcc
	global_load_ushort v18, v[60:61], off
	v_add_co_u32_e32 v60, vcc, v47, v0
	buffer_load_dword v47, off, s[36:39], 0 offset:40 ; 4-byte Folded Reload
	s_waitcnt vmcnt(1)
	v_cvt_f32_f16_e32 v18, v18
	s_waitcnt vmcnt(0)
	v_addc_co_u32_e32 v61, vcc, v47, v1, vcc
	global_load_ushort v47, v[60:61], off
	s_waitcnt vmcnt(0)
	v_cvt_f32_f16_e32 v47, v47
.LBB82_76:                              ;   in Loop: Header=BB82_3 Depth=1
	s_or_b64 exec, exec, s[8:9]
	s_waitcnt vmcnt(1)
	ds_bpermute_b32 v61, v41, v45
	s_waitcnt vmcnt(0)
	ds_bpermute_b32 v60, v41, v36
	s_waitcnt lgkmcnt(1)
	v_sub_f32_e32 v46, v46, v61
	v_mul_f32_e32 v46, v3, v46
	s_waitcnt lgkmcnt(0)
	v_fmac_f32_e32 v42, v46, v60
	buffer_load_dword v46, off, s[36:39], 0 offset:220 ; 4-byte Folded Reload
	ds_bpermute_b32 v60, v41, v45 offset:4
	s_waitcnt lgkmcnt(0)
	v_sub_f32_e32 v59, v59, v60
	v_mul_f32_e32 v59, v4, v59
	s_waitcnt vmcnt(0)
	v_add_f32_e32 v3, v46, v3
	ds_bpermute_b32 v46, v41, v36 offset:4
	v_add_f32_e32 v3, v4, v3
	ds_bpermute_b32 v4, v41, v36 offset:8
	v_add_f32_e32 v3, v5, v3
	v_add_f32_e32 v3, v6, v3
	s_waitcnt lgkmcnt(1)
	v_fmac_f32_e32 v42, v59, v46
	ds_bpermute_b32 v46, v41, v45 offset:8
	v_add_f32_e32 v3, v7, v3
	v_add_f32_e32 v3, v8, v3
	;; [unrolled: 1-line block ×4, first 2 shown]
	s_waitcnt lgkmcnt(0)
	v_sub_f32_e32 v46, v52, v46
	v_mul_f32_e32 v46, v5, v46
	ds_bpermute_b32 v5, v41, v45 offset:12
	v_fmac_f32_e32 v42, v46, v4
	ds_bpermute_b32 v4, v41, v36 offset:12
	v_add_f32_e32 v3, v11, v3
	v_add_f32_e32 v3, v12, v3
	s_waitcnt lgkmcnt(1)
	v_sub_f32_e32 v5, v58, v5
	v_mul_f32_e32 v5, v6, v5
	s_waitcnt lgkmcnt(0)
	v_fmac_f32_e32 v42, v5, v4
	ds_bpermute_b32 v5, v41, v45 offset:16
	ds_bpermute_b32 v4, v41, v36 offset:16
	v_add_f32_e32 v3, v13, v3
	v_add_f32_e32 v3, v14, v3
	v_add_f32_e32 v3, v15, v3
	s_waitcnt lgkmcnt(1)
	v_sub_f32_e32 v5, v51, v5
	v_mul_f32_e32 v5, v7, v5
	s_waitcnt lgkmcnt(0)
	v_fmac_f32_e32 v42, v5, v4
	ds_bpermute_b32 v5, v41, v45 offset:20
	ds_bpermute_b32 v4, v41, v36 offset:20
	v_add_f32_e32 v3, v16, v3
	v_add_f32_e32 v3, v17, v3
	s_waitcnt lgkmcnt(1)
	v_sub_f32_e32 v5, v57, v5
	v_mul_f32_e32 v5, v8, v5
	s_waitcnt lgkmcnt(0)
	v_fmac_f32_e32 v42, v5, v4
	ds_bpermute_b32 v5, v41, v45 offset:24
	ds_bpermute_b32 v4, v41, v36 offset:24
	s_waitcnt lgkmcnt(1)
	v_sub_f32_e32 v5, v50, v5
	v_mul_f32_e32 v5, v9, v5
	s_waitcnt lgkmcnt(0)
	v_fmac_f32_e32 v42, v5, v4
	ds_bpermute_b32 v5, v41, v45 offset:28
	ds_bpermute_b32 v4, v41, v36 offset:28
	;; [unrolled: 7-line block ×6, first 2 shown]
	ds_bpermute_b32 v48, v41, v36 offset:60
	s_waitcnt lgkmcnt(2)
	v_sub_f32_e32 v5, v54, v5
	v_mul_f32_e32 v5, v14, v5
	s_waitcnt lgkmcnt(1)
	v_fmac_f32_e32 v42, v5, v4
	ds_bpermute_b32 v5, v41, v45 offset:48
	ds_bpermute_b32 v4, v41, v36 offset:48
	s_waitcnt lgkmcnt(1)
	v_sub_f32_e32 v5, v44, v5
	v_mul_f32_e32 v5, v15, v5
	s_waitcnt lgkmcnt(0)
	v_fmac_f32_e32 v42, v5, v4
	ds_bpermute_b32 v5, v41, v45 offset:52
	;; [unrolled: 7-line block ×4, first 2 shown]
	v_mov_b32_e32 v36, v42
.LBB82_77:                              ;   in Loop: Header=BB82_3 Depth=1
	s_waitcnt lgkmcnt(0)
	v_sub_f32_e32 v4, v47, v4
	v_add_f32_e32 v5, v3, v18
	buffer_load_dword v3, off, s[36:39], 0  ; 4-byte Folded Reload
	v_mul_f32_e32 v4, v18, v4
	v_fmac_f32_e32 v36, v4, v48
	buffer_load_dword v4, off, s[36:39], 0 offset:4 ; 4-byte Folded Reload
	s_add_u32 s30, s30, s7
	s_addc_u32 s31, s31, 0
	s_add_u32 s28, s28, s7
	s_addc_u32 s29, s29, 0
	s_waitcnt vmcnt(1)
	v_add_co_u32_e32 v3, vcc, s26, v3
	buffer_store_dword v3, off, s[36:39], 0 ; 4-byte Folded Spill
	v_mov_b32_e32 v3, s27
	s_waitcnt vmcnt(1)
	v_addc_co_u32_e32 v4, vcc, v4, v3, vcc
	buffer_store_dword v4, off, s[36:39], 0 offset:4 ; 4-byte Folded Spill
	buffer_load_dword v4, off, s[36:39], 0 offset:8 ; 4-byte Folded Reload
	s_waitcnt vmcnt(0)
	v_add_co_u32_e32 v4, vcc, s26, v4
	buffer_store_dword v4, off, s[36:39], 0 offset:8 ; 4-byte Folded Spill
	buffer_load_dword v4, off, s[36:39], 0 offset:12 ; 4-byte Folded Reload
	s_waitcnt vmcnt(0)
	v_addc_co_u32_e32 v4, vcc, v4, v3, vcc
	buffer_store_dword v4, off, s[36:39], 0 offset:12 ; 4-byte Folded Spill
	buffer_load_dword v4, off, s[36:39], 0 offset:16 ; 4-byte Folded Reload
	s_waitcnt vmcnt(0)
	v_add_co_u32_e32 v4, vcc, s26, v4
	buffer_store_dword v4, off, s[36:39], 0 offset:16 ; 4-byte Folded Spill
	buffer_load_dword v4, off, s[36:39], 0 offset:24 ; 4-byte Folded Reload
	;; [unrolled: 8-line block ×19, first 2 shown]
	s_waitcnt vmcnt(0)
	v_addc_co_u32_e32 v4, vcc, v4, v3, vcc
	buffer_store_dword v4, off, s[36:39], 0 offset:208 ; 4-byte Folded Spill
	buffer_load_dword v4, off, s[36:39], 0 offset:212 ; 4-byte Folded Reload
	s_waitcnt vmcnt(0)
	v_add_co_u32_e32 v4, vcc, s26, v4
	v_addc_co_u32_e32 v62, vcc, v62, v3, vcc
	v_add_co_u32_e32 v63, vcc, s26, v63
	v_addc_co_u32_e32 v19, vcc, v19, v3, vcc
	;; [unrolled: 2-line block ×11, first 2 shown]
	v_add_co_u32_e32 v39, vcc, s26, v39
	buffer_store_dword v4, off, s[36:39], 0 offset:212 ; 4-byte Folded Spill
	v_addc_co_u32_e32 v40, vcc, v40, v3, vcc
	v_mov_b32_e32 v3, s12
	v_mov_b32_e32 v4, s13
	v_cmp_lt_i64_e32 vcc, s[30:31], v[3:4]
	s_cbranch_vccz .LBB82_82
; %bb.78:                               ;   in Loop: Header=BB82_3 Depth=1
	buffer_store_dword v5, off, s[36:39], 0 offset:220 ; 4-byte Folded Spill
	v_mov_b32_e32 v42, v36
	s_branch .LBB82_3
.LBB82_79:                              ;   in Loop: Header=BB82_3 Depth=1
	buffer_load_dword v16, off, s[36:39], 0 offset:80 ; 4-byte Folded Reload
	buffer_load_dword v47, off, s[36:39], 0 offset:96 ; 4-byte Folded Reload
	s_waitcnt vmcnt(1)
	v_add_co_u32_e32 v60, vcc, v16, v0
	buffer_load_dword v16, off, s[36:39], 0 offset:88 ; 4-byte Folded Reload
	s_waitcnt vmcnt(0)
	v_addc_co_u32_e32 v61, vcc, v16, v1, vcc
	global_load_ushort v16, v[60:61], off
	v_add_co_u32_e32 v60, vcc, v47, v0
	buffer_load_dword v47, off, s[36:39], 0 offset:104 ; 4-byte Folded Reload
	s_waitcnt vmcnt(1)
	v_cvt_f32_f16_e32 v16, v16
	s_waitcnt vmcnt(0)
	v_addc_co_u32_e32 v61, vcc, v47, v1, vcc
	global_load_ushort v47, v[60:61], off
	s_waitcnt vmcnt(0)
	v_cvt_f32_f16_e32 v53, v47
	s_or_b64 exec, exec, s[8:9]
	s_and_saveexec_b64 s[8:9], s[2:3]
	s_cbranch_execz .LBB82_74
.LBB82_80:                              ;   in Loop: Header=BB82_3 Depth=1
	buffer_load_dword v17, off, s[36:39], 0 offset:48 ; 4-byte Folded Reload
	buffer_load_dword v43, off, s[36:39], 0 offset:64 ; 4-byte Folded Reload
	s_waitcnt vmcnt(1)
	v_add_co_u32_e32 v60, vcc, v17, v0
	buffer_load_dword v17, off, s[36:39], 0 offset:56 ; 4-byte Folded Reload
	s_waitcnt vmcnt(0)
	v_addc_co_u32_e32 v61, vcc, v17, v1, vcc
	global_load_ushort v17, v[60:61], off
	v_add_co_u32_e32 v60, vcc, v43, v0
	buffer_load_dword v43, off, s[36:39], 0 offset:72 ; 4-byte Folded Reload
	s_waitcnt vmcnt(1)
	v_cvt_f32_f16_e32 v17, v17
	s_waitcnt vmcnt(0)
	v_addc_co_u32_e32 v61, vcc, v43, v1, vcc
	global_load_ushort v43, v[60:61], off
	s_waitcnt vmcnt(0)
	v_cvt_f32_f16_e32 v43, v43
	s_or_b64 exec, exec, s[8:9]
	v_mov_b32_e32 v47, 0
	s_and_saveexec_b64 s[8:9], s[2:3]
	s_cbranch_execnz .LBB82_75
	s_branch .LBB82_76
.LBB82_81:
                                        ; implicit-def: $vgpr36
                                        ; implicit-def: $vgpr5
	s_branch .LBB82_84
.LBB82_82:
	buffer_load_dword v15, off, s[36:39], 0 offset:364 ; 4-byte Folded Reload
.LBB82_83:
	s_cbranch_execnz .LBB82_133
.LBB82_84:
	v_mov_b32_e32 v36, 0
	s_and_b64 vcc, exec, s[0:1]
	v_mov_b32_e32 v5, 0
	s_cbranch_vccnz .LBB82_133
; %bb.85:
	buffer_load_dword v5, off, s[36:39], 0 offset:216 ; 4-byte Folded Reload
	s_load_dword s7, s[4:5], 0x44
	s_add_u32 s2, s4, 64
	s_addc_u32 s3, s5, 0
	v_mov_b32_e32 v4, s17
	v_mov_b32_e32 v12, s15
	s_waitcnt lgkmcnt(0)
	s_lshl_b32 s7, s7, 8
	v_mov_b32_e32 v40, 0
	v_mov_b32_e32 v63, 0
	s_waitcnt vmcnt(0)
	v_lshlrev_b32_e32 v0, 4, v5
	v_add_co_u32_e32 v8, vcc, s10, v0
	v_addc_co_u32_e64 v9, s[0:1], 0, 0, vcc
	buffer_store_dword v0, off, s[36:39], 0 offset:424 ; 4-byte Folded Spill
	v_mul_lo_u32 v2, s15, v8
	v_mul_lo_u32 v3, s14, v9
	v_mad_u64_u32 v[0:1], s[0:1], s14, v8, 0
	s_mul_i32 s0, s15, s7
	s_mul_hi_u32 s1, s14, s7
	v_add3_u32 v1, v1, v3, v2
	v_lshlrev_b64 v[2:3], 1, v[0:1]
	s_add_i32 s1, s1, s0
	v_add_co_u32_e32 v6, vcc, s16, v2
	v_addc_co_u32_e32 v4, vcc, v4, v3, vcc
	s_mul_i32 s0, s14, s7
	buffer_store_dword v4, off, s[36:39], 0 offset:4 ; 4-byte Folded Spill
	s_lshl_b64 s[8:9], s[0:1], 1
	v_mov_b32_e32 v4, s19
	v_add_co_u32_e32 v2, vcc, s18, v2
	buffer_store_dword v2, off, s[36:39], 0 offset:8 ; 4-byte Folded Spill
	v_addc_co_u32_e32 v2, vcc, v4, v3, vcc
	s_add_u32 s24, s10, 0xff
	buffer_store_dword v2, off, s[36:39], 0 offset:12 ; 4-byte Folded Spill
	s_addc_u32 s25, 0, 0
	v_lshlrev_b32_e32 v2, 5, v5
	s_lshl_b64 s[0:1], s[10:11], 1
	v_mov_b32_e32 v3, s1
	v_add_co_u32_e32 v10, vcc, s0, v2
	v_addc_co_u32_e32 v11, vcc, 0, v3, vcc
	buffer_store_dword v6, off, s[36:39], 0 ; 4-byte Folded Spill
	v_add_co_u32_e32 v4, vcc, 2, v10
	v_mov_b32_e32 v2, s16
	v_mov_b32_e32 v6, s18
	v_addc_co_u32_e32 v5, vcc, 0, v11, vcc
	v_mov_b32_e32 v3, s17
	v_mov_b32_e32 v7, s19
	v_mad_u64_u32 v[16:17], s[0:1], s14, v4, v[2:3]
	v_mul_lo_u32 v13, s14, v5
	v_mul_lo_u32 v14, s15, v4
	v_mad_u64_u32 v[18:19], s[0:1], s14, v4, v[6:7]
	v_add_co_u32_e32 v4, vcc, s14, v0
	v_addc_co_u32_e32 v5, vcc, v1, v12, vcc
	v_add3_u32 v17, v14, v17, v13
	v_add3_u32 v19, v14, v19, v13
	v_add_co_u32_e32 v0, vcc, 4, v10
	buffer_store_dword v16, off, s[36:39], 0 offset:16 ; 4-byte Folded Spill
	s_nop 0
	buffer_store_dword v17, off, s[36:39], 0 offset:20 ; 4-byte Folded Spill
	buffer_store_dword v18, off, s[36:39], 0 offset:24 ; 4-byte Folded Spill
	s_nop 0
	buffer_store_dword v19, off, s[36:39], 0 offset:28 ; 4-byte Folded Spill
	v_addc_co_u32_e32 v1, vcc, 0, v11, vcc
	v_mul_lo_u32 v1, s14, v1
	v_mul_lo_u32 v12, s15, v0
	v_mad_u64_u32 v[16:17], s[0:1], s14, v0, v[2:3]
	v_mad_u64_u32 v[18:19], s[0:1], s14, v0, v[6:7]
	v_add_co_u32_e32 v0, vcc, 6, v10
	v_addc_co_u32_e32 v13, vcc, 0, v11, vcc
	v_mul_lo_u32 v13, s14, v13
	v_mul_lo_u32 v14, s15, v0
	v_mad_u64_u32 v[20:21], s[0:1], s14, v0, v[2:3]
	v_mad_u64_u32 v[22:23], s[0:1], s14, v0, v[6:7]
	v_add3_u32 v17, v12, v17, v1
	v_add3_u32 v19, v12, v19, v1
	v_add_co_u32_e32 v0, vcc, 8, v10
	buffer_store_dword v16, off, s[36:39], 0 offset:32 ; 4-byte Folded Spill
	s_nop 0
	buffer_store_dword v17, off, s[36:39], 0 offset:36 ; 4-byte Folded Spill
	buffer_store_dword v18, off, s[36:39], 0 offset:40 ; 4-byte Folded Spill
	s_nop 0
	buffer_store_dword v19, off, s[36:39], 0 offset:44 ; 4-byte Folded Spill
	v_addc_co_u32_e32 v1, vcc, 0, v11, vcc
	v_mul_lo_u32 v1, s14, v1
	v_mul_lo_u32 v12, s15, v0
	v_mad_u64_u32 v[16:17], s[0:1], s14, v0, v[2:3]
	v_mad_u64_u32 v[18:19], s[0:1], s14, v0, v[6:7]
	v_add3_u32 v21, v14, v21, v13
	v_add_co_u32_e32 v0, vcc, 10, v10
	buffer_store_dword v20, off, s[36:39], 0 offset:48 ; 4-byte Folded Spill
	s_nop 0
	buffer_store_dword v21, off, s[36:39], 0 offset:52 ; 4-byte Folded Spill
	v_add3_u32 v23, v14, v23, v13
	v_addc_co_u32_e32 v13, vcc, 0, v11, vcc
	buffer_store_dword v22, off, s[36:39], 0 offset:56 ; 4-byte Folded Spill
	s_nop 0
	buffer_store_dword v23, off, s[36:39], 0 offset:60 ; 4-byte Folded Spill
	v_mul_lo_u32 v13, s14, v13
	v_mul_lo_u32 v14, s15, v0
	v_mad_u64_u32 v[20:21], s[0:1], s14, v0, v[2:3]
	v_mad_u64_u32 v[22:23], s[0:1], s14, v0, v[6:7]
	v_add3_u32 v17, v12, v17, v1
	v_add3_u32 v19, v12, v19, v1
	v_add_co_u32_e32 v0, vcc, 12, v10
	buffer_store_dword v16, off, s[36:39], 0 offset:64 ; 4-byte Folded Spill
	s_nop 0
	buffer_store_dword v17, off, s[36:39], 0 offset:68 ; 4-byte Folded Spill
	buffer_store_dword v18, off, s[36:39], 0 offset:72 ; 4-byte Folded Spill
	s_nop 0
	buffer_store_dword v19, off, s[36:39], 0 offset:76 ; 4-byte Folded Spill
	v_addc_co_u32_e32 v1, vcc, 0, v11, vcc
	v_mul_lo_u32 v1, s14, v1
	v_mul_lo_u32 v12, s15, v0
	v_mad_u64_u32 v[16:17], s[0:1], s14, v0, v[2:3]
	v_mad_u64_u32 v[18:19], s[0:1], s14, v0, v[6:7]
	v_add3_u32 v21, v14, v21, v13
	v_add_co_u32_e32 v0, vcc, 14, v10
	buffer_store_dword v20, off, s[36:39], 0 offset:80 ; 4-byte Folded Spill
	s_nop 0
	buffer_store_dword v21, off, s[36:39], 0 offset:84 ; 4-byte Folded Spill
	v_add3_u32 v23, v14, v23, v13
	v_addc_co_u32_e32 v13, vcc, 0, v11, vcc
	v_mul_lo_u32 v13, s14, v13
	v_mul_lo_u32 v14, s15, v0
	v_mad_u64_u32 v[20:21], s[0:1], s14, v0, v[2:3]
	v_mad_u64_u32 v[45:46], s[0:1], s14, v0, v[6:7]
	v_add_co_u32_e32 v0, vcc, 16, v10
	v_add3_u32 v17, v12, v17, v1
	v_add3_u32 v19, v12, v19, v1
	v_addc_co_u32_e32 v1, vcc, 0, v11, vcc
	v_mul_lo_u32 v1, s14, v1
	v_mul_lo_u32 v12, s15, v0
	v_mad_u64_u32 v[47:48], s[0:1], s14, v0, v[2:3]
	v_mad_u64_u32 v[49:50], s[0:1], s14, v0, v[6:7]
	v_add_co_u32_e32 v0, vcc, 18, v10
	v_add3_u32 v21, v14, v21, v13
	v_add3_u32 v46, v14, v46, v13
	v_addc_co_u32_e32 v13, vcc, 0, v11, vcc
	v_mul_lo_u32 v14, s15, v0
	v_mad_u64_u32 v[51:52], s[0:1], s14, v0, v[2:3]
	v_mad_u64_u32 v[53:54], s[0:1], s14, v0, v[6:7]
	v_add_co_u32_e32 v0, vcc, 20, v10
	v_add3_u32 v48, v12, v48, v1
	v_add3_u32 v50, v12, v50, v1
	v_addc_co_u32_e32 v1, vcc, 0, v11, vcc
	v_mul_lo_u32 v1, s14, v1
	v_mul_lo_u32 v12, s15, v0
	v_mad_u64_u32 v[55:56], s[0:1], s14, v0, v[2:3]
	v_mad_u64_u32 v[57:58], s[0:1], s14, v0, v[6:7]
	v_add_co_u32_e32 v0, vcc, 22, v10
	v_add3_u32 v56, v12, v56, v1
	v_add3_u32 v58, v12, v58, v1
	v_addc_co_u32_e32 v1, vcc, 0, v11, vcc
	v_mul_lo_u32 v1, s14, v1
	v_mul_lo_u32 v12, s15, v0
	v_mad_u64_u32 v[59:60], s[0:1], s14, v0, v[2:3]
	v_mad_u64_u32 v[61:62], s[0:1], s14, v0, v[6:7]
	v_mul_lo_u32 v13, s14, v13
	v_add_co_u32_e32 v0, vcc, 24, v10
	buffer_store_dword v22, off, s[36:39], 0 offset:88 ; 4-byte Folded Spill
	s_nop 0
	buffer_store_dword v23, off, s[36:39], 0 offset:92 ; 4-byte Folded Spill
	buffer_store_dword v16, off, s[36:39], 0 offset:96 ; 4-byte Folded Spill
	s_nop 0
	buffer_store_dword v17, off, s[36:39], 0 offset:100 ; 4-byte Folded Spill
	;; [unrolled: 3-line block ×4, first 2 shown]
	v_add3_u32 v60, v12, v60, v1
	v_add3_u32 v62, v12, v62, v1
	v_addc_co_u32_e32 v1, vcc, 0, v11, vcc
	v_add3_u32 v52, v14, v52, v13
	v_add3_u32 v54, v14, v54, v13
	v_mul_lo_u32 v12, s14, v1
	v_mul_lo_u32 v13, s15, v0
	v_mad_u64_u32 v[19:20], s[0:1], s14, v0, v[2:3]
	v_mad_u64_u32 v[0:1], s[0:1], s14, v0, v[6:7]
	v_add3_u32 v20, v13, v20, v12
	v_add3_u32 v1, v13, v1, v12
	v_add_co_u32_e32 v12, vcc, 26, v10
	v_addc_co_u32_e32 v13, vcc, 0, v11, vcc
	v_mul_lo_u32 v13, s14, v13
	v_mul_lo_u32 v14, s15, v12
	v_mad_u64_u32 v[21:22], s[0:1], s14, v12, v[2:3]
	v_mad_u64_u32 v[23:24], s[0:1], s14, v12, v[6:7]
	v_add_co_u32_e32 v12, vcc, 28, v10
	v_add3_u32 v22, v14, v22, v13
	v_add3_u32 v24, v14, v24, v13
	v_addc_co_u32_e32 v13, vcc, 0, v11, vcc
	v_add_co_u32_e32 v10, vcc, 30, v10
	v_addc_co_u32_e32 v11, vcc, 0, v11, vcc
	v_mad_u64_u32 v[25:26], s[0:1], s14, v12, v[2:3]
	v_mad_u64_u32 v[29:30], s[0:1], s14, v10, v[2:3]
	v_mul_lo_u32 v2, s14, v11
	v_mad_u64_u32 v[31:32], s[0:1], s14, v10, v[6:7]
	v_mul_lo_u32 v3, s15, v10
	;; [unrolled: 2-line block ×3, first 2 shown]
	v_add3_u32 v30, v3, v30, v2
	v_add3_u32 v32, v3, v32, v2
	v_add_co_u32_e32 v2, vcc, 15, v8
	v_addc_co_u32_e32 v3, vcc, 0, v9, vcc
	v_mul_lo_u32 v6, s14, v3
	v_mul_lo_u32 v7, s15, v2
	v_mad_u64_u32 v[2:3], s[0:1], s14, v2, 0
	v_mul_lo_u32 v14, s15, v12
	v_add3_u32 v3, v3, v6, v7
	v_lshlrev_b64 v[2:3], 1, v[2:3]
	v_mov_b32_e32 v6, s17
	v_add_co_u32_e32 v7, vcc, s16, v2
	v_addc_co_u32_e32 v6, vcc, v6, v3, vcc
	buffer_store_dword v6, off, s[36:39], 0 offset:124 ; 4-byte Folded Spill
	v_mov_b32_e32 v6, s19
	v_add_co_u32_e32 v2, vcc, s18, v2
	buffer_store_dword v2, off, s[36:39], 0 offset:128 ; 4-byte Folded Spill
	v_addc_co_u32_e32 v2, vcc, v6, v3, vcc
	buffer_store_dword v2, off, s[36:39], 0 offset:132 ; 4-byte Folded Spill
	v_add_co_u32_e32 v2, vcc, 14, v8
	v_addc_co_u32_e32 v3, vcc, 0, v9, vcc
	buffer_store_dword v7, off, s[36:39], 0 offset:120 ; 4-byte Folded Spill
	v_mul_lo_u32 v6, s14, v3
	v_mul_lo_u32 v7, s15, v2
	v_mad_u64_u32 v[2:3], s[0:1], s14, v2, 0
	v_add3_u32 v26, v14, v26, v13
	v_add3_u32 v28, v14, v28, v13
	;; [unrolled: 1-line block ×3, first 2 shown]
	v_lshlrev_b64 v[2:3], 1, v[2:3]
	v_mov_b32_e32 v6, s17
	v_add_co_u32_e32 v7, vcc, s16, v2
	v_addc_co_u32_e32 v6, vcc, v6, v3, vcc
	buffer_store_dword v6, off, s[36:39], 0 offset:140 ; 4-byte Folded Spill
	v_mov_b32_e32 v6, s19
	v_add_co_u32_e32 v2, vcc, s18, v2
	buffer_store_dword v2, off, s[36:39], 0 offset:144 ; 4-byte Folded Spill
	v_addc_co_u32_e32 v2, vcc, v6, v3, vcc
	buffer_store_dword v2, off, s[36:39], 0 offset:148 ; 4-byte Folded Spill
	v_add_co_u32_e32 v2, vcc, 13, v8
	v_addc_co_u32_e32 v3, vcc, 0, v9, vcc
	buffer_store_dword v7, off, s[36:39], 0 offset:136 ; 4-byte Folded Spill
	v_mul_lo_u32 v6, s14, v3
	v_mul_lo_u32 v7, s15, v2
	v_mad_u64_u32 v[2:3], s[0:1], s14, v2, 0
	v_add3_u32 v3, v3, v6, v7
	v_lshlrev_b64 v[2:3], 1, v[2:3]
	v_mov_b32_e32 v6, s17
	v_add_co_u32_e32 v7, vcc, s16, v2
	v_addc_co_u32_e32 v6, vcc, v6, v3, vcc
	buffer_store_dword v6, off, s[36:39], 0 offset:156 ; 4-byte Folded Spill
	v_mov_b32_e32 v6, s19
	v_add_co_u32_e32 v2, vcc, s18, v2
	buffer_store_dword v2, off, s[36:39], 0 offset:160 ; 4-byte Folded Spill
	v_addc_co_u32_e32 v2, vcc, v6, v3, vcc
	buffer_store_dword v2, off, s[36:39], 0 offset:164 ; 4-byte Folded Spill
	v_add_co_u32_e32 v2, vcc, 12, v8
	v_addc_co_u32_e32 v3, vcc, 0, v9, vcc
	buffer_store_dword v7, off, s[36:39], 0 offset:152 ; 4-byte Folded Spill
	v_mul_lo_u32 v6, s14, v3
	v_mul_lo_u32 v7, s15, v2
	v_mad_u64_u32 v[2:3], s[0:1], s14, v2, 0
	v_add3_u32 v3, v3, v6, v7
	;; [unrolled: 17-line block ×12, first 2 shown]
	v_lshlrev_b64 v[2:3], 1, v[2:3]
	v_mov_b32_e32 v6, s17
	v_add_co_u32_e32 v7, vcc, s16, v2
	v_addc_co_u32_e32 v6, vcc, v6, v3, vcc
	buffer_store_dword v6, off, s[36:39], 0 offset:336 ; 4-byte Folded Spill
	v_mov_b32_e32 v6, s19
	v_add_co_u32_e32 v2, vcc, s18, v2
	buffer_store_dword v2, off, s[36:39], 0 offset:340 ; 4-byte Folded Spill
	v_addc_co_u32_e32 v2, vcc, v6, v3, vcc
	buffer_store_dword v2, off, s[36:39], 0 offset:344 ; 4-byte Folded Spill
	v_lshlrev_b64 v[2:3], 1, v[4:5]
	v_mov_b32_e32 v4, s17
	v_add_co_u32_e32 v5, vcc, s16, v2
	v_addc_co_u32_e32 v4, vcc, v4, v3, vcc
	buffer_store_dword v4, off, s[36:39], 0 offset:352 ; 4-byte Folded Spill
	v_mov_b32_e32 v4, s19
	v_add_co_u32_e32 v2, vcc, s18, v2
	buffer_store_dword v2, off, s[36:39], 0 offset:356 ; 4-byte Folded Spill
	v_addc_co_u32_e32 v2, vcc, v4, v3, vcc
	buffer_store_dword v7, off, s[36:39], 0 offset:332 ; 4-byte Folded Spill
	buffer_store_dword v5, off, s[36:39], 0 offset:348 ; 4-byte Folded Spill
	;; [unrolled: 1-line block ×4, first 2 shown]
	v_mov_b32_e32 v2, 0
	v_add_u32_e32 v3, s33, v15
	v_mov_b32_e32 v4, v2
	v_lshlrev_b64 v[33:34], 1, v[3:4]
	v_mbcnt_lo_u32_b32 v3, -1, 0
	v_mbcnt_hi_u32_b32 v3, -1, v3
	v_lshlrev_b32_e32 v3, 2, v3
	v_and_b32_e32 v35, 0x100, v3
.LBB82_86:                              ; =>This Inner Loop Header: Depth=1
	v_mov_b32_e32 v3, s12
	v_mov_b32_e32 v4, s13
	v_cmp_ge_i64_e32 vcc, s[24:25], v[3:4]
	buffer_load_dword v4, off, s[36:39], 0 offset:424 ; 4-byte Folded Reload
	v_mov_b32_e32 v3, s25
	s_and_b64 vcc, exec, vcc
                                        ; implicit-def: $vgpr5
                                        ; implicit-def: $vgpr36
	s_waitcnt vmcnt(0)
	v_add_co_u32_e64 v37, s[0:1], s24, v4
	v_addc_co_u32_e64 v38, s[0:1], 0, v3, s[0:1]
	s_mov_b64 s[0:1], -1
	s_cbranch_vccz .LBB82_124
; %bb.87:                               ;   in Loop: Header=BB82_86 Depth=1
	buffer_store_dword v40, off, s[36:39], 0 offset:368 ; 4-byte Folded Spill
	s_load_dword s0, s[2:3], 0xc
	buffer_load_dword v3, off, s[36:39], 0 offset:364 ; 4-byte Folded Reload
	buffer_load_dword v4, off, s[36:39], 0 offset:216 ; 4-byte Folded Reload
	v_mov_b32_e32 v36, 0
	v_mov_b32_e32 v40, 0
	;; [unrolled: 1-line block ×3, first 2 shown]
	s_waitcnt lgkmcnt(0)
	s_and_b32 s0, s0, 0xffff
	s_waitcnt vmcnt(0)
	v_mad_u32_u24 v3, v4, s0, v3
	v_and_b32_e32 v3, 63, v3
	v_cmp_gt_u32_e32 vcc, 16, v3
	s_and_saveexec_b64 s[0:1], vcc
	s_cbranch_execz .LBB82_91
; %bb.88:                               ;   in Loop: Header=BB82_86 Depth=1
	v_add_co_u32_e32 v3, vcc, v37, v3
	v_addc_co_u32_e32 v4, vcc, 0, v38, vcc
	v_add_co_u32_e32 v3, vcc, 0xffffff01, v3
	v_addc_co_u32_e32 v4, vcc, -1, v4, vcc
	v_cmp_gt_i64_e32 vcc, s[12:13], v[3:4]
	v_mov_b32_e32 v39, 0
	v_mov_b32_e32 v40, 0
	s_and_saveexec_b64 s[16:17], vcc
	s_cbranch_execz .LBB82_90
; %bb.89:                               ;   in Loop: Header=BB82_86 Depth=1
	v_lshlrev_b64 v[3:4], 2, v[3:4]
	v_mov_b32_e32 v6, s23
	v_add_co_u32_e32 v5, vcc, s22, v3
	v_addc_co_u32_e32 v6, vcc, v6, v4, vcc
	v_mov_b32_e32 v7, s21
	v_add_co_u32_e32 v3, vcc, s20, v3
	v_addc_co_u32_e32 v4, vcc, v7, v4, vcc
	global_load_dword v39, v[3:4], off
	global_load_dword v40, v[5:6], off
.LBB82_90:                              ;   in Loop: Header=BB82_86 Depth=1
	s_or_b64 exec, exec, s[16:17]
.LBB82_91:                              ;   in Loop: Header=BB82_86 Depth=1
	s_or_b64 exec, exec, s[0:1]
	v_add_co_u32_e32 v3, vcc, 0xffffff01, v37
	v_addc_co_u32_e32 v4, vcc, -1, v38, vcc
	v_cmp_gt_i64_e32 vcc, s[12:13], v[3:4]
	v_mov_b32_e32 v3, v2
	v_mov_b32_e32 v4, v2
	;; [unrolled: 1-line block ×31, first 2 shown]
	s_and_saveexec_b64 s[0:1], vcc
	s_cbranch_execz .LBB82_93
; %bb.92:                               ;   in Loop: Header=BB82_86 Depth=1
	buffer_load_dword v3, off, s[36:39], 0  ; 4-byte Folded Reload
	buffer_load_dword v4, off, s[36:39], 0 offset:4 ; 4-byte Folded Reload
	v_mov_b32_e32 v5, v2
	v_mov_b32_e32 v6, v2
	v_mov_b32_e32 v7, v2
	v_mov_b32_e32 v8, v2
	v_mov_b32_e32 v9, v2
	v_mov_b32_e32 v10, v2
	v_mov_b32_e32 v11, v2
	v_mov_b32_e32 v12, v2
	v_mov_b32_e32 v13, v2
	v_mov_b32_e32 v14, v2
	v_mov_b32_e32 v15, v2
	v_mov_b32_e32 v18, v2
	s_waitcnt vmcnt(1)
	v_add_co_u32_e32 v3, vcc, v3, v33
	s_waitcnt vmcnt(0)
	v_addc_co_u32_e32 v4, vcc, v4, v34, vcc
	global_load_ushort v16, v[3:4], off
	s_nop 0
	buffer_load_dword v3, off, s[36:39], 0 offset:8 ; 4-byte Folded Reload
	buffer_load_dword v4, off, s[36:39], 0 offset:12 ; 4-byte Folded Reload
	s_waitcnt vmcnt(1)
	v_add_co_u32_e32 v3, vcc, v3, v33
	s_waitcnt vmcnt(0)
	v_addc_co_u32_e32 v4, vcc, v4, v34, vcc
	global_load_ushort v17, v[3:4], off
	v_cvt_f32_f16_e32 v3, v16
	v_mov_b32_e32 v4, v2
	v_mov_b32_e32 v16, v2
	s_waitcnt vmcnt(0)
	v_cvt_f32_f16_e32 v36, v17
	v_mov_b32_e32 v17, v2
.LBB82_93:                              ;   in Loop: Header=BB82_86 Depth=1
	s_or_b64 exec, exec, s[0:1]
	v_add_co_u32_e32 v41, vcc, 0xffffff02, v37
	v_addc_co_u32_e32 v42, vcc, -1, v38, vcc
	v_cmp_gt_i64_e32 vcc, s[12:13], v[41:42]
	v_mov_b32_e32 v41, 0
	buffer_store_dword v41, off, s[36:39], 0 offset:372 ; 4-byte Folded Spill
	v_mov_b32_e32 v41, 0
	buffer_store_dword v41, off, s[36:39], 0 offset:384 ; 4-byte Folded Spill
	s_and_saveexec_b64 s[0:1], vcc
	s_cbranch_execz .LBB82_95
; %bb.94:                               ;   in Loop: Header=BB82_86 Depth=1
	buffer_load_dword v4, off, s[36:39], 0 offset:348 ; 4-byte Folded Reload
	s_waitcnt vmcnt(0)
	v_add_co_u32_e32 v41, vcc, v4, v33
	buffer_load_dword v4, off, s[36:39], 0 offset:352 ; 4-byte Folded Reload
	s_waitcnt vmcnt(0)
	v_addc_co_u32_e32 v42, vcc, v4, v34, vcc
	global_load_ushort v4, v[41:42], off
	s_waitcnt vmcnt(0)
	v_cvt_f32_f16_e32 v4, v4
	buffer_load_dword v41, off, s[36:39], 0 offset:356 ; 4-byte Folded Reload
	buffer_load_dword v42, off, s[36:39], 0 offset:360 ; 4-byte Folded Reload
	s_waitcnt vmcnt(1)
	v_add_co_u32_e32 v41, vcc, v41, v33
	s_waitcnt vmcnt(0)
	v_addc_co_u32_e32 v42, vcc, v42, v34, vcc
	global_load_ushort v41, v[41:42], off
	s_waitcnt vmcnt(0)
	v_cvt_f32_f16_e32 v41, v41
	buffer_store_dword v41, off, s[36:39], 0 offset:384 ; 4-byte Folded Spill
.LBB82_95:                              ;   in Loop: Header=BB82_86 Depth=1
	s_or_b64 exec, exec, s[0:1]
	v_add_co_u32_e32 v41, vcc, 0xffffff03, v37
	v_addc_co_u32_e32 v42, vcc, -1, v38, vcc
	v_cmp_gt_i64_e32 vcc, s[12:13], v[41:42]
	s_and_saveexec_b64 s[0:1], vcc
	s_cbranch_execz .LBB82_97
; %bb.96:                               ;   in Loop: Header=BB82_86 Depth=1
	buffer_load_dword v5, off, s[36:39], 0 offset:332 ; 4-byte Folded Reload
	s_waitcnt vmcnt(0)
	v_add_co_u32_e32 v41, vcc, v5, v33
	buffer_load_dword v5, off, s[36:39], 0 offset:336 ; 4-byte Folded Reload
	s_waitcnt vmcnt(0)
	v_addc_co_u32_e32 v42, vcc, v5, v34, vcc
	global_load_ushort v5, v[41:42], off
	s_waitcnt vmcnt(0)
	v_cvt_f32_f16_e32 v5, v5
	buffer_load_dword v41, off, s[36:39], 0 offset:340 ; 4-byte Folded Reload
	buffer_load_dword v42, off, s[36:39], 0 offset:344 ; 4-byte Folded Reload
	s_waitcnt vmcnt(1)
	v_add_co_u32_e32 v41, vcc, v41, v33
	s_waitcnt vmcnt(0)
	v_addc_co_u32_e32 v42, vcc, v42, v34, vcc
	global_load_ushort v41, v[41:42], off
	s_waitcnt vmcnt(0)
	v_cvt_f32_f16_e32 v41, v41
	buffer_store_dword v41, off, s[36:39], 0 offset:372 ; 4-byte Folded Spill
.LBB82_97:                              ;   in Loop: Header=BB82_86 Depth=1
	s_or_b64 exec, exec, s[0:1]
	v_add_co_u32_e32 v41, vcc, 0xffffff04, v37
	v_addc_co_u32_e32 v42, vcc, -1, v38, vcc
	v_cmp_gt_i64_e32 vcc, s[12:13], v[41:42]
	v_mov_b32_e32 v41, 0
	v_mov_b32_e32 v44, 0
	buffer_store_dword v41, off, s[36:39], 0 offset:376 ; 4-byte Folded Spill
	s_and_saveexec_b64 s[0:1], vcc
	s_cbranch_execz .LBB82_99
; %bb.98:                               ;   in Loop: Header=BB82_86 Depth=1
	buffer_load_dword v6, off, s[36:39], 0 offset:316 ; 4-byte Folded Reload
	s_waitcnt vmcnt(0)
	v_add_co_u32_e32 v41, vcc, v6, v33
	buffer_load_dword v6, off, s[36:39], 0 offset:320 ; 4-byte Folded Reload
	s_waitcnt vmcnt(0)
	v_addc_co_u32_e32 v42, vcc, v6, v34, vcc
	global_load_ushort v6, v[41:42], off
	s_waitcnt vmcnt(0)
	v_cvt_f32_f16_e32 v6, v6
	buffer_load_dword v41, off, s[36:39], 0 offset:324 ; 4-byte Folded Reload
	buffer_load_dword v42, off, s[36:39], 0 offset:328 ; 4-byte Folded Reload
	s_waitcnt vmcnt(1)
	v_add_co_u32_e32 v41, vcc, v41, v33
	s_waitcnt vmcnt(0)
	v_addc_co_u32_e32 v42, vcc, v42, v34, vcc
	global_load_ushort v41, v[41:42], off
	s_waitcnt vmcnt(0)
	v_cvt_f32_f16_e32 v44, v41
.LBB82_99:                              ;   in Loop: Header=BB82_86 Depth=1
	s_or_b64 exec, exec, s[0:1]
	v_add_co_u32_e32 v41, vcc, 0xffffff05, v37
	v_addc_co_u32_e32 v42, vcc, -1, v38, vcc
	v_cmp_gt_i64_e32 vcc, s[12:13], v[41:42]
	s_and_saveexec_b64 s[0:1], vcc
	s_cbranch_execz .LBB82_101
; %bb.100:                              ;   in Loop: Header=BB82_86 Depth=1
	buffer_load_dword v7, off, s[36:39], 0 offset:300 ; 4-byte Folded Reload
	s_waitcnt vmcnt(0)
	v_add_co_u32_e32 v41, vcc, v7, v33
	buffer_load_dword v7, off, s[36:39], 0 offset:304 ; 4-byte Folded Reload
	s_waitcnt vmcnt(0)
	v_addc_co_u32_e32 v42, vcc, v7, v34, vcc
	global_load_ushort v7, v[41:42], off
	s_waitcnt vmcnt(0)
	v_cvt_f32_f16_e32 v7, v7
	buffer_load_dword v41, off, s[36:39], 0 offset:308 ; 4-byte Folded Reload
	buffer_load_dword v42, off, s[36:39], 0 offset:312 ; 4-byte Folded Reload
	s_waitcnt vmcnt(1)
	v_add_co_u32_e32 v41, vcc, v41, v33
	s_waitcnt vmcnt(0)
	v_addc_co_u32_e32 v42, vcc, v42, v34, vcc
	global_load_ushort v41, v[41:42], off
	s_waitcnt vmcnt(0)
	v_cvt_f32_f16_e32 v41, v41
	buffer_store_dword v41, off, s[36:39], 0 offset:376 ; 4-byte Folded Spill
.LBB82_101:                             ;   in Loop: Header=BB82_86 Depth=1
	s_or_b64 exec, exec, s[0:1]
	v_add_co_u32_e32 v41, vcc, 0xffffff06, v37
	v_addc_co_u32_e32 v42, vcc, -1, v38, vcc
	v_cmp_gt_i64_e32 vcc, s[12:13], v[41:42]
	v_mov_b32_e32 v41, 0
	buffer_store_dword v41, off, s[36:39], 0 offset:380 ; 4-byte Folded Spill
	v_mov_b32_e32 v41, 0
	buffer_store_dword v41, off, s[36:39], 0 offset:396 ; 4-byte Folded Spill
	s_and_saveexec_b64 s[0:1], vcc
	s_cbranch_execz .LBB82_103
; %bb.102:                              ;   in Loop: Header=BB82_86 Depth=1
	buffer_load_dword v8, off, s[36:39], 0 offset:284 ; 4-byte Folded Reload
	s_waitcnt vmcnt(0)
	v_add_co_u32_e32 v41, vcc, v8, v33
	buffer_load_dword v8, off, s[36:39], 0 offset:288 ; 4-byte Folded Reload
	s_waitcnt vmcnt(0)
	v_addc_co_u32_e32 v42, vcc, v8, v34, vcc
	global_load_ushort v8, v[41:42], off
	s_waitcnt vmcnt(0)
	v_cvt_f32_f16_e32 v8, v8
	buffer_load_dword v41, off, s[36:39], 0 offset:292 ; 4-byte Folded Reload
	buffer_load_dword v42, off, s[36:39], 0 offset:296 ; 4-byte Folded Reload
	s_waitcnt vmcnt(1)
	v_add_co_u32_e32 v41, vcc, v41, v33
	s_waitcnt vmcnt(0)
	v_addc_co_u32_e32 v42, vcc, v42, v34, vcc
	global_load_ushort v41, v[41:42], off
	s_waitcnt vmcnt(0)
	v_cvt_f32_f16_e32 v41, v41
	buffer_store_dword v41, off, s[36:39], 0 offset:396 ; 4-byte Folded Spill
.LBB82_103:                             ;   in Loop: Header=BB82_86 Depth=1
	s_or_b64 exec, exec, s[0:1]
	v_add_co_u32_e32 v41, vcc, 0xffffff07, v37
	v_addc_co_u32_e32 v42, vcc, -1, v38, vcc
	v_cmp_gt_i64_e32 vcc, s[12:13], v[41:42]
	s_and_saveexec_b64 s[0:1], vcc
	s_cbranch_execz .LBB82_105
; %bb.104:                              ;   in Loop: Header=BB82_86 Depth=1
	buffer_load_dword v9, off, s[36:39], 0 offset:268 ; 4-byte Folded Reload
	s_waitcnt vmcnt(0)
	v_add_co_u32_e32 v41, vcc, v9, v33
	buffer_load_dword v9, off, s[36:39], 0 offset:272 ; 4-byte Folded Reload
	s_waitcnt vmcnt(0)
	v_addc_co_u32_e32 v42, vcc, v9, v34, vcc
	global_load_ushort v9, v[41:42], off
	s_waitcnt vmcnt(0)
	v_cvt_f32_f16_e32 v9, v9
	buffer_load_dword v41, off, s[36:39], 0 offset:276 ; 4-byte Folded Reload
	buffer_load_dword v42, off, s[36:39], 0 offset:280 ; 4-byte Folded Reload
	s_waitcnt vmcnt(1)
	v_add_co_u32_e32 v41, vcc, v41, v33
	s_waitcnt vmcnt(0)
	v_addc_co_u32_e32 v42, vcc, v42, v34, vcc
	global_load_ushort v41, v[41:42], off
	s_waitcnt vmcnt(0)
	v_cvt_f32_f16_e32 v41, v41
	buffer_store_dword v41, off, s[36:39], 0 offset:380 ; 4-byte Folded Spill
.LBB82_105:                             ;   in Loop: Header=BB82_86 Depth=1
	s_or_b64 exec, exec, s[0:1]
	v_add_co_u32_e32 v41, vcc, 0xffffff08, v37
	v_addc_co_u32_e32 v42, vcc, -1, v38, vcc
	v_cmp_gt_i64_e32 vcc, s[12:13], v[41:42]
	v_mov_b32_e32 v41, 0
	buffer_store_dword v41, off, s[36:39], 0 offset:388 ; 4-byte Folded Spill
	v_mov_b32_e32 v41, 0
	buffer_store_dword v41, off, s[36:39], 0 offset:404 ; 4-byte Folded Spill
	s_and_saveexec_b64 s[0:1], vcc
	s_cbranch_execz .LBB82_107
; %bb.106:                              ;   in Loop: Header=BB82_86 Depth=1
	buffer_load_dword v10, off, s[36:39], 0 offset:252 ; 4-byte Folded Reload
	s_waitcnt vmcnt(0)
	v_add_co_u32_e32 v41, vcc, v10, v33
	buffer_load_dword v10, off, s[36:39], 0 offset:256 ; 4-byte Folded Reload
	s_waitcnt vmcnt(0)
	v_addc_co_u32_e32 v42, vcc, v10, v34, vcc
	global_load_ushort v10, v[41:42], off
	s_waitcnt vmcnt(0)
	v_cvt_f32_f16_e32 v10, v10
	buffer_load_dword v41, off, s[36:39], 0 offset:260 ; 4-byte Folded Reload
	buffer_load_dword v42, off, s[36:39], 0 offset:264 ; 4-byte Folded Reload
	s_waitcnt vmcnt(1)
	v_add_co_u32_e32 v41, vcc, v41, v33
	s_waitcnt vmcnt(0)
	v_addc_co_u32_e32 v42, vcc, v42, v34, vcc
	global_load_ushort v41, v[41:42], off
	s_waitcnt vmcnt(0)
	v_cvt_f32_f16_e32 v41, v41
	buffer_store_dword v41, off, s[36:39], 0 offset:404 ; 4-byte Folded Spill
.LBB82_107:                             ;   in Loop: Header=BB82_86 Depth=1
	;; [unrolled: 58-line block ×5, first 2 shown]
	s_or_b64 exec, exec, s[0:1]
	v_add_co_u32_e32 v41, vcc, 0xffffff0f, v37
	v_addc_co_u32_e32 v42, vcc, -1, v38, vcc
	v_cmp_gt_i64_e32 vcc, s[12:13], v[41:42]
	s_and_saveexec_b64 s[0:1], vcc
	s_cbranch_execz .LBB82_121
; %bb.120:                              ;   in Loop: Header=BB82_86 Depth=1
	buffer_load_dword v17, off, s[36:39], 0 offset:136 ; 4-byte Folded Reload
	s_waitcnt vmcnt(0)
	v_add_co_u32_e32 v41, vcc, v17, v33
	buffer_load_dword v17, off, s[36:39], 0 offset:140 ; 4-byte Folded Reload
	s_waitcnt vmcnt(0)
	v_addc_co_u32_e32 v42, vcc, v17, v34, vcc
	global_load_ushort v17, v[41:42], off
	s_waitcnt vmcnt(0)
	v_cvt_f32_f16_e32 v17, v17
	buffer_load_dword v41, off, s[36:39], 0 offset:144 ; 4-byte Folded Reload
	buffer_load_dword v42, off, s[36:39], 0 offset:148 ; 4-byte Folded Reload
	s_waitcnt vmcnt(1)
	v_add_co_u32_e32 v41, vcc, v41, v33
	s_waitcnt vmcnt(0)
	v_addc_co_u32_e32 v42, vcc, v42, v34, vcc
	global_load_ushort v41, v[41:42], off
	s_waitcnt vmcnt(0)
	v_cvt_f32_f16_e32 v41, v41
	buffer_store_dword v41, off, s[36:39], 0 offset:408 ; 4-byte Folded Spill
.LBB82_121:                             ;   in Loop: Header=BB82_86 Depth=1
	s_or_b64 exec, exec, s[0:1]
	v_add_co_u32_e32 v41, vcc, 0xffffff10, v37
	v_addc_co_u32_e32 v42, vcc, -1, v38, vcc
	v_cmp_gt_i64_e32 vcc, s[12:13], v[41:42]
	v_mov_b32_e32 v41, 0
	s_and_saveexec_b64 s[0:1], vcc
	s_cbranch_execz .LBB82_123
; %bb.122:                              ;   in Loop: Header=BB82_86 Depth=1
	buffer_load_dword v18, off, s[36:39], 0 offset:120 ; 4-byte Folded Reload
	s_waitcnt vmcnt(0)
	v_add_co_u32_e32 v41, vcc, v18, v33
	buffer_load_dword v18, off, s[36:39], 0 offset:124 ; 4-byte Folded Reload
	s_waitcnt vmcnt(0)
	v_addc_co_u32_e32 v42, vcc, v18, v34, vcc
	global_load_ushort v18, v[41:42], off
	s_waitcnt vmcnt(0)
	v_cvt_f32_f16_e32 v18, v18
	buffer_load_dword v41, off, s[36:39], 0 offset:128 ; 4-byte Folded Reload
	buffer_load_dword v42, off, s[36:39], 0 offset:132 ; 4-byte Folded Reload
	s_waitcnt vmcnt(1)
	v_add_co_u32_e32 v41, vcc, v41, v33
	s_waitcnt vmcnt(0)
	v_addc_co_u32_e32 v42, vcc, v42, v34, vcc
	global_load_ushort v41, v[41:42], off
	s_waitcnt vmcnt(0)
	v_cvt_f32_f16_e32 v41, v41
.LBB82_123:                             ;   in Loop: Header=BB82_86 Depth=1
	s_or_b64 exec, exec, s[0:1]
	s_waitcnt vmcnt(14)
	ds_bpermute_b32 v42, v35, v39
	buffer_store_dword v41, off, s[36:39], 0 offset:428 ; 4-byte Folded Spill
	s_waitcnt vmcnt(14)
	ds_bpermute_b32 v41, v35, v40
	s_mov_b64 s[0:1], 0
	buffer_load_dword v43, off, s[36:39], 0 offset:384 ; 4-byte Folded Reload
	s_waitcnt lgkmcnt(1)
	v_sub_f32_e32 v36, v36, v42
	v_mul_f32_e32 v36, v3, v36
	s_waitcnt lgkmcnt(0)
	v_fma_f32 v36, v36, v41, v63
	buffer_load_dword v41, off, s[36:39], 0 offset:368 ; 4-byte Folded Reload
	ds_bpermute_b32 v42, v35, v39 offset:4
	s_waitcnt vmcnt(1) lgkmcnt(0)
	v_sub_f32_e32 v42, v43, v42
	v_mul_f32_e32 v42, v4, v42
	s_waitcnt vmcnt(0)
	v_add_f32_e32 v3, v41, v3
	ds_bpermute_b32 v41, v35, v40 offset:4
	v_add_f32_e32 v3, v4, v3
	v_add_f32_e32 v3, v5, v3
	;; [unrolled: 1-line block ×3, first 2 shown]
	ds_bpermute_b32 v4, v35, v40 offset:8
	s_waitcnt lgkmcnt(1)
	v_fmac_f32_e32 v36, v42, v41
	buffer_load_dword v42, off, s[36:39], 0 offset:372 ; 4-byte Folded Reload
	ds_bpermute_b32 v41, v35, v39 offset:8
	v_add_f32_e32 v3, v7, v3
	v_add_f32_e32 v3, v8, v3
	;; [unrolled: 1-line block ×11, first 2 shown]
	s_waitcnt vmcnt(0) lgkmcnt(0)
	v_sub_f32_e32 v41, v42, v41
	v_mul_f32_e32 v41, v5, v41
	ds_bpermute_b32 v5, v35, v39 offset:12
	v_fmac_f32_e32 v36, v41, v4
	ds_bpermute_b32 v4, v35, v40 offset:12
	s_waitcnt lgkmcnt(1)
	v_sub_f32_e32 v5, v44, v5
	v_mul_f32_e32 v5, v6, v5
	buffer_load_dword v6, off, s[36:39], 0 offset:376 ; 4-byte Folded Reload
	s_waitcnt lgkmcnt(0)
	v_fmac_f32_e32 v36, v5, v4
	ds_bpermute_b32 v5, v35, v39 offset:16
	ds_bpermute_b32 v4, v35, v40 offset:16
	s_waitcnt vmcnt(0) lgkmcnt(1)
	v_sub_f32_e32 v5, v6, v5
	buffer_load_dword v6, off, s[36:39], 0 offset:396 ; 4-byte Folded Reload
	v_mul_f32_e32 v5, v7, v5
	s_waitcnt lgkmcnt(0)
	v_fmac_f32_e32 v36, v5, v4
	ds_bpermute_b32 v5, v35, v39 offset:20
	ds_bpermute_b32 v4, v35, v40 offset:20
	s_waitcnt vmcnt(0) lgkmcnt(1)
	v_sub_f32_e32 v5, v6, v5
	buffer_load_dword v6, off, s[36:39], 0 offset:380 ; 4-byte Folded Reload
	v_mul_f32_e32 v5, v8, v5
	;; [unrolled: 8-line block ×10, first 2 shown]
	s_waitcnt lgkmcnt(0)
	v_fmac_f32_e32 v36, v5, v4
	ds_bpermute_b32 v5, v35, v39 offset:56
	ds_bpermute_b32 v4, v35, v40 offset:56
	s_waitcnt vmcnt(0) lgkmcnt(1)
	v_sub_f32_e32 v5, v6, v5
	v_mul_f32_e32 v5, v17, v5
	s_waitcnt lgkmcnt(0)
	v_fmac_f32_e32 v36, v5, v4
	ds_bpermute_b32 v4, v35, v40 offset:60
	buffer_load_dword v40, off, s[36:39], 0 offset:368 ; 4-byte Folded Reload
	buffer_load_dword v6, off, s[36:39], 0 offset:428 ; 4-byte Folded Reload
	ds_bpermute_b32 v5, v35, v39 offset:60
	s_waitcnt vmcnt(0) lgkmcnt(0)
	v_sub_f32_e32 v5, v6, v5
	v_mul_f32_e32 v5, v18, v5
	v_fmac_f32_e32 v36, v5, v4
	v_add_f32_e32 v5, v18, v3
.LBB82_124:                             ;   in Loop: Header=BB82_86 Depth=1
	s_and_b64 vcc, exec, s[0:1]
	s_cbranch_vccz .LBB82_130
; %bb.125:                              ;   in Loop: Header=BB82_86 Depth=1
	s_load_dword s0, s[2:3], 0x0
	v_mov_b32_e32 v5, 0
	s_waitcnt lgkmcnt(0)
	s_cmp_lt_u32 s6, s0
	s_cselect_b32 s0, 12, 18
	s_add_u32 s0, s2, s0
	s_addc_u32 s1, s3, 0
	global_load_ushort v3, v2, s[0:1]
	buffer_load_dword v4, off, s[36:39], 0 offset:364 ; 4-byte Folded Reload
	buffer_load_dword v6, off, s[36:39], 0 offset:216 ; 4-byte Folded Reload
	s_waitcnt vmcnt(0)
	v_mad_u32_u24 v3, v6, v3, v4
	v_and_b32_e32 v3, 63, v3
	v_cmp_gt_u32_e32 vcc, 16, v3
	v_mov_b32_e32 v6, 0
	s_and_saveexec_b64 s[0:1], vcc
	s_cbranch_execz .LBB82_129
; %bb.126:                              ;   in Loop: Header=BB82_86 Depth=1
	v_add_co_u32_e32 v3, vcc, v37, v3
	v_addc_co_u32_e32 v4, vcc, 0, v38, vcc
	v_add_co_u32_e32 v3, vcc, 0xffffff01, v3
	v_addc_co_u32_e32 v4, vcc, -1, v4, vcc
	v_cmp_gt_i64_e32 vcc, s[12:13], v[3:4]
	v_mov_b32_e32 v6, 0
	v_mov_b32_e32 v5, 0
	s_and_saveexec_b64 s[16:17], vcc
	s_cbranch_execz .LBB82_128
; %bb.127:                              ;   in Loop: Header=BB82_86 Depth=1
	v_lshlrev_b64 v[3:4], 2, v[3:4]
	v_mov_b32_e32 v5, s23
	v_add_co_u32_e32 v7, vcc, s22, v3
	v_addc_co_u32_e32 v8, vcc, v5, v4, vcc
	v_mov_b32_e32 v5, s21
	v_add_co_u32_e32 v3, vcc, s20, v3
	v_addc_co_u32_e32 v4, vcc, v5, v4, vcc
	global_load_dword v6, v[3:4], off
	global_load_dword v5, v[7:8], off
.LBB82_128:                             ;   in Loop: Header=BB82_86 Depth=1
	s_or_b64 exec, exec, s[16:17]
.LBB82_129:                             ;   in Loop: Header=BB82_86 Depth=1
	s_or_b64 exec, exec, s[0:1]
	buffer_load_dword v3, off, s[36:39], 0 offset:8 ; 4-byte Folded Reload
	buffer_load_dword v4, off, s[36:39], 0 offset:12 ; 4-byte Folded Reload
	s_waitcnt vmcnt(1)
	v_add_co_u32_e32 v3, vcc, v3, v33
	s_waitcnt vmcnt(0)
	v_addc_co_u32_e32 v4, vcc, v4, v34, vcc
	global_load_ushort v7, v[3:4], off
	s_nop 0
	buffer_load_dword v3, off, s[36:39], 0  ; 4-byte Folded Reload
	buffer_load_dword v4, off, s[36:39], 0 offset:4 ; 4-byte Folded Reload
	s_waitcnt vmcnt(1)
	v_add_co_u32_e32 v3, vcc, v3, v33
	s_waitcnt vmcnt(0)
	v_addc_co_u32_e32 v4, vcc, v4, v34, vcc
	global_load_ushort v3, v[3:4], off
	v_cvt_f32_f16_e32 v4, v7
	ds_bpermute_b32 v7, v35, v6
	s_waitcnt lgkmcnt(0)
	v_sub_f32_e32 v4, v4, v7
	ds_bpermute_b32 v7, v35, v5
	s_waitcnt vmcnt(0)
	v_cvt_f32_f16_e32 v3, v3
	v_mul_f32_e32 v4, v4, v3
	s_waitcnt lgkmcnt(0)
	v_fmac_f32_e32 v63, v4, v7
	buffer_load_dword v7, off, s[36:39], 0 offset:24 ; 4-byte Folded Reload
	buffer_load_dword v8, off, s[36:39], 0 offset:28 ; 4-byte Folded Reload
	v_add_f32_e32 v3, v40, v3
	s_waitcnt vmcnt(1)
	v_add_co_u32_e32 v7, vcc, v7, v33
	s_waitcnt vmcnt(0)
	v_addc_co_u32_e32 v8, vcc, v8, v34, vcc
	global_load_ushort v4, v[7:8], off
	s_nop 0
	buffer_load_dword v7, off, s[36:39], 0 offset:16 ; 4-byte Folded Reload
	buffer_load_dword v8, off, s[36:39], 0 offset:20 ; 4-byte Folded Reload
	s_waitcnt vmcnt(1)
	v_add_co_u32_e32 v7, vcc, v7, v33
	s_waitcnt vmcnt(0)
	v_addc_co_u32_e32 v8, vcc, v8, v34, vcc
	global_load_ushort v7, v[7:8], off
	ds_bpermute_b32 v8, v35, v6 offset:4
	v_cvt_f32_f16_e32 v4, v4
	s_waitcnt lgkmcnt(0)
	v_sub_f32_e32 v8, v4, v8
	s_waitcnt vmcnt(0)
	v_cvt_f32_f16_e32 v4, v7
	v_mul_f32_e32 v7, v8, v4
	ds_bpermute_b32 v8, v35, v5 offset:4
	v_add_f32_e32 v3, v3, v4
	s_waitcnt lgkmcnt(0)
	v_fmac_f32_e32 v63, v7, v8
	buffer_load_dword v7, off, s[36:39], 0 offset:40 ; 4-byte Folded Reload
	buffer_load_dword v8, off, s[36:39], 0 offset:44 ; 4-byte Folded Reload
	s_waitcnt vmcnt(1)
	v_add_co_u32_e32 v7, vcc, v7, v33
	s_waitcnt vmcnt(0)
	v_addc_co_u32_e32 v8, vcc, v8, v34, vcc
	global_load_ushort v9, v[7:8], off
	s_nop 0
	buffer_load_dword v7, off, s[36:39], 0 offset:32 ; 4-byte Folded Reload
	buffer_load_dword v8, off, s[36:39], 0 offset:36 ; 4-byte Folded Reload
	s_waitcnt vmcnt(1)
	v_add_co_u32_e32 v7, vcc, v7, v33
	s_waitcnt vmcnt(0)
	v_addc_co_u32_e32 v8, vcc, v8, v34, vcc
	global_load_ushort v7, v[7:8], off
	v_cvt_f32_f16_e32 v8, v9
	ds_bpermute_b32 v9, v35, v6 offset:8
	s_waitcnt lgkmcnt(0)
	v_sub_f32_e32 v8, v8, v9
	ds_bpermute_b32 v9, v35, v5 offset:8
	s_waitcnt vmcnt(0)
	v_cvt_f32_f16_e32 v7, v7
	v_mul_f32_e32 v8, v8, v7
	s_waitcnt lgkmcnt(0)
	v_fmac_f32_e32 v63, v8, v9
	buffer_load_dword v8, off, s[36:39], 0 offset:56 ; 4-byte Folded Reload
	buffer_load_dword v9, off, s[36:39], 0 offset:60 ; 4-byte Folded Reload
	v_add_f32_e32 v3, v3, v7
	s_waitcnt vmcnt(1)
	v_add_co_u32_e32 v8, vcc, v8, v33
	s_waitcnt vmcnt(0)
	v_addc_co_u32_e32 v9, vcc, v9, v34, vcc
	global_load_ushort v10, v[8:9], off
	s_nop 0
	buffer_load_dword v8, off, s[36:39], 0 offset:48 ; 4-byte Folded Reload
	buffer_load_dword v9, off, s[36:39], 0 offset:52 ; 4-byte Folded Reload
	s_waitcnt vmcnt(1)
	v_add_co_u32_e32 v8, vcc, v8, v33
	s_waitcnt vmcnt(0)
	v_addc_co_u32_e32 v9, vcc, v9, v34, vcc
	global_load_ushort v8, v[8:9], off
	v_cvt_f32_f16_e32 v9, v10
	ds_bpermute_b32 v10, v35, v6 offset:12
	s_waitcnt lgkmcnt(0)
	v_sub_f32_e32 v9, v9, v10
	ds_bpermute_b32 v10, v35, v5 offset:12
	s_waitcnt vmcnt(0)
	v_cvt_f32_f16_e32 v8, v8
	v_mul_f32_e32 v9, v9, v8
	s_waitcnt lgkmcnt(0)
	v_fmac_f32_e32 v63, v9, v10
	buffer_load_dword v9, off, s[36:39], 0 offset:72 ; 4-byte Folded Reload
	buffer_load_dword v10, off, s[36:39], 0 offset:76 ; 4-byte Folded Reload
	v_add_f32_e32 v3, v3, v8
	;; [unrolled: 26-line block ×4, first 2 shown]
	s_waitcnt vmcnt(1)
	v_add_co_u32_e32 v11, vcc, v11, v33
	s_waitcnt vmcnt(0)
	v_addc_co_u32_e32 v12, vcc, v12, v34, vcc
	global_load_ushort v13, v[11:12], off
	s_nop 0
	buffer_load_dword v11, off, s[36:39], 0 offset:96 ; 4-byte Folded Reload
	buffer_load_dword v12, off, s[36:39], 0 offset:100 ; 4-byte Folded Reload
	s_waitcnt vmcnt(1)
	v_add_co_u32_e32 v11, vcc, v11, v33
	s_waitcnt vmcnt(0)
	v_addc_co_u32_e32 v12, vcc, v12, v34, vcc
	global_load_ushort v11, v[11:12], off
	v_cvt_f32_f16_e32 v12, v13
	ds_bpermute_b32 v13, v35, v6 offset:24
	s_waitcnt lgkmcnt(0)
	v_sub_f32_e32 v12, v12, v13
	ds_bpermute_b32 v13, v35, v5 offset:24
	s_waitcnt vmcnt(0)
	v_cvt_f32_f16_e32 v11, v11
	v_mul_f32_e32 v12, v12, v11
	s_waitcnt lgkmcnt(0)
	v_fmac_f32_e32 v63, v12, v13
	v_add_co_u32_e32 v12, vcc, v45, v33
	v_addc_co_u32_e32 v13, vcc, v46, v34, vcc
	global_load_ushort v14, v[12:13], off
	s_nop 0
	buffer_load_dword v12, off, s[36:39], 0 offset:112 ; 4-byte Folded Reload
	buffer_load_dword v13, off, s[36:39], 0 offset:116 ; 4-byte Folded Reload
	v_add_f32_e32 v3, v3, v11
	s_waitcnt vmcnt(1)
	v_add_co_u32_e32 v12, vcc, v12, v33
	s_waitcnt vmcnt(0)
	v_addc_co_u32_e32 v13, vcc, v13, v34, vcc
	global_load_ushort v12, v[12:13], off
	v_cvt_f32_f16_e32 v13, v14
	ds_bpermute_b32 v14, v35, v6 offset:28
	s_waitcnt lgkmcnt(0)
	v_sub_f32_e32 v13, v13, v14
	ds_bpermute_b32 v14, v35, v5 offset:28
	s_waitcnt vmcnt(0)
	v_cvt_f32_f16_e32 v12, v12
	v_mul_f32_e32 v13, v13, v12
	s_waitcnt lgkmcnt(0)
	v_fmac_f32_e32 v63, v13, v14
	v_add_co_u32_e32 v13, vcc, v49, v33
	v_addc_co_u32_e32 v14, vcc, v50, v34, vcc
	global_load_ushort v15, v[13:14], off
	v_add_co_u32_e32 v13, vcc, v47, v33
	v_addc_co_u32_e32 v14, vcc, v48, v34, vcc
	global_load_ushort v13, v[13:14], off
	v_add_f32_e32 v3, v3, v12
	s_waitcnt vmcnt(1)
	v_cvt_f32_f16_e32 v14, v15
	ds_bpermute_b32 v15, v35, v6 offset:32
	s_waitcnt lgkmcnt(0)
	v_sub_f32_e32 v14, v14, v15
	s_waitcnt vmcnt(0)
	v_cvt_f32_f16_e32 v15, v13
	v_mul_f32_e32 v13, v14, v15
	ds_bpermute_b32 v14, v35, v5 offset:32
	v_add_f32_e32 v3, v3, v15
	s_waitcnt lgkmcnt(0)
	v_fmac_f32_e32 v63, v13, v14
	v_add_co_u32_e32 v13, vcc, v53, v33
	v_addc_co_u32_e32 v14, vcc, v54, v34, vcc
	global_load_ushort v16, v[13:14], off
	v_add_co_u32_e32 v13, vcc, v51, v33
	v_addc_co_u32_e32 v14, vcc, v52, v34, vcc
	global_load_ushort v13, v[13:14], off
	s_waitcnt vmcnt(1)
	v_cvt_f32_f16_e32 v14, v16
	ds_bpermute_b32 v16, v35, v6 offset:36
	s_waitcnt lgkmcnt(0)
	v_sub_f32_e32 v14, v14, v16
	s_waitcnt vmcnt(0)
	v_cvt_f32_f16_e32 v16, v13
	v_mul_f32_e32 v13, v14, v16
	ds_bpermute_b32 v14, v35, v5 offset:36
	v_add_f32_e32 v3, v3, v16
	s_waitcnt lgkmcnt(0)
	v_fmac_f32_e32 v63, v13, v14
	v_add_co_u32_e32 v13, vcc, v57, v33
	v_addc_co_u32_e32 v14, vcc, v58, v34, vcc
	global_load_ushort v17, v[13:14], off
	v_add_co_u32_e32 v13, vcc, v55, v33
	v_addc_co_u32_e32 v14, vcc, v56, v34, vcc
	global_load_ushort v13, v[13:14], off
	;; [unrolled: 18-line block ×6, first 2 shown]
	s_waitcnt vmcnt(1)
	v_cvt_f32_f16_e32 v14, v38
	ds_bpermute_b32 v38, v35, v6 offset:56
	ds_bpermute_b32 v6, v35, v6 offset:60
	s_waitcnt lgkmcnt(1)
	v_sub_f32_e32 v14, v14, v38
	s_waitcnt vmcnt(0)
	v_cvt_f32_f16_e32 v38, v13
	v_mul_f32_e32 v13, v14, v38
	ds_bpermute_b32 v14, v35, v5 offset:56
	ds_bpermute_b32 v5, v35, v5 offset:60
	v_add_f32_e32 v3, v3, v38
	s_waitcnt lgkmcnt(1)
	v_fmac_f32_e32 v63, v13, v14
	v_add_co_u32_e32 v13, vcc, v31, v33
	v_addc_co_u32_e32 v14, vcc, v32, v34, vcc
	global_load_ushort v39, v[13:14], off
	v_add_co_u32_e32 v13, vcc, v29, v33
	v_addc_co_u32_e32 v14, vcc, v30, v34, vcc
	global_load_ushort v13, v[13:14], off
	s_waitcnt vmcnt(1)
	v_cvt_f32_f16_e32 v14, v39
	v_sub_f32_e32 v6, v14, v6
	s_waitcnt vmcnt(0)
	v_cvt_f32_f16_e32 v13, v13
	v_mul_f32_e32 v6, v6, v13
	s_waitcnt lgkmcnt(0)
	v_fmac_f32_e32 v63, v6, v5
	v_add_f32_e32 v5, v3, v13
	v_mov_b32_e32 v36, v63
.LBB82_130:                             ;   in Loop: Header=BB82_86 Depth=1
	buffer_load_dword v3, off, s[36:39], 0  ; 4-byte Folded Reload
	buffer_load_dword v4, off, s[36:39], 0 offset:4 ; 4-byte Folded Reload
	s_add_u32 s10, s10, s7
	s_addc_u32 s11, s11, 0
	s_add_u32 s24, s24, s7
	s_addc_u32 s25, s25, 0
	s_waitcnt vmcnt(1)
	v_add_co_u32_e32 v3, vcc, s8, v3
	buffer_store_dword v3, off, s[36:39], 0 ; 4-byte Folded Spill
	v_mov_b32_e32 v3, s9
	s_waitcnt vmcnt(1)
	v_addc_co_u32_e32 v4, vcc, v4, v3, vcc
	buffer_store_dword v4, off, s[36:39], 0 offset:4 ; 4-byte Folded Spill
	buffer_load_dword v4, off, s[36:39], 0 offset:8 ; 4-byte Folded Reload
	s_waitcnt vmcnt(0)
	v_add_co_u32_e32 v4, vcc, s8, v4
	buffer_store_dword v4, off, s[36:39], 0 offset:8 ; 4-byte Folded Spill
	buffer_load_dword v4, off, s[36:39], 0 offset:12 ; 4-byte Folded Reload
	s_waitcnt vmcnt(0)
	v_addc_co_u32_e32 v4, vcc, v4, v3, vcc
	buffer_store_dword v4, off, s[36:39], 0 offset:12 ; 4-byte Folded Spill
	buffer_load_dword v6, off, s[36:39], 0 offset:16 ; 4-byte Folded Reload
	buffer_load_dword v7, off, s[36:39], 0 offset:20 ; 4-byte Folded Reload
	s_waitcnt vmcnt(1)
	v_add_co_u32_e32 v6, vcc, s8, v6
	s_waitcnt vmcnt(0)
	v_addc_co_u32_e32 v7, vcc, v7, v3, vcc
	buffer_store_dword v6, off, s[36:39], 0 offset:16 ; 4-byte Folded Spill
	s_nop 0
	buffer_store_dword v7, off, s[36:39], 0 offset:20 ; 4-byte Folded Spill
	buffer_load_dword v6, off, s[36:39], 0 offset:32 ; 4-byte Folded Reload
	s_nop 0
	buffer_load_dword v7, off, s[36:39], 0 offset:36 ; 4-byte Folded Reload
	s_waitcnt vmcnt(1)
	v_add_co_u32_e32 v6, vcc, s8, v6
	s_waitcnt vmcnt(0)
	v_addc_co_u32_e32 v7, vcc, v7, v3, vcc
	buffer_store_dword v6, off, s[36:39], 0 offset:32 ; 4-byte Folded Spill
	s_nop 0
	buffer_store_dword v7, off, s[36:39], 0 offset:36 ; 4-byte Folded Spill
	buffer_load_dword v6, off, s[36:39], 0 offset:48 ; 4-byte Folded Reload
	s_nop 0
	;; [unrolled: 10-line block ×7, first 2 shown]
	buffer_load_dword v7, off, s[36:39], 0 offset:28 ; 4-byte Folded Reload
	v_add_co_u32_e32 v47, vcc, s8, v47
	v_addc_co_u32_e32 v48, vcc, v48, v3, vcc
	v_add_co_u32_e32 v51, vcc, s8, v51
	v_addc_co_u32_e32 v52, vcc, v52, v3, vcc
	;; [unrolled: 2-line block ×8, first 2 shown]
	s_waitcnt vmcnt(1)
	v_add_co_u32_e32 v6, vcc, s8, v6
	s_waitcnt vmcnt(0)
	v_addc_co_u32_e32 v7, vcc, v7, v3, vcc
	buffer_store_dword v6, off, s[36:39], 0 offset:24 ; 4-byte Folded Spill
	s_nop 0
	buffer_store_dword v7, off, s[36:39], 0 offset:28 ; 4-byte Folded Spill
	buffer_load_dword v6, off, s[36:39], 0 offset:40 ; 4-byte Folded Reload
	s_nop 0
	buffer_load_dword v7, off, s[36:39], 0 offset:44 ; 4-byte Folded Reload
	s_waitcnt vmcnt(1)
	v_add_co_u32_e32 v6, vcc, s8, v6
	s_waitcnt vmcnt(0)
	v_addc_co_u32_e32 v7, vcc, v7, v3, vcc
	buffer_store_dword v6, off, s[36:39], 0 offset:40 ; 4-byte Folded Spill
	s_nop 0
	buffer_store_dword v7, off, s[36:39], 0 offset:44 ; 4-byte Folded Spill
	buffer_load_dword v6, off, s[36:39], 0 offset:56 ; 4-byte Folded Reload
	s_nop 0
	buffer_load_dword v7, off, s[36:39], 0 offset:60 ; 4-byte Folded Reload
	;; [unrolled: 10-line block ×5, first 2 shown]
	s_waitcnt vmcnt(1)
	v_add_co_u32_e32 v6, vcc, s8, v6
	s_waitcnt vmcnt(0)
	v_addc_co_u32_e32 v7, vcc, v7, v3, vcc
	buffer_store_dword v6, off, s[36:39], 0 offset:104 ; 4-byte Folded Spill
	s_nop 0
	buffer_store_dword v7, off, s[36:39], 0 offset:108 ; 4-byte Folded Spill
	buffer_load_dword v4, off, s[36:39], 0 offset:120 ; 4-byte Folded Reload
	v_add_co_u32_e32 v45, vcc, s8, v45
	v_addc_co_u32_e32 v46, vcc, v46, v3, vcc
	v_add_co_u32_e32 v49, vcc, s8, v49
	v_addc_co_u32_e32 v50, vcc, v50, v3, vcc
	;; [unrolled: 2-line block ×9, first 2 shown]
	s_waitcnt vmcnt(0)
	v_add_co_u32_e32 v4, vcc, s8, v4
	buffer_store_dword v4, off, s[36:39], 0 offset:120 ; 4-byte Folded Spill
	buffer_load_dword v4, off, s[36:39], 0 offset:124 ; 4-byte Folded Reload
	s_waitcnt vmcnt(0)
	v_addc_co_u32_e32 v4, vcc, v4, v3, vcc
	buffer_store_dword v4, off, s[36:39], 0 offset:124 ; 4-byte Folded Spill
	buffer_load_dword v4, off, s[36:39], 0 offset:128 ; 4-byte Folded Reload
	s_waitcnt vmcnt(0)
	v_add_co_u32_e32 v4, vcc, s8, v4
	buffer_store_dword v4, off, s[36:39], 0 offset:128 ; 4-byte Folded Spill
	buffer_load_dword v4, off, s[36:39], 0 offset:132 ; 4-byte Folded Reload
	s_waitcnt vmcnt(0)
	v_addc_co_u32_e32 v4, vcc, v4, v3, vcc
	buffer_store_dword v4, off, s[36:39], 0 offset:132 ; 4-byte Folded Spill
	buffer_load_dword v4, off, s[36:39], 0 offset:136 ; 4-byte Folded Reload
	;; [unrolled: 8-line block ×29, first 2 shown]
	s_waitcnt vmcnt(0)
	v_add_co_u32_e32 v4, vcc, s8, v4
	buffer_store_dword v4, off, s[36:39], 0 offset:356 ; 4-byte Folded Spill
	buffer_load_dword v4, off, s[36:39], 0 offset:360 ; 4-byte Folded Reload
	s_waitcnt vmcnt(0)
	v_addc_co_u32_e32 v4, vcc, v4, v3, vcc
	buffer_store_dword v4, off, s[36:39], 0 offset:360 ; 4-byte Folded Spill
	v_mov_b32_e32 v3, s12
	v_mov_b32_e32 v4, s13
	v_cmp_ge_i64_e32 vcc, s[10:11], v[3:4]
	s_cbranch_vccnz .LBB82_132
; %bb.131:                              ;   in Loop: Header=BB82_86 Depth=1
	v_mov_b32_e32 v40, v5
	v_mov_b32_e32 v63, v36
	s_branch .LBB82_86
.LBB82_132:
	buffer_load_dword v15, off, s[36:39], 0 offset:364 ; 4-byte Folded Reload
.LBB82_133:
	buffer_load_dword v1, off, s[36:39], 0 offset:216 ; 4-byte Folded Reload
	s_movk_i32 s0, 0x41
	s_waitcnt vmcnt(0)
	v_mad_u32_u24 v0, v1, s0, v15
	v_lshl_add_u32 v0, v0, 2, 0
	ds_write_b32 v0, v36
	ds_write_b32 v0, v5 offset:4160
	v_lshrrev_b32_e32 v0, 6, v15
	v_add_u32_e32 v2, v0, v1
	v_cmp_gt_u32_e32 vcc, 64, v2
	s_waitcnt lgkmcnt(0)
	s_barrier
	s_and_saveexec_b64 s[0:1], vcc
	s_cbranch_execz .LBB82_165
; %bb.134:
	s_load_dwordx4 s[8:11], s[4:5], 0x30
	v_and_b32_e32 v0, 63, v15
	v_cmp_gt_u32_e64 s[0:1], 16, v0
	v_mul_u32_u24_e32 v3, 0x41, v0
                                        ; implicit-def: $vgpr0
                                        ; implicit-def: $vgpr1
	s_and_saveexec_b64 s[2:3], s[0:1]
	s_cbranch_execz .LBB82_136
; %bb.135:
	v_add_u32_e32 v0, v2, v3
	v_lshl_add_u32 v0, v0, 2, 0
	ds_read_b32 v1, v0
	ds_read_b32 v0, v0 offset:4160
.LBB82_136:
	s_or_b64 exec, exec, s[2:3]
	v_mbcnt_lo_u32_b32 v4, -1, 0
	v_mbcnt_hi_u32_b32 v7, -1, v4
	v_and_b32_e32 v4, 64, v7
	v_add_u32_e32 v8, 64, v4
	v_xor_b32_e32 v4, 8, v7
	v_cmp_lt_i32_e32 vcc, v4, v8
	v_cndmask_b32_e32 v4, v7, v4, vcc
	v_lshlrev_b32_e32 v4, 2, v4
	s_waitcnt lgkmcnt(0)
	ds_bpermute_b32 v5, v4, v1
	v_xor_b32_e32 v6, 4, v7
	v_cmp_lt_i32_e32 vcc, v6, v8
	ds_bpermute_b32 v9, v4, v0
	s_mov_b32 s7, 0
	s_waitcnt lgkmcnt(1)
	v_add_f32_e32 v1, v1, v5
	v_cndmask_b32_e32 v5, v7, v6, vcc
	v_lshlrev_b32_e32 v5, 2, v5
	ds_bpermute_b32 v6, v5, v1
	s_waitcnt lgkmcnt(1)
	v_add_f32_e32 v0, v0, v9
	ds_bpermute_b32 v9, v5, v0
	s_lshl_b64 s[4:5], s[6:7], 6
	s_cmp_lg_u64 s[8:9], 0
	s_waitcnt lgkmcnt(1)
	v_add_f32_e32 v1, v1, v6
	v_xor_b32_e32 v6, 2, v7
	v_cmp_lt_i32_e32 vcc, v6, v8
	v_cndmask_b32_e32 v6, v7, v6, vcc
	v_lshlrev_b32_e32 v6, 2, v6
	ds_bpermute_b32 v10, v6, v1
	s_waitcnt lgkmcnt(1)
	v_add_f32_e32 v0, v0, v9
	ds_bpermute_b32 v9, v6, v0
	v_cmp_eq_u32_e64 s[2:3], 0, v15
	s_cselect_b64 s[12:13], -1, 0
	s_waitcnt lgkmcnt(1)
	v_add_f32_e32 v1, v1, v10
	v_xor_b32_e32 v10, 1, v7
	v_cmp_lt_i32_e32 vcc, v10, v8
	v_cndmask_b32_e32 v7, v7, v10, vcc
	v_lshlrev_b32_e32 v7, 2, v7
	ds_bpermute_b32 v8, v7, v1
	s_waitcnt lgkmcnt(1)
	v_add_f32_e32 v9, v0, v9
	ds_bpermute_b32 v10, v7, v9
	v_or_b32_e32 v0, s4, v2
	s_cmp_lg_u64 s[10:11], 0
	s_waitcnt lgkmcnt(1)
	v_add_f32_e32 v8, v1, v8
	v_mov_b32_e32 v1, s5
	v_cmp_gt_i64_e32 vcc, s[14:15], v[0:1]
	s_cselect_b64 s[6:7], -1, 0
	s_waitcnt lgkmcnt(0)
	v_add_f32_e32 v9, v9, v10
	s_and_b64 s[18:19], s[2:3], vcc
	s_and_saveexec_b64 s[16:17], s[18:19]
	s_cbranch_execz .LBB82_141
; %bb.137:
	v_lshlrev_b64 v[0:1], 1, v[0:1]
	s_andn2_b64 vcc, exec, s[12:13]
	s_cbranch_vccnz .LBB82_139
; %bb.138:
	v_cvt_f16_f32_e32 v12, v8
	v_mov_b32_e32 v11, s9
	v_add_co_u32_e32 v10, vcc, s8, v0
	v_addc_co_u32_e32 v11, vcc, v11, v1, vcc
	global_store_short v[10:11], v12, off
.LBB82_139:
	s_andn2_b64 vcc, exec, s[6:7]
	s_cbranch_vccnz .LBB82_141
; %bb.140:
	v_cvt_f16_f32_e32 v11, v9
	v_mov_b32_e32 v10, s11
	v_add_co_u32_e32 v0, vcc, s10, v0
	v_addc_co_u32_e32 v1, vcc, v10, v1, vcc
	global_store_short v[0:1], v11, off
.LBB82_141:
	s_or_b64 exec, exec, s[16:17]
	v_cmp_gt_u32_e32 vcc, 48, v2
	s_and_b64 exec, exec, vcc
	s_cbranch_execz .LBB82_165
; %bb.142:
	s_and_saveexec_b64 s[16:17], s[0:1]
	s_cbranch_execz .LBB82_144
; %bb.143:
	v_add_u32_e32 v0, v2, v3
	v_lshl_add_u32 v0, v0, 2, 0
	ds_read_b32 v8, v0 offset:64
	ds_read_b32 v9, v0 offset:4224
.LBB82_144:
	s_or_b64 exec, exec, s[16:17]
	s_waitcnt lgkmcnt(1)
	ds_bpermute_b32 v0, v4, v8
	s_waitcnt lgkmcnt(1)
	ds_bpermute_b32 v1, v4, v9
	v_add_u32_e32 v10, 16, v2
	v_mov_b32_e32 v11, s5
	s_waitcnt lgkmcnt(1)
	v_add_f32_e32 v0, v8, v0
	s_waitcnt lgkmcnt(0)
	v_add_f32_e32 v1, v9, v1
	ds_bpermute_b32 v8, v5, v0
	ds_bpermute_b32 v9, v5, v1
	s_waitcnt lgkmcnt(1)
	v_add_f32_e32 v0, v0, v8
	s_waitcnt lgkmcnt(0)
	v_add_f32_e32 v1, v1, v9
	ds_bpermute_b32 v8, v6, v0
	ds_bpermute_b32 v9, v6, v1
	;; [unrolled: 6-line block ×3, first 2 shown]
	v_add_co_u32_e32 v0, vcc, s4, v10
	v_addc_co_u32_e32 v1, vcc, 0, v11, vcc
	v_cmp_gt_i64_e32 vcc, s[14:15], v[0:1]
	s_waitcnt lgkmcnt(1)
	v_add_f32_e32 v0, v8, v12
	s_waitcnt lgkmcnt(0)
	v_add_f32_e32 v1, v9, v13
	s_and_b64 s[18:19], s[2:3], vcc
	s_and_saveexec_b64 s[16:17], s[18:19]
	s_cbranch_execz .LBB82_149
; %bb.145:
	s_andn2_b64 vcc, exec, s[12:13]
	s_cbranch_vccnz .LBB82_147
; %bb.146:
	v_mov_b32_e32 v9, s5
	v_add_co_u32_e32 v8, vcc, s4, v2
	v_addc_co_u32_e32 v9, vcc, 0, v9, vcc
	v_lshlrev_b64 v[8:9], 1, v[8:9]
	v_cvt_f16_f32_e32 v11, v0
	v_mov_b32_e32 v10, s9
	v_add_co_u32_e32 v8, vcc, s8, v8
	v_addc_co_u32_e32 v9, vcc, v10, v9, vcc
	global_store_short v[8:9], v11, off offset:32
.LBB82_147:
	s_andn2_b64 vcc, exec, s[6:7]
	s_cbranch_vccnz .LBB82_149
; %bb.148:
	v_mov_b32_e32 v9, s5
	v_add_co_u32_e32 v8, vcc, s4, v2
	v_addc_co_u32_e32 v9, vcc, 0, v9, vcc
	v_lshlrev_b64 v[8:9], 1, v[8:9]
	v_cvt_f16_f32_e32 v11, v1
	v_mov_b32_e32 v10, s11
	v_add_co_u32_e32 v8, vcc, s10, v8
	v_addc_co_u32_e32 v9, vcc, v10, v9, vcc
	global_store_short v[8:9], v11, off offset:32
.LBB82_149:
	s_or_b64 exec, exec, s[16:17]
	v_cmp_gt_u32_e32 vcc, 32, v2
	s_and_b64 exec, exec, vcc
	s_cbranch_execz .LBB82_165
; %bb.150:
	s_and_saveexec_b64 s[16:17], s[0:1]
	s_cbranch_execz .LBB82_152
; %bb.151:
	v_add_u32_e32 v0, v2, v3
	v_lshl_add_u32 v1, v0, 2, 0
	ds_read_b32 v0, v1 offset:128
	ds_read_b32 v1, v1 offset:4288
.LBB82_152:
	s_or_b64 exec, exec, s[16:17]
	s_waitcnt lgkmcnt(1)
	ds_bpermute_b32 v8, v4, v0
	s_waitcnt lgkmcnt(1)
	ds_bpermute_b32 v9, v4, v1
	v_add_u32_e32 v10, 32, v2
	s_waitcnt lgkmcnt(1)
	v_add_f32_e32 v0, v0, v8
	s_waitcnt lgkmcnt(0)
	v_add_f32_e32 v1, v1, v9
	ds_bpermute_b32 v8, v5, v0
	ds_bpermute_b32 v9, v5, v1
	s_waitcnt lgkmcnt(1)
	v_add_f32_e32 v0, v0, v8
	s_waitcnt lgkmcnt(0)
	v_add_f32_e32 v1, v1, v9
	ds_bpermute_b32 v8, v6, v0
	ds_bpermute_b32 v9, v6, v1
	;; [unrolled: 6-line block ×3, first 2 shown]
	v_mov_b32_e32 v1, s5
	v_or_b32_e32 v0, s4, v10
	v_cmp_gt_i64_e32 vcc, s[14:15], v[0:1]
	s_waitcnt lgkmcnt(1)
	v_add_f32_e32 v0, v8, v11
	s_waitcnt lgkmcnt(0)
	v_add_f32_e32 v1, v9, v12
	s_and_b64 s[18:19], s[2:3], vcc
	s_and_saveexec_b64 s[16:17], s[18:19]
	s_cbranch_execz .LBB82_157
; %bb.153:
	s_andn2_b64 vcc, exec, s[12:13]
	s_cbranch_vccnz .LBB82_155
; %bb.154:
	v_mov_b32_e32 v9, s5
	v_add_co_u32_e32 v8, vcc, s4, v2
	v_addc_co_u32_e32 v9, vcc, 0, v9, vcc
	v_lshlrev_b64 v[8:9], 1, v[8:9]
	v_cvt_f16_f32_e32 v11, v0
	v_mov_b32_e32 v10, s9
	v_add_co_u32_e32 v8, vcc, s8, v8
	v_addc_co_u32_e32 v9, vcc, v10, v9, vcc
	global_store_short v[8:9], v11, off offset:64
.LBB82_155:
	s_andn2_b64 vcc, exec, s[6:7]
	s_cbranch_vccnz .LBB82_157
; %bb.156:
	v_mov_b32_e32 v9, s5
	v_add_co_u32_e32 v8, vcc, s4, v2
	v_addc_co_u32_e32 v9, vcc, 0, v9, vcc
	v_lshlrev_b64 v[8:9], 1, v[8:9]
	v_cvt_f16_f32_e32 v11, v1
	v_mov_b32_e32 v10, s11
	v_add_co_u32_e32 v8, vcc, s10, v8
	v_addc_co_u32_e32 v9, vcc, v10, v9, vcc
	global_store_short v[8:9], v11, off offset:64
.LBB82_157:
	s_or_b64 exec, exec, s[16:17]
	v_cmp_gt_u32_e32 vcc, 16, v2
	s_and_b64 exec, exec, vcc
	s_cbranch_execz .LBB82_165
; %bb.158:
	s_and_saveexec_b64 s[16:17], s[0:1]
	s_cbranch_execz .LBB82_160
; %bb.159:
	v_add_u32_e32 v0, v2, v3
	v_lshl_add_u32 v1, v0, 2, 0
	ds_read_b32 v0, v1 offset:192
	ds_read_b32 v1, v1 offset:4352
.LBB82_160:
	s_or_b64 exec, exec, s[16:17]
	s_waitcnt lgkmcnt(1)
	ds_bpermute_b32 v3, v4, v0
	s_waitcnt lgkmcnt(1)
	ds_bpermute_b32 v4, v4, v1
	s_waitcnt lgkmcnt(1)
	v_add_f32_e32 v0, v0, v3
	s_waitcnt lgkmcnt(0)
	v_add_f32_e32 v1, v1, v4
	ds_bpermute_b32 v3, v5, v0
	ds_bpermute_b32 v4, v5, v1
	v_add_u32_e32 v5, 48, v2
	v_or_b32_e32 v5, s4, v5
	s_waitcnt lgkmcnt(1)
	v_add_f32_e32 v0, v0, v3
	s_waitcnt lgkmcnt(0)
	v_add_f32_e32 v1, v1, v4
	ds_bpermute_b32 v3, v6, v0
	ds_bpermute_b32 v4, v6, v1
	v_mov_b32_e32 v6, s5
	v_cmp_gt_i64_e32 vcc, s[14:15], v[5:6]
	s_waitcnt lgkmcnt(1)
	v_add_f32_e32 v3, v0, v3
	s_waitcnt lgkmcnt(0)
	v_add_f32_e32 v0, v1, v4
	ds_bpermute_b32 v4, v7, v3
	ds_bpermute_b32 v1, v7, v0
	s_and_b64 s[0:1], s[2:3], vcc
	s_and_b64 exec, exec, s[0:1]
	s_cbranch_execz .LBB82_165
; %bb.161:
	s_andn2_b64 vcc, exec, s[12:13]
	s_cbranch_vccnz .LBB82_163
; %bb.162:
	s_waitcnt lgkmcnt(1)
	v_add_f32_e32 v5, v3, v4
	v_mov_b32_e32 v4, s5
	v_add_co_u32_e32 v3, vcc, s4, v2
	v_addc_co_u32_e32 v4, vcc, 0, v4, vcc
	v_lshlrev_b64 v[3:4], 1, v[3:4]
	v_cvt_f16_f32_e32 v5, v5
	v_mov_b32_e32 v6, s9
	v_add_co_u32_e32 v3, vcc, s8, v3
	v_addc_co_u32_e32 v4, vcc, v6, v4, vcc
	global_store_short v[3:4], v5, off offset:96
.LBB82_163:
	s_andn2_b64 vcc, exec, s[6:7]
	s_cbranch_vccnz .LBB82_165
; %bb.164:
	s_waitcnt lgkmcnt(0)
	v_add_f32_e32 v3, v0, v1
	v_mov_b32_e32 v1, s5
	v_add_co_u32_e32 v0, vcc, s4, v2
	v_addc_co_u32_e32 v1, vcc, 0, v1, vcc
	v_lshlrev_b64 v[0:1], 1, v[0:1]
	v_cvt_f16_f32_e32 v3, v3
	v_mov_b32_e32 v2, s11
	v_add_co_u32_e32 v0, vcc, s10, v0
	v_addc_co_u32_e32 v1, vcc, v2, v1, vcc
	global_store_short v[0:1], v3, off offset:96
.LBB82_165:
	s_endpgm
	.section	.rodata,"a",@progbits
	.p2align	6, 0x0
	.amdhsa_kernel _ZN2at6native12_GLOBAL__N_135GammaBetaBackwardCUDAKernelTemplateIN3c104HalfEfLj64ELj16ELj256ELb0ELb0ELb0EEEvllPKT_S7_PKT0_SA_PS5_SB_
		.amdhsa_group_segment_fixed_size 0
		.amdhsa_private_segment_fixed_size 436
		.amdhsa_kernarg_size 320
		.amdhsa_user_sgpr_count 6
		.amdhsa_user_sgpr_private_segment_buffer 1
		.amdhsa_user_sgpr_dispatch_ptr 0
		.amdhsa_user_sgpr_queue_ptr 0
		.amdhsa_user_sgpr_kernarg_segment_ptr 1
		.amdhsa_user_sgpr_dispatch_id 0
		.amdhsa_user_sgpr_flat_scratch_init 0
		.amdhsa_user_sgpr_private_segment_size 0
		.amdhsa_uses_dynamic_stack 0
		.amdhsa_system_sgpr_private_segment_wavefront_offset 1
		.amdhsa_system_sgpr_workgroup_id_x 1
		.amdhsa_system_sgpr_workgroup_id_y 1
		.amdhsa_system_sgpr_workgroup_id_z 0
		.amdhsa_system_sgpr_workgroup_info 0
		.amdhsa_system_vgpr_workitem_id 1
		.amdhsa_next_free_vgpr 64
		.amdhsa_next_free_sgpr 40
		.amdhsa_reserve_vcc 1
		.amdhsa_reserve_flat_scratch 0
		.amdhsa_float_round_mode_32 0
		.amdhsa_float_round_mode_16_64 0
		.amdhsa_float_denorm_mode_32 3
		.amdhsa_float_denorm_mode_16_64 3
		.amdhsa_dx10_clamp 1
		.amdhsa_ieee_mode 1
		.amdhsa_fp16_overflow 0
		.amdhsa_exception_fp_ieee_invalid_op 0
		.amdhsa_exception_fp_denorm_src 0
		.amdhsa_exception_fp_ieee_div_zero 0
		.amdhsa_exception_fp_ieee_overflow 0
		.amdhsa_exception_fp_ieee_underflow 0
		.amdhsa_exception_fp_ieee_inexact 0
		.amdhsa_exception_int_div_zero 0
	.end_amdhsa_kernel
	.section	.text._ZN2at6native12_GLOBAL__N_135GammaBetaBackwardCUDAKernelTemplateIN3c104HalfEfLj64ELj16ELj256ELb0ELb0ELb0EEEvllPKT_S7_PKT0_SA_PS5_SB_,"axG",@progbits,_ZN2at6native12_GLOBAL__N_135GammaBetaBackwardCUDAKernelTemplateIN3c104HalfEfLj64ELj16ELj256ELb0ELb0ELb0EEEvllPKT_S7_PKT0_SA_PS5_SB_,comdat
.Lfunc_end82:
	.size	_ZN2at6native12_GLOBAL__N_135GammaBetaBackwardCUDAKernelTemplateIN3c104HalfEfLj64ELj16ELj256ELb0ELb0ELb0EEEvllPKT_S7_PKT0_SA_PS5_SB_, .Lfunc_end82-_ZN2at6native12_GLOBAL__N_135GammaBetaBackwardCUDAKernelTemplateIN3c104HalfEfLj64ELj16ELj256ELb0ELb0ELb0EEEvllPKT_S7_PKT0_SA_PS5_SB_
                                        ; -- End function
	.set _ZN2at6native12_GLOBAL__N_135GammaBetaBackwardCUDAKernelTemplateIN3c104HalfEfLj64ELj16ELj256ELb0ELb0ELb0EEEvllPKT_S7_PKT0_SA_PS5_SB_.num_vgpr, 64
	.set _ZN2at6native12_GLOBAL__N_135GammaBetaBackwardCUDAKernelTemplateIN3c104HalfEfLj64ELj16ELj256ELb0ELb0ELb0EEEvllPKT_S7_PKT0_SA_PS5_SB_.num_agpr, 0
	.set _ZN2at6native12_GLOBAL__N_135GammaBetaBackwardCUDAKernelTemplateIN3c104HalfEfLj64ELj16ELj256ELb0ELb0ELb0EEEvllPKT_S7_PKT0_SA_PS5_SB_.numbered_sgpr, 40
	.set _ZN2at6native12_GLOBAL__N_135GammaBetaBackwardCUDAKernelTemplateIN3c104HalfEfLj64ELj16ELj256ELb0ELb0ELb0EEEvllPKT_S7_PKT0_SA_PS5_SB_.num_named_barrier, 0
	.set _ZN2at6native12_GLOBAL__N_135GammaBetaBackwardCUDAKernelTemplateIN3c104HalfEfLj64ELj16ELj256ELb0ELb0ELb0EEEvllPKT_S7_PKT0_SA_PS5_SB_.private_seg_size, 436
	.set _ZN2at6native12_GLOBAL__N_135GammaBetaBackwardCUDAKernelTemplateIN3c104HalfEfLj64ELj16ELj256ELb0ELb0ELb0EEEvllPKT_S7_PKT0_SA_PS5_SB_.uses_vcc, 1
	.set _ZN2at6native12_GLOBAL__N_135GammaBetaBackwardCUDAKernelTemplateIN3c104HalfEfLj64ELj16ELj256ELb0ELb0ELb0EEEvllPKT_S7_PKT0_SA_PS5_SB_.uses_flat_scratch, 0
	.set _ZN2at6native12_GLOBAL__N_135GammaBetaBackwardCUDAKernelTemplateIN3c104HalfEfLj64ELj16ELj256ELb0ELb0ELb0EEEvllPKT_S7_PKT0_SA_PS5_SB_.has_dyn_sized_stack, 0
	.set _ZN2at6native12_GLOBAL__N_135GammaBetaBackwardCUDAKernelTemplateIN3c104HalfEfLj64ELj16ELj256ELb0ELb0ELb0EEEvllPKT_S7_PKT0_SA_PS5_SB_.has_recursion, 0
	.set _ZN2at6native12_GLOBAL__N_135GammaBetaBackwardCUDAKernelTemplateIN3c104HalfEfLj64ELj16ELj256ELb0ELb0ELb0EEEvllPKT_S7_PKT0_SA_PS5_SB_.has_indirect_call, 0
	.section	.AMDGPU.csdata,"",@progbits
; Kernel info:
; codeLenInByte = 20616
; TotalNumSgprs: 44
; NumVgprs: 64
; ScratchSize: 436
; MemoryBound: 0
; FloatMode: 240
; IeeeMode: 1
; LDSByteSize: 0 bytes/workgroup (compile time only)
; SGPRBlocks: 5
; VGPRBlocks: 15
; NumSGPRsForWavesPerEU: 44
; NumVGPRsForWavesPerEU: 64
; Occupancy: 4
; WaveLimiterHint : 0
; COMPUTE_PGM_RSRC2:SCRATCH_EN: 1
; COMPUTE_PGM_RSRC2:USER_SGPR: 6
; COMPUTE_PGM_RSRC2:TRAP_HANDLER: 0
; COMPUTE_PGM_RSRC2:TGID_X_EN: 1
; COMPUTE_PGM_RSRC2:TGID_Y_EN: 1
; COMPUTE_PGM_RSRC2:TGID_Z_EN: 0
; COMPUTE_PGM_RSRC2:TIDIG_COMP_CNT: 1
	.section	.text._ZN2at6native12_GLOBAL__N_135GammaBetaBackwardCUDAKernelTemplateIN3c104HalfEfLj32ELj1ELj32ELb1ELb1ELb0EEEvllPKT_S7_PKT0_SA_PS5_SB_,"axG",@progbits,_ZN2at6native12_GLOBAL__N_135GammaBetaBackwardCUDAKernelTemplateIN3c104HalfEfLj32ELj1ELj32ELb1ELb1ELb0EEEvllPKT_S7_PKT0_SA_PS5_SB_,comdat
	.globl	_ZN2at6native12_GLOBAL__N_135GammaBetaBackwardCUDAKernelTemplateIN3c104HalfEfLj32ELj1ELj32ELb1ELb1ELb0EEEvllPKT_S7_PKT0_SA_PS5_SB_ ; -- Begin function _ZN2at6native12_GLOBAL__N_135GammaBetaBackwardCUDAKernelTemplateIN3c104HalfEfLj32ELj1ELj32ELb1ELb1ELb0EEEvllPKT_S7_PKT0_SA_PS5_SB_
	.p2align	8
	.type	_ZN2at6native12_GLOBAL__N_135GammaBetaBackwardCUDAKernelTemplateIN3c104HalfEfLj32ELj1ELj32ELb1ELb1ELb0EEEvllPKT_S7_PKT0_SA_PS5_SB_,@function
_ZN2at6native12_GLOBAL__N_135GammaBetaBackwardCUDAKernelTemplateIN3c104HalfEfLj32ELj1ELj32ELb1ELb1ELb0EEEvllPKT_S7_PKT0_SA_PS5_SB_: ; @_ZN2at6native12_GLOBAL__N_135GammaBetaBackwardCUDAKernelTemplateIN3c104HalfEfLj32ELj1ELj32ELb1ELb1ELb0EEEvllPKT_S7_PKT0_SA_PS5_SB_
; %bb.0:
	s_load_dwordx4 s[16:19], s[4:5], 0x0
	s_lshl_b32 s24, s7, 5
	s_mov_b32 s25, 0
	v_mov_b32_e32 v2, s24
	v_mov_b32_e32 v3, s25
	s_waitcnt lgkmcnt(0)
	v_cmp_gt_i64_e32 vcc, s[16:17], v[2:3]
	s_mov_b32 s2, s7
	s_cbranch_vccnz .LBB83_2
; %bb.1:
	s_add_u32 s26, s4, 64
	s_addc_u32 s27, s5, 0
	s_mov_b64 s[0:1], 0
	s_branch .LBB83_3
.LBB83_2:
	s_mov_b64 s[0:1], -1
                                        ; implicit-def: $sgpr26_sgpr27
.LBB83_3:
	s_load_dwordx4 s[20:23], s[4:5], 0x30
	v_mov_b32_e32 v5, 0
	s_andn2_b64 vcc, exec, s[0:1]
	v_mov_b32_e32 v4, 0
	s_cbranch_vccnz .LBB83_11
; %bb.4:
	s_load_dword s0, s[4:5], 0x4c
	s_load_dword s3, s[4:5], 0x44
	s_load_dwordx8 s[8:15], s[4:5], 0x10
	s_add_u32 s26, s4, 64
	s_addc_u32 s27, s5, 0
	s_waitcnt lgkmcnt(0)
	s_and_b32 s0, s0, 0xffff
	v_mad_u32_u24 v2, v1, s0, v0
	v_and_b32_e32 v19, 63, v2
	v_lshlrev_b32_e32 v2, 5, v1
	v_mbcnt_lo_u32_b32 v3, -1, 0
	v_mbcnt_hi_u32_b32 v3, -1, v3
	v_add_co_u32_e32 v20, vcc, s24, v2
	v_lshlrev_b32_e32 v3, 2, v3
	v_addc_co_u32_e64 v21, s[4:5], 0, 0, vcc
	v_and_b32_e32 v7, 0x100, v3
	v_mul_lo_u32 v4, s19, v20
	v_mul_lo_u32 v14, s18, v21
	v_mad_u64_u32 v[2:3], s[4:5], s18, v20, 0
	v_mov_b32_e32 v6, 0
	v_lshl_or_b32 v5, s6, 5, v0
	v_add3_u32 v3, v3, v14, v4
	v_lshlrev_b64 v[2:3], 1, v[2:3]
	v_lshlrev_b64 v[4:5], 1, v[5:6]
	s_lshl_b32 s28, s3, 5
	v_add_co_u32_e32 v14, vcc, v2, v4
	v_addc_co_u32_e32 v15, vcc, v3, v5, vcc
	v_add_co_u32_e32 v2, vcc, v20, v19
	v_addc_co_u32_e32 v3, vcc, 0, v21, vcc
	s_mul_i32 s3, s19, s28
	s_mul_hi_u32 s4, s18, s28
	s_mov_b32 s29, 0
	s_add_i32 s5, s4, s3
	s_mul_i32 s4, s18, s28
	v_lshlrev_b64 v[4:5], 2, v[2:3]
	v_cmp_gt_u32_e64 s[0:1], 32, v19
	v_or_b32_e32 v8, 4, v7
	v_or_b32_e32 v9, 8, v7
	;; [unrolled: 1-line block ×10, first 2 shown]
	s_lshl_b64 s[30:31], s[28:29], 2
	s_lshl_b64 s[34:35], s[4:5], 1
	;; [unrolled: 1-line block ×3, first 2 shown]
	v_or_b32_e32 v20, 44, v7
	v_or_b32_e32 v21, 48, v7
	;; [unrolled: 1-line block ×21, first 2 shown]
	v_mov_b32_e32 v41, v6
	s_branch .LBB83_7
.LBB83_5:                               ;   in Loop: Header=BB83_7 Depth=1
	s_or_b64 exec, exec, s[38:39]
.LBB83_6:                               ;   in Loop: Header=BB83_7 Depth=1
	s_or_b64 exec, exec, s[4:5]
	v_mov_b32_e32 v44, s11
	v_add_co_u32_e32 v45, vcc, s10, v14
	v_addc_co_u32_e32 v46, vcc, v44, v15, vcc
	global_load_ushort v51, v[45:46], off
	v_mov_b32_e32 v44, s9
	v_add_co_u32_e32 v47, vcc, s8, v14
	v_addc_co_u32_e32 v48, vcc, v44, v15, vcc
	global_load_ushort v52, v[47:48], off
	;; [unrolled: 4-line block ×3, first 2 shown]
	v_add_co_u32_e32 v47, vcc, s36, v47
	v_addc_co_u32_e32 v48, vcc, v48, v44, vcc
	global_load_ushort v54, v[47:48], off
	v_add_co_u32_e32 v49, vcc, s36, v45
	v_addc_co_u32_e32 v50, vcc, v46, v44, vcc
	v_add_co_u32_e32 v45, vcc, s36, v47
	v_addc_co_u32_e32 v46, vcc, v48, v44, vcc
	;; [unrolled: 2-line block ×3, first 2 shown]
	global_load_ushort v55, v[49:50], off
	v_add_co_u32_e32 v49, vcc, s36, v45
	v_addc_co_u32_e32 v50, vcc, v46, v44, vcc
	global_load_ushort v46, v[45:46], off
	s_add_u32 s24, s24, s28
	s_addc_u32 s25, s25, 0
	v_add_co_u32_e64 v14, s[4:5], s34, v14
	s_waitcnt vmcnt(5)
	v_cvt_f32_f16_e32 v45, v51
	ds_bpermute_b32 v51, v7, v43
	s_waitcnt lgkmcnt(0)
	v_sub_f32_e32 v45, v45, v51
	s_waitcnt vmcnt(4)
	v_cvt_f32_f16_e32 v51, v52
	v_add_f32_e32 v6, v6, v51
	v_mul_f32_e32 v45, v45, v51
	ds_bpermute_b32 v51, v7, v42
	s_waitcnt lgkmcnt(0)
	v_fmac_f32_e32 v41, v45, v51
	v_add_co_u32_e32 v51, vcc, s36, v47
	ds_bpermute_b32 v45, v8, v43
	v_addc_co_u32_e32 v52, vcc, v48, v44, vcc
	global_load_ushort v47, v[47:48], off
	s_waitcnt vmcnt(4)
	v_cvt_f32_f16_e32 v48, v53
	ds_bpermute_b32 v53, v8, v42
	s_waitcnt lgkmcnt(1)
	v_sub_f32_e32 v48, v48, v45
	s_waitcnt vmcnt(3)
	v_cvt_f32_f16_e32 v45, v54
	v_mul_f32_e32 v48, v48, v45
	s_waitcnt lgkmcnt(0)
	v_fmac_f32_e32 v41, v48, v53
	global_load_ushort v48, v[49:50], off
	v_add_co_u32_e32 v53, vcc, s36, v49
	ds_bpermute_b32 v49, v9, v43
	v_addc_co_u32_e32 v54, vcc, v50, v44, vcc
	s_waitcnt vmcnt(3)
	v_cvt_f32_f16_e32 v50, v55
	s_waitcnt vmcnt(2)
	v_cvt_f32_f16_e32 v46, v46
	global_load_ushort v55, v[51:52], off
	v_add_f32_e32 v6, v6, v45
	s_waitcnt lgkmcnt(0)
	v_sub_f32_e32 v49, v50, v49
	ds_bpermute_b32 v50, v9, v42
	v_mul_f32_e32 v49, v49, v46
	v_add_f32_e32 v6, v6, v46
	s_waitcnt lgkmcnt(0)
	v_fmac_f32_e32 v41, v49, v50
	v_add_co_u32_e32 v49, vcc, s36, v51
	ds_bpermute_b32 v51, v10, v43
	v_addc_co_u32_e32 v50, vcc, v52, v44, vcc
	ds_bpermute_b32 v52, v10, v42
	s_waitcnt vmcnt(2)
	v_cvt_f32_f16_e32 v47, v47
	s_waitcnt lgkmcnt(1)
	v_sub_f32_e32 v51, v47, v51
	s_waitcnt vmcnt(1)
	v_cvt_f32_f16_e32 v47, v48
	v_mul_f32_e32 v48, v51, v47
	s_waitcnt lgkmcnt(0)
	v_fmac_f32_e32 v41, v48, v52
	global_load_ushort v48, v[53:54], off
	v_add_co_u32_e32 v51, vcc, s36, v53
	ds_bpermute_b32 v53, v11, v43
	v_addc_co_u32_e32 v52, vcc, v54, v44, vcc
	s_waitcnt vmcnt(1)
	v_cvt_f32_f16_e32 v54, v55
	v_add_f32_e32 v6, v6, v47
	s_waitcnt lgkmcnt(0)
	v_sub_f32_e32 v53, v54, v53
	ds_bpermute_b32 v54, v11, v42
	s_waitcnt vmcnt(0)
	v_cvt_f32_f16_e32 v48, v48
	v_mul_f32_e32 v53, v53, v48
	s_waitcnt lgkmcnt(0)
	v_fmac_f32_e32 v41, v53, v54
	v_add_co_u32_e32 v53, vcc, s36, v49
	global_load_ushort v49, v[49:50], off
	v_addc_co_u32_e32 v54, vcc, v50, v44, vcc
	global_load_ushort v50, v[51:52], off
	v_add_co_u32_e32 v55, vcc, s36, v51
	ds_bpermute_b32 v51, v12, v43
	v_addc_co_u32_e32 v56, vcc, v52, v44, vcc
	v_add_f32_e32 v6, v6, v48
	s_waitcnt vmcnt(1)
	v_cvt_f32_f16_e32 v49, v49
	s_waitcnt lgkmcnt(0)
	v_sub_f32_e32 v51, v49, v51
	s_waitcnt vmcnt(0)
	v_cvt_f32_f16_e32 v49, v50
	v_mul_f32_e32 v50, v51, v49
	ds_bpermute_b32 v51, v12, v42
	v_add_f32_e32 v6, v6, v49
	s_waitcnt lgkmcnt(0)
	v_fmac_f32_e32 v41, v50, v51
	global_load_ushort v50, v[53:54], off
	v_add_co_u32_e32 v51, vcc, s36, v53
	v_addc_co_u32_e32 v52, vcc, v54, v44, vcc
	v_add_co_u32_e32 v53, vcc, s36, v55
	global_load_ushort v55, v[55:56], off
	v_addc_co_u32_e32 v54, vcc, v56, v44, vcc
	ds_bpermute_b32 v56, v13, v43
	s_waitcnt vmcnt(1)
	v_cvt_f32_f16_e32 v50, v50
	s_waitcnt lgkmcnt(0)
	v_sub_f32_e32 v56, v50, v56
	s_waitcnt vmcnt(0)
	v_cvt_f32_f16_e32 v50, v55
	v_mul_f32_e32 v55, v56, v50
	ds_bpermute_b32 v56, v13, v42
	v_add_f32_e32 v6, v6, v50
	s_waitcnt lgkmcnt(0)
	v_fmac_f32_e32 v41, v55, v56
	v_add_co_u32_e32 v55, vcc, s36, v51
	global_load_ushort v51, v[51:52], off
	v_addc_co_u32_e32 v56, vcc, v52, v44, vcc
	global_load_ushort v52, v[53:54], off
	v_add_co_u32_e32 v57, vcc, s36, v53
	ds_bpermute_b32 v53, v16, v43
	v_addc_co_u32_e32 v58, vcc, v54, v44, vcc
	s_waitcnt vmcnt(1)
	v_cvt_f32_f16_e32 v51, v51
	s_waitcnt lgkmcnt(0)
	v_sub_f32_e32 v53, v51, v53
	s_waitcnt vmcnt(0)
	v_cvt_f32_f16_e32 v51, v52
	v_mul_f32_e32 v52, v53, v51
	ds_bpermute_b32 v53, v16, v42
	v_add_f32_e32 v6, v6, v51
	s_waitcnt lgkmcnt(0)
	v_fmac_f32_e32 v41, v52, v53
	global_load_ushort v52, v[55:56], off
	v_add_co_u32_e32 v53, vcc, s36, v55
	v_addc_co_u32_e32 v54, vcc, v56, v44, vcc
	v_add_co_u32_e32 v55, vcc, s36, v57
	global_load_ushort v57, v[57:58], off
	v_addc_co_u32_e32 v56, vcc, v58, v44, vcc
	ds_bpermute_b32 v58, v17, v43
	s_waitcnt vmcnt(1)
	v_cvt_f32_f16_e32 v52, v52
	s_waitcnt lgkmcnt(0)
	v_sub_f32_e32 v58, v52, v58
	s_waitcnt vmcnt(0)
	v_cvt_f32_f16_e32 v52, v57
	v_mul_f32_e32 v57, v58, v52
	ds_bpermute_b32 v58, v17, v42
	v_add_f32_e32 v6, v6, v52
	s_waitcnt lgkmcnt(0)
	v_fmac_f32_e32 v41, v57, v58
	v_add_co_u32_e32 v57, vcc, s36, v53
	global_load_ushort v53, v[53:54], off
	v_addc_co_u32_e32 v58, vcc, v54, v44, vcc
	global_load_ushort v54, v[55:56], off
	v_add_co_u32_e32 v59, vcc, s36, v55
	ds_bpermute_b32 v55, v18, v43
	v_addc_co_u32_e32 v60, vcc, v56, v44, vcc
	;; [unrolled: 36-line block ×6, first 2 shown]
	s_waitcnt vmcnt(1)
	v_cvt_f32_f16_e32 v61, v61
	s_waitcnt lgkmcnt(0)
	v_sub_f32_e32 v63, v61, v63
	s_waitcnt vmcnt(0)
	v_cvt_f32_f16_e32 v61, v62
	v_mul_f32_e32 v62, v63, v61
	ds_bpermute_b32 v63, v26, v42
	v_add_f32_e32 v6, v6, v61
	s_waitcnt lgkmcnt(0)
	v_fmac_f32_e32 v41, v62, v63
	v_add_co_u32_e32 v62, vcc, s36, v65
	v_addc_co_u32_e32 v63, vcc, v66, v44, vcc
	global_load_ushort v66, v[65:66], off
	v_add_co_u32_e32 v64, vcc, s36, v67
	global_load_ushort v67, v[67:68], off
	v_addc_co_u32_e32 v65, vcc, v68, v44, vcc
	ds_bpermute_b32 v68, v27, v43
	global_load_ushort v69, v[62:63], off
	s_waitcnt vmcnt(2)
	v_cvt_f32_f16_e32 v66, v66
	s_waitcnt lgkmcnt(0)
	v_sub_f32_e32 v66, v66, v68
	s_waitcnt vmcnt(1)
	v_cvt_f32_f16_e32 v68, v67
	ds_bpermute_b32 v67, v27, v42
	v_mul_f32_e32 v66, v66, v68
	v_add_f32_e32 v6, v6, v68
	s_waitcnt lgkmcnt(0)
	v_fmac_f32_e32 v41, v66, v67
	v_add_co_u32_e32 v66, vcc, s36, v62
	v_addc_co_u32_e32 v67, vcc, v63, v44, vcc
	v_add_co_u32_e32 v62, vcc, s36, v64
	global_load_ushort v64, v[64:65], off
	v_addc_co_u32_e32 v63, vcc, v65, v44, vcc
	s_waitcnt vmcnt(1)
	v_cvt_f32_f16_e32 v65, v69
	ds_bpermute_b32 v69, v28, v43
	global_load_ushort v70, v[66:67], off
	s_waitcnt lgkmcnt(0)
	v_sub_f32_e32 v65, v65, v69
	s_waitcnt vmcnt(1)
	v_cvt_f32_f16_e32 v69, v64
	v_mul_f32_e32 v64, v65, v69
	ds_bpermute_b32 v65, v28, v42
	v_add_f32_e32 v6, v6, v69
	s_waitcnt lgkmcnt(0)
	v_fmac_f32_e32 v41, v64, v65
	v_add_co_u32_e32 v64, vcc, s36, v66
	v_addc_co_u32_e32 v65, vcc, v67, v44, vcc
	v_add_co_u32_e32 v66, vcc, s36, v62
	global_load_ushort v62, v[62:63], off
	v_addc_co_u32_e32 v67, vcc, v63, v44, vcc
	s_waitcnt vmcnt(1)
	v_cvt_f32_f16_e32 v63, v70
	ds_bpermute_b32 v70, v29, v43
	global_load_ushort v71, v[64:65], off
	s_waitcnt lgkmcnt(0)
	v_sub_f32_e32 v63, v63, v70
	s_waitcnt vmcnt(1)
	v_cvt_f32_f16_e32 v70, v62
	v_mul_f32_e32 v62, v63, v70
	ds_bpermute_b32 v63, v29, v42
	;; [unrolled: 18-line block ×11, first 2 shown]
	v_add_f32_e32 v6, v6, v79
	s_waitcnt lgkmcnt(0)
	v_fmac_f32_e32 v41, v62, v63
	v_add_co_u32_e32 v62, vcc, s36, v64
	v_addc_co_u32_e32 v63, vcc, v65, v44, vcc
	v_add_co_u32_e32 v64, vcc, s36, v66
	v_addc_co_u32_e32 v65, vcc, v67, v44, vcc
	global_load_ushort v44, v[66:67], off
	ds_bpermute_b32 v67, v39, v43
	s_waitcnt vmcnt(1)
	v_cvt_f32_f16_e32 v66, v80
	ds_bpermute_b32 v43, v40, v43
	v_add_co_u32_e32 v4, vcc, s30, v4
	s_waitcnt lgkmcnt(1)
	v_sub_f32_e32 v66, v66, v67
	ds_bpermute_b32 v67, v39, v42
	ds_bpermute_b32 v42, v40, v42
	s_waitcnt vmcnt(0)
	v_cvt_f32_f16_e32 v44, v44
	v_mul_f32_e32 v66, v66, v44
	s_waitcnt lgkmcnt(1)
	v_fmac_f32_e32 v41, v66, v67
	global_load_ushort v66, v[64:65], off
	global_load_ushort v67, v[62:63], off
	v_add_f32_e32 v6, v6, v44
	v_mov_b32_e32 v44, s35
	v_addc_co_u32_e64 v15, s[4:5], v15, v44, s[4:5]
	s_waitcnt vmcnt(1)
	v_cvt_f32_f16_e32 v45, v66
	s_waitcnt vmcnt(0)
	v_cvt_f32_f16_e32 v46, v67
	v_add_f32_e32 v6, v6, v45
	v_sub_f32_e32 v43, v46, v43
	v_mul_f32_e32 v43, v43, v45
	s_waitcnt lgkmcnt(0)
	v_fmac_f32_e32 v41, v43, v42
	v_mov_b32_e32 v42, s31
	v_addc_co_u32_e32 v5, vcc, v5, v42, vcc
	v_add_co_u32_e32 v2, vcc, s28, v2
	v_mov_b32_e32 v43, s17
	v_addc_co_u32_e32 v3, vcc, 0, v3, vcc
	v_mov_b32_e32 v42, s16
	v_cmp_lt_i64_e32 vcc, s[24:25], v[42:43]
	s_cbranch_vccz .LBB83_10
.LBB83_7:                               ; =>This Inner Loop Header: Depth=1
	v_mov_b32_e32 v42, 0
	v_mov_b32_e32 v43, 0
	s_and_saveexec_b64 s[4:5], s[0:1]
	s_cbranch_execz .LBB83_6
; %bb.8:                                ;   in Loop: Header=BB83_7 Depth=1
	v_cmp_gt_i64_e32 vcc, s[16:17], v[2:3]
	v_mov_b32_e32 v43, 0
	v_mov_b32_e32 v42, 0
	s_and_saveexec_b64 s[38:39], vcc
	s_cbranch_execz .LBB83_5
; %bb.9:                                ;   in Loop: Header=BB83_7 Depth=1
	v_mov_b32_e32 v42, s15
	v_add_co_u32_e32 v44, vcc, s14, v4
	v_addc_co_u32_e32 v45, vcc, v42, v5, vcc
	v_mov_b32_e32 v42, s13
	v_add_co_u32_e32 v46, vcc, s12, v4
	v_addc_co_u32_e32 v47, vcc, v42, v5, vcc
	global_load_dword v43, v[46:47], off
	global_load_dword v42, v[44:45], off
	s_branch .LBB83_5
.LBB83_10:
	v_cvt_f16_f32_e32 v5, v41
	v_cvt_f16_f32_e32 v4, v6
.LBB83_11:
	s_load_dword s0, s[26:27], 0xc
	v_mov_b32_e32 v2, 0
	v_mov_b32_e32 v3, s2
	s_mov_b32 s7, 0
	s_waitcnt lgkmcnt(0)
	s_lshr_b32 s0, s0, 16
	v_mad_u64_u32 v[2:3], s[0:1], s0, v3, v[1:2]
	s_lshl_b64 s[0:1], s[6:7], 5
	v_or_b32_e32 v0, s0, v0
	v_mul_lo_u32 v3, v3, s18
	v_mul_lo_u32 v6, v2, s19
	v_mov_b32_e32 v1, s1
	v_lshlrev_b64 v[0:1], 1, v[0:1]
	s_cmp_eq_u64 s[20:21], 0
	s_cbranch_scc1 .LBB83_13
; %bb.12:
	v_mad_u64_u32 v[7:8], s[0:1], v2, s18, 0
	v_mov_b32_e32 v9, s21
	v_add3_u32 v8, v8, v6, v3
	v_lshlrev_b64 v[7:8], 1, v[7:8]
	v_add_co_u32_e32 v7, vcc, s20, v7
	v_addc_co_u32_e32 v8, vcc, v9, v8, vcc
	v_add_co_u32_e32 v7, vcc, v7, v0
	v_addc_co_u32_e32 v8, vcc, v8, v1, vcc
	global_store_short v[7:8], v5, off
.LBB83_13:
	s_cmp_eq_u64 s[22:23], 0
	s_cbranch_scc1 .LBB83_15
; %bb.14:
	v_mad_u64_u32 v[7:8], s[0:1], v2, s18, 0
	v_mov_b32_e32 v5, s23
	v_add3_u32 v8, v8, v6, v3
	v_lshlrev_b64 v[2:3], 1, v[7:8]
	v_add_co_u32_e32 v2, vcc, s22, v2
	v_addc_co_u32_e32 v3, vcc, v5, v3, vcc
	v_add_co_u32_e32 v0, vcc, v2, v0
	v_addc_co_u32_e32 v1, vcc, v3, v1, vcc
	global_store_short v[0:1], v4, off
.LBB83_15:
	s_endpgm
	.section	.rodata,"a",@progbits
	.p2align	6, 0x0
	.amdhsa_kernel _ZN2at6native12_GLOBAL__N_135GammaBetaBackwardCUDAKernelTemplateIN3c104HalfEfLj32ELj1ELj32ELb1ELb1ELb0EEEvllPKT_S7_PKT0_SA_PS5_SB_
		.amdhsa_group_segment_fixed_size 0
		.amdhsa_private_segment_fixed_size 0
		.amdhsa_kernarg_size 320
		.amdhsa_user_sgpr_count 6
		.amdhsa_user_sgpr_private_segment_buffer 1
		.amdhsa_user_sgpr_dispatch_ptr 0
		.amdhsa_user_sgpr_queue_ptr 0
		.amdhsa_user_sgpr_kernarg_segment_ptr 1
		.amdhsa_user_sgpr_dispatch_id 0
		.amdhsa_user_sgpr_flat_scratch_init 0
		.amdhsa_user_sgpr_private_segment_size 0
		.amdhsa_uses_dynamic_stack 0
		.amdhsa_system_sgpr_private_segment_wavefront_offset 0
		.amdhsa_system_sgpr_workgroup_id_x 1
		.amdhsa_system_sgpr_workgroup_id_y 1
		.amdhsa_system_sgpr_workgroup_id_z 0
		.amdhsa_system_sgpr_workgroup_info 0
		.amdhsa_system_vgpr_workitem_id 1
		.amdhsa_next_free_vgpr 81
		.amdhsa_next_free_sgpr 40
		.amdhsa_reserve_vcc 1
		.amdhsa_reserve_flat_scratch 0
		.amdhsa_float_round_mode_32 0
		.amdhsa_float_round_mode_16_64 0
		.amdhsa_float_denorm_mode_32 3
		.amdhsa_float_denorm_mode_16_64 3
		.amdhsa_dx10_clamp 1
		.amdhsa_ieee_mode 1
		.amdhsa_fp16_overflow 0
		.amdhsa_exception_fp_ieee_invalid_op 0
		.amdhsa_exception_fp_denorm_src 0
		.amdhsa_exception_fp_ieee_div_zero 0
		.amdhsa_exception_fp_ieee_overflow 0
		.amdhsa_exception_fp_ieee_underflow 0
		.amdhsa_exception_fp_ieee_inexact 0
		.amdhsa_exception_int_div_zero 0
	.end_amdhsa_kernel
	.section	.text._ZN2at6native12_GLOBAL__N_135GammaBetaBackwardCUDAKernelTemplateIN3c104HalfEfLj32ELj1ELj32ELb1ELb1ELb0EEEvllPKT_S7_PKT0_SA_PS5_SB_,"axG",@progbits,_ZN2at6native12_GLOBAL__N_135GammaBetaBackwardCUDAKernelTemplateIN3c104HalfEfLj32ELj1ELj32ELb1ELb1ELb0EEEvllPKT_S7_PKT0_SA_PS5_SB_,comdat
.Lfunc_end83:
	.size	_ZN2at6native12_GLOBAL__N_135GammaBetaBackwardCUDAKernelTemplateIN3c104HalfEfLj32ELj1ELj32ELb1ELb1ELb0EEEvllPKT_S7_PKT0_SA_PS5_SB_, .Lfunc_end83-_ZN2at6native12_GLOBAL__N_135GammaBetaBackwardCUDAKernelTemplateIN3c104HalfEfLj32ELj1ELj32ELb1ELb1ELb0EEEvllPKT_S7_PKT0_SA_PS5_SB_
                                        ; -- End function
	.set _ZN2at6native12_GLOBAL__N_135GammaBetaBackwardCUDAKernelTemplateIN3c104HalfEfLj32ELj1ELj32ELb1ELb1ELb0EEEvllPKT_S7_PKT0_SA_PS5_SB_.num_vgpr, 81
	.set _ZN2at6native12_GLOBAL__N_135GammaBetaBackwardCUDAKernelTemplateIN3c104HalfEfLj32ELj1ELj32ELb1ELb1ELb0EEEvllPKT_S7_PKT0_SA_PS5_SB_.num_agpr, 0
	.set _ZN2at6native12_GLOBAL__N_135GammaBetaBackwardCUDAKernelTemplateIN3c104HalfEfLj32ELj1ELj32ELb1ELb1ELb0EEEvllPKT_S7_PKT0_SA_PS5_SB_.numbered_sgpr, 40
	.set _ZN2at6native12_GLOBAL__N_135GammaBetaBackwardCUDAKernelTemplateIN3c104HalfEfLj32ELj1ELj32ELb1ELb1ELb0EEEvllPKT_S7_PKT0_SA_PS5_SB_.num_named_barrier, 0
	.set _ZN2at6native12_GLOBAL__N_135GammaBetaBackwardCUDAKernelTemplateIN3c104HalfEfLj32ELj1ELj32ELb1ELb1ELb0EEEvllPKT_S7_PKT0_SA_PS5_SB_.private_seg_size, 0
	.set _ZN2at6native12_GLOBAL__N_135GammaBetaBackwardCUDAKernelTemplateIN3c104HalfEfLj32ELj1ELj32ELb1ELb1ELb0EEEvllPKT_S7_PKT0_SA_PS5_SB_.uses_vcc, 1
	.set _ZN2at6native12_GLOBAL__N_135GammaBetaBackwardCUDAKernelTemplateIN3c104HalfEfLj32ELj1ELj32ELb1ELb1ELb0EEEvllPKT_S7_PKT0_SA_PS5_SB_.uses_flat_scratch, 0
	.set _ZN2at6native12_GLOBAL__N_135GammaBetaBackwardCUDAKernelTemplateIN3c104HalfEfLj32ELj1ELj32ELb1ELb1ELb0EEEvllPKT_S7_PKT0_SA_PS5_SB_.has_dyn_sized_stack, 0
	.set _ZN2at6native12_GLOBAL__N_135GammaBetaBackwardCUDAKernelTemplateIN3c104HalfEfLj32ELj1ELj32ELb1ELb1ELb0EEEvllPKT_S7_PKT0_SA_PS5_SB_.has_recursion, 0
	.set _ZN2at6native12_GLOBAL__N_135GammaBetaBackwardCUDAKernelTemplateIN3c104HalfEfLj32ELj1ELj32ELb1ELb1ELb0EEEvllPKT_S7_PKT0_SA_PS5_SB_.has_indirect_call, 0
	.section	.AMDGPU.csdata,"",@progbits
; Kernel info:
; codeLenInByte = 3684
; TotalNumSgprs: 44
; NumVgprs: 81
; ScratchSize: 0
; MemoryBound: 0
; FloatMode: 240
; IeeeMode: 1
; LDSByteSize: 0 bytes/workgroup (compile time only)
; SGPRBlocks: 5
; VGPRBlocks: 20
; NumSGPRsForWavesPerEU: 44
; NumVGPRsForWavesPerEU: 81
; Occupancy: 3
; WaveLimiterHint : 0
; COMPUTE_PGM_RSRC2:SCRATCH_EN: 0
; COMPUTE_PGM_RSRC2:USER_SGPR: 6
; COMPUTE_PGM_RSRC2:TRAP_HANDLER: 0
; COMPUTE_PGM_RSRC2:TGID_X_EN: 1
; COMPUTE_PGM_RSRC2:TGID_Y_EN: 1
; COMPUTE_PGM_RSRC2:TGID_Z_EN: 0
; COMPUTE_PGM_RSRC2:TIDIG_COMP_CNT: 1
	.section	.text._ZN2at6native12_GLOBAL__N_135GammaBetaBackwardCUDAKernelTemplateIN3c104HalfEfLj32ELj1ELj32ELb1ELb0ELb0EEEvllPKT_S7_PKT0_SA_PS5_SB_,"axG",@progbits,_ZN2at6native12_GLOBAL__N_135GammaBetaBackwardCUDAKernelTemplateIN3c104HalfEfLj32ELj1ELj32ELb1ELb0ELb0EEEvllPKT_S7_PKT0_SA_PS5_SB_,comdat
	.globl	_ZN2at6native12_GLOBAL__N_135GammaBetaBackwardCUDAKernelTemplateIN3c104HalfEfLj32ELj1ELj32ELb1ELb0ELb0EEEvllPKT_S7_PKT0_SA_PS5_SB_ ; -- Begin function _ZN2at6native12_GLOBAL__N_135GammaBetaBackwardCUDAKernelTemplateIN3c104HalfEfLj32ELj1ELj32ELb1ELb0ELb0EEEvllPKT_S7_PKT0_SA_PS5_SB_
	.p2align	8
	.type	_ZN2at6native12_GLOBAL__N_135GammaBetaBackwardCUDAKernelTemplateIN3c104HalfEfLj32ELj1ELj32ELb1ELb0ELb0EEEvllPKT_S7_PKT0_SA_PS5_SB_,@function
_ZN2at6native12_GLOBAL__N_135GammaBetaBackwardCUDAKernelTemplateIN3c104HalfEfLj32ELj1ELj32ELb1ELb0ELb0EEEvllPKT_S7_PKT0_SA_PS5_SB_: ; @_ZN2at6native12_GLOBAL__N_135GammaBetaBackwardCUDAKernelTemplateIN3c104HalfEfLj32ELj1ELj32ELb1ELb0ELb0EEEvllPKT_S7_PKT0_SA_PS5_SB_
; %bb.0:
	s_mov_b64 s[42:43], s[2:3]
	s_mov_b64 s[40:41], s[0:1]
	s_add_u32 s40, s40, s8
	s_mov_b32 s8, s7
	s_load_dwordx8 s[12:19], s[4:5], 0x0
	s_load_dwordx4 s[20:23], s[4:5], 0x20
	s_addc_u32 s41, s41, 0
	s_lshl_b32 s24, s8, 5
	s_lshl_b32 s7, s6, 5
	s_mov_b32 s25, 0
	v_mov_b32_e32 v2, s24
	s_or_b32 s0, s7, 31
	v_mov_b32_e32 v3, s25
	v_mov_b32_e32 v129, s0
	;; [unrolled: 1-line block ×3, first 2 shown]
	s_waitcnt lgkmcnt(0)
	v_cmp_gt_i64_e64 s[0:1], s[12:13], v[2:3]
	v_cmp_le_i64_e32 vcc, s[14:15], v[129:130]
	v_cndmask_b32_e64 v2, 0, 1, s[0:1]
	v_cmp_ne_u32_e64 s[0:1], 1, v2
	s_cbranch_vccz .LBB84_145
; %bb.1:
	s_and_b64 vcc, exec, s[0:1]
	v_mov_b32_e32 v133, 0
	s_cbranch_vccnz .LBB84_146
; %bb.2:
	v_lshlrev_b32_e32 v210, 5, v1
	v_add_co_u32_e32 v8, vcc, s24, v210
	v_addc_co_u32_e64 v9, s[2:3], 0, 0, vcc
	v_mul_lo_u32 v10, s15, v8
	v_mul_lo_u32 v11, s14, v9
	v_mad_u64_u32 v[6:7], s[2:3], s14, v8, 0
	s_load_dword s9, s[4:5], 0x44
	v_add_u32_e32 v2, s7, v0
	v_add3_u32 v7, v7, v11, v10
	v_lshlrev_b64 v[11:12], 1, v[6:7]
	v_mov_b32_e32 v3, 0
	s_add_u32 s26, s4, 64
	v_cmp_gt_i64_e64 s[2:3], s[14:15], v[2:3]
	v_lshlrev_b64 v[4:5], 1, v[2:3]
	v_mov_b32_e32 v10, s17
	v_add_co_u32_e32 v2, vcc, s16, v11
	s_addc_u32 s27, s5, 0
	s_waitcnt lgkmcnt(0)
	s_lshl_b32 s9, s9, 5
	v_addc_co_u32_e32 v10, vcc, v10, v12, vcc
	s_mul_i32 s10, s15, s9
	s_mul_hi_u32 s11, s14, s9
	v_add_co_u32_e32 v13, vcc, 31, v8
	s_add_i32 s11, s11, s10
	s_mul_i32 s10, s14, s9
	v_addc_co_u32_e32 v14, vcc, 0, v9, vcc
	s_lshl_b64 s[28:29], s[10:11], 1
	v_mul_lo_u32 v16, s15, v13
	v_mul_lo_u32 v17, s14, v14
	v_mad_u64_u32 v[13:14], s[10:11], s14, v13, 0
	v_mov_b32_e32 v15, s19
	v_add_co_u32_e32 v11, vcc, s18, v11
	v_add3_u32 v14, v14, v17, v16
	v_addc_co_u32_e32 v12, vcc, v15, v12, vcc
	v_lshlrev_b64 v[15:16], 1, v[13:14]
	v_mov_b32_e32 v14, s17
	v_add_co_u32_e32 v13, vcc, s16, v15
	v_addc_co_u32_e32 v14, vcc, v14, v16, vcc
	v_add_co_u32_e32 v17, vcc, 30, v8
	v_addc_co_u32_e32 v18, vcc, 0, v9, vcc
	v_mul_lo_u32 v20, s15, v17
	v_mul_lo_u32 v21, s14, v18
	v_mad_u64_u32 v[17:18], s[10:11], s14, v17, 0
	v_mov_b32_e32 v19, s19
	v_add_co_u32_e32 v15, vcc, s18, v15
	v_add3_u32 v18, v18, v21, v20
	v_addc_co_u32_e32 v16, vcc, v19, v16, vcc
	v_lshlrev_b64 v[19:20], 1, v[17:18]
	v_mov_b32_e32 v18, s17
	v_add_co_u32_e32 v17, vcc, s16, v19
	v_addc_co_u32_e32 v18, vcc, v18, v20, vcc
	v_add_co_u32_e32 v21, vcc, 29, v8
	v_addc_co_u32_e32 v22, vcc, 0, v9, vcc
	v_mul_lo_u32 v24, s15, v21
	v_mul_lo_u32 v25, s14, v22
	v_mad_u64_u32 v[21:22], s[10:11], s14, v21, 0
	v_mov_b32_e32 v23, s19
	v_add_co_u32_e32 v19, vcc, s18, v19
	v_add3_u32 v22, v22, v25, v24
	v_addc_co_u32_e32 v20, vcc, v23, v20, vcc
	v_lshlrev_b64 v[23:24], 1, v[21:22]
	v_mov_b32_e32 v22, s17
	v_add_co_u32_e32 v21, vcc, s16, v23
	v_addc_co_u32_e32 v22, vcc, v22, v24, vcc
	v_add_co_u32_e32 v25, vcc, 28, v8
	v_addc_co_u32_e32 v26, vcc, 0, v9, vcc
	v_mul_lo_u32 v28, s15, v25
	v_mul_lo_u32 v29, s14, v26
	v_mad_u64_u32 v[25:26], s[10:11], s14, v25, 0
	v_mov_b32_e32 v27, s19
	v_add_co_u32_e32 v23, vcc, s18, v23
	v_add3_u32 v26, v26, v29, v28
	v_addc_co_u32_e32 v24, vcc, v27, v24, vcc
	v_lshlrev_b64 v[27:28], 1, v[25:26]
	v_mov_b32_e32 v26, s17
	v_add_co_u32_e32 v25, vcc, s16, v27
	v_addc_co_u32_e32 v26, vcc, v26, v28, vcc
	v_add_co_u32_e32 v29, vcc, 27, v8
	v_addc_co_u32_e32 v30, vcc, 0, v9, vcc
	v_mul_lo_u32 v32, s15, v29
	v_mul_lo_u32 v33, s14, v30
	v_mad_u64_u32 v[29:30], s[10:11], s14, v29, 0
	v_mov_b32_e32 v31, s19
	v_add_co_u32_e32 v27, vcc, s18, v27
	v_add3_u32 v30, v30, v33, v32
	v_addc_co_u32_e32 v28, vcc, v31, v28, vcc
	v_lshlrev_b64 v[31:32], 1, v[29:30]
	v_mov_b32_e32 v30, s17
	v_add_co_u32_e32 v29, vcc, s16, v31
	v_addc_co_u32_e32 v30, vcc, v30, v32, vcc
	v_add_co_u32_e32 v33, vcc, 26, v8
	v_addc_co_u32_e32 v34, vcc, 0, v9, vcc
	v_mul_lo_u32 v36, s15, v33
	v_mul_lo_u32 v37, s14, v34
	v_mad_u64_u32 v[33:34], s[10:11], s14, v33, 0
	v_mov_b32_e32 v35, s19
	v_add_co_u32_e32 v31, vcc, s18, v31
	v_add3_u32 v34, v34, v37, v36
	v_addc_co_u32_e32 v32, vcc, v35, v32, vcc
	v_lshlrev_b64 v[35:36], 1, v[33:34]
	v_mov_b32_e32 v34, s17
	v_add_co_u32_e32 v33, vcc, s16, v35
	v_addc_co_u32_e32 v34, vcc, v34, v36, vcc
	v_add_co_u32_e32 v37, vcc, 25, v8
	v_addc_co_u32_e32 v38, vcc, 0, v9, vcc
	v_mul_lo_u32 v40, s15, v37
	v_mul_lo_u32 v41, s14, v38
	v_mad_u64_u32 v[37:38], s[10:11], s14, v37, 0
	v_mov_b32_e32 v39, s19
	v_add_co_u32_e32 v35, vcc, s18, v35
	v_add3_u32 v38, v38, v41, v40
	v_addc_co_u32_e32 v36, vcc, v39, v36, vcc
	v_lshlrev_b64 v[39:40], 1, v[37:38]
	v_mov_b32_e32 v38, s17
	v_add_co_u32_e32 v37, vcc, s16, v39
	v_addc_co_u32_e32 v38, vcc, v38, v40, vcc
	v_add_co_u32_e32 v41, vcc, 24, v8
	v_addc_co_u32_e32 v42, vcc, 0, v9, vcc
	v_mul_lo_u32 v44, s15, v41
	v_mul_lo_u32 v45, s14, v42
	v_mad_u64_u32 v[41:42], s[10:11], s14, v41, 0
	v_mov_b32_e32 v43, s19
	v_add_co_u32_e32 v39, vcc, s18, v39
	v_add3_u32 v42, v42, v45, v44
	v_addc_co_u32_e32 v40, vcc, v43, v40, vcc
	v_lshlrev_b64 v[43:44], 1, v[41:42]
	v_mov_b32_e32 v42, s17
	v_add_co_u32_e32 v41, vcc, s16, v43
	v_addc_co_u32_e32 v42, vcc, v42, v44, vcc
	v_add_co_u32_e32 v45, vcc, 23, v8
	v_addc_co_u32_e32 v46, vcc, 0, v9, vcc
	v_mul_lo_u32 v48, s15, v45
	v_mul_lo_u32 v49, s14, v46
	v_mad_u64_u32 v[45:46], s[10:11], s14, v45, 0
	v_mov_b32_e32 v47, s19
	v_add_co_u32_e32 v43, vcc, s18, v43
	v_add3_u32 v46, v46, v49, v48
	v_addc_co_u32_e32 v44, vcc, v47, v44, vcc
	v_lshlrev_b64 v[47:48], 1, v[45:46]
	v_mov_b32_e32 v46, s17
	v_add_co_u32_e32 v45, vcc, s16, v47
	v_addc_co_u32_e32 v46, vcc, v46, v48, vcc
	v_add_co_u32_e32 v49, vcc, 22, v8
	v_addc_co_u32_e32 v50, vcc, 0, v9, vcc
	v_mul_lo_u32 v52, s15, v49
	v_mul_lo_u32 v53, s14, v50
	v_mad_u64_u32 v[49:50], s[10:11], s14, v49, 0
	v_mov_b32_e32 v51, s19
	v_add_co_u32_e32 v47, vcc, s18, v47
	v_add3_u32 v50, v50, v53, v52
	v_addc_co_u32_e32 v48, vcc, v51, v48, vcc
	v_lshlrev_b64 v[51:52], 1, v[49:50]
	v_mov_b32_e32 v50, s17
	v_add_co_u32_e32 v49, vcc, s16, v51
	v_addc_co_u32_e32 v50, vcc, v50, v52, vcc
	v_add_co_u32_e32 v53, vcc, 21, v8
	v_addc_co_u32_e32 v54, vcc, 0, v9, vcc
	v_mul_lo_u32 v56, s15, v53
	v_mul_lo_u32 v57, s14, v54
	v_mad_u64_u32 v[53:54], s[10:11], s14, v53, 0
	v_mov_b32_e32 v55, s19
	v_add_co_u32_e32 v51, vcc, s18, v51
	v_add3_u32 v54, v54, v57, v56
	v_addc_co_u32_e32 v52, vcc, v55, v52, vcc
	v_lshlrev_b64 v[55:56], 1, v[53:54]
	v_mov_b32_e32 v54, s17
	v_add_co_u32_e32 v53, vcc, s16, v55
	v_addc_co_u32_e32 v54, vcc, v54, v56, vcc
	v_add_co_u32_e32 v57, vcc, 20, v8
	v_addc_co_u32_e32 v58, vcc, 0, v9, vcc
	v_mul_lo_u32 v60, s15, v57
	v_mul_lo_u32 v61, s14, v58
	v_mad_u64_u32 v[57:58], s[10:11], s14, v57, 0
	v_mov_b32_e32 v59, s19
	v_add_co_u32_e32 v55, vcc, s18, v55
	v_add3_u32 v58, v58, v61, v60
	v_addc_co_u32_e32 v56, vcc, v59, v56, vcc
	v_lshlrev_b64 v[59:60], 1, v[57:58]
	v_mov_b32_e32 v58, s17
	v_add_co_u32_e32 v57, vcc, s16, v59
	v_addc_co_u32_e32 v58, vcc, v58, v60, vcc
	v_add_co_u32_e32 v61, vcc, 19, v8
	v_addc_co_u32_e32 v62, vcc, 0, v9, vcc
	v_mul_lo_u32 v64, s15, v61
	v_mul_lo_u32 v65, s14, v62
	v_mad_u64_u32 v[61:62], s[10:11], s14, v61, 0
	v_mov_b32_e32 v63, s19
	v_add_co_u32_e32 v59, vcc, s18, v59
	v_add3_u32 v62, v62, v65, v64
	v_addc_co_u32_e32 v60, vcc, v63, v60, vcc
	v_lshlrev_b64 v[63:64], 1, v[61:62]
	v_mov_b32_e32 v62, s17
	v_add_co_u32_e32 v61, vcc, s16, v63
	v_addc_co_u32_e32 v62, vcc, v62, v64, vcc
	v_add_co_u32_e32 v65, vcc, 18, v8
	v_addc_co_u32_e32 v66, vcc, 0, v9, vcc
	v_mul_lo_u32 v68, s15, v65
	v_mul_lo_u32 v69, s14, v66
	v_mad_u64_u32 v[65:66], s[10:11], s14, v65, 0
	v_mov_b32_e32 v67, s19
	v_add_co_u32_e32 v63, vcc, s18, v63
	v_add3_u32 v66, v66, v69, v68
	v_addc_co_u32_e32 v64, vcc, v67, v64, vcc
	v_lshlrev_b64 v[67:68], 1, v[65:66]
	v_mov_b32_e32 v66, s17
	v_add_co_u32_e32 v65, vcc, s16, v67
	v_addc_co_u32_e32 v66, vcc, v66, v68, vcc
	v_add_co_u32_e32 v69, vcc, 17, v8
	v_addc_co_u32_e32 v70, vcc, 0, v9, vcc
	v_mul_lo_u32 v72, s15, v69
	v_mul_lo_u32 v73, s14, v70
	v_mad_u64_u32 v[69:70], s[10:11], s14, v69, 0
	v_mov_b32_e32 v71, s19
	v_add_co_u32_e32 v67, vcc, s18, v67
	v_add3_u32 v70, v70, v73, v72
	v_addc_co_u32_e32 v68, vcc, v71, v68, vcc
	v_lshlrev_b64 v[71:72], 1, v[69:70]
	v_mov_b32_e32 v70, s17
	v_add_co_u32_e32 v69, vcc, s16, v71
	v_addc_co_u32_e32 v70, vcc, v70, v72, vcc
	v_add_co_u32_e32 v73, vcc, 16, v8
	v_addc_co_u32_e32 v74, vcc, 0, v9, vcc
	v_mul_lo_u32 v76, s15, v73
	v_mul_lo_u32 v77, s14, v74
	v_mad_u64_u32 v[73:74], s[10:11], s14, v73, 0
	v_mov_b32_e32 v75, s19
	v_add_co_u32_e32 v71, vcc, s18, v71
	v_add3_u32 v74, v74, v77, v76
	v_addc_co_u32_e32 v72, vcc, v75, v72, vcc
	v_lshlrev_b64 v[75:76], 1, v[73:74]
	v_mov_b32_e32 v74, s17
	v_add_co_u32_e32 v73, vcc, s16, v75
	v_addc_co_u32_e32 v74, vcc, v74, v76, vcc
	v_add_co_u32_e32 v77, vcc, 15, v8
	v_addc_co_u32_e32 v78, vcc, 0, v9, vcc
	v_mul_lo_u32 v80, s15, v77
	v_mul_lo_u32 v81, s14, v78
	v_mad_u64_u32 v[77:78], s[10:11], s14, v77, 0
	v_mov_b32_e32 v79, s19
	v_add_co_u32_e32 v75, vcc, s18, v75
	v_add3_u32 v78, v78, v81, v80
	v_addc_co_u32_e32 v76, vcc, v79, v76, vcc
	v_lshlrev_b64 v[79:80], 1, v[77:78]
	v_mov_b32_e32 v78, s17
	v_add_co_u32_e32 v77, vcc, s16, v79
	v_addc_co_u32_e32 v78, vcc, v78, v80, vcc
	v_add_co_u32_e32 v81, vcc, 14, v8
	v_addc_co_u32_e32 v82, vcc, 0, v9, vcc
	v_mul_lo_u32 v84, s15, v81
	v_mul_lo_u32 v85, s14, v82
	v_mad_u64_u32 v[81:82], s[10:11], s14, v81, 0
	v_mov_b32_e32 v83, s19
	v_add_co_u32_e32 v79, vcc, s18, v79
	v_add3_u32 v82, v82, v85, v84
	v_addc_co_u32_e32 v80, vcc, v83, v80, vcc
	v_lshlrev_b64 v[83:84], 1, v[81:82]
	v_mov_b32_e32 v82, s17
	v_add_co_u32_e32 v81, vcc, s16, v83
	v_addc_co_u32_e32 v82, vcc, v82, v84, vcc
	v_add_co_u32_e32 v85, vcc, 13, v8
	v_addc_co_u32_e32 v86, vcc, 0, v9, vcc
	v_mul_lo_u32 v88, s15, v85
	v_mul_lo_u32 v89, s14, v86
	v_mad_u64_u32 v[85:86], s[10:11], s14, v85, 0
	v_mov_b32_e32 v87, s19
	v_add_co_u32_e32 v83, vcc, s18, v83
	v_add3_u32 v86, v86, v89, v88
	v_addc_co_u32_e32 v84, vcc, v87, v84, vcc
	v_lshlrev_b64 v[87:88], 1, v[85:86]
	v_mov_b32_e32 v86, s17
	v_add_co_u32_e32 v85, vcc, s16, v87
	v_addc_co_u32_e32 v86, vcc, v86, v88, vcc
	v_add_co_u32_e32 v89, vcc, 12, v8
	v_addc_co_u32_e32 v90, vcc, 0, v9, vcc
	v_mul_lo_u32 v92, s15, v89
	v_mul_lo_u32 v93, s14, v90
	v_mad_u64_u32 v[89:90], s[10:11], s14, v89, 0
	v_mov_b32_e32 v91, s19
	v_add_co_u32_e32 v87, vcc, s18, v87
	v_add3_u32 v90, v90, v93, v92
	v_addc_co_u32_e32 v88, vcc, v91, v88, vcc
	v_lshlrev_b64 v[91:92], 1, v[89:90]
	v_mov_b32_e32 v90, s17
	v_add_co_u32_e32 v89, vcc, s16, v91
	v_addc_co_u32_e32 v90, vcc, v90, v92, vcc
	v_add_co_u32_e32 v93, vcc, 11, v8
	v_addc_co_u32_e32 v94, vcc, 0, v9, vcc
	v_mul_lo_u32 v96, s15, v93
	v_mul_lo_u32 v97, s14, v94
	v_mad_u64_u32 v[93:94], s[10:11], s14, v93, 0
	v_mov_b32_e32 v95, s19
	v_add_co_u32_e32 v91, vcc, s18, v91
	v_add3_u32 v94, v94, v97, v96
	v_addc_co_u32_e32 v92, vcc, v95, v92, vcc
	v_lshlrev_b64 v[95:96], 1, v[93:94]
	v_mov_b32_e32 v94, s17
	v_add_co_u32_e32 v93, vcc, s16, v95
	v_addc_co_u32_e32 v94, vcc, v94, v96, vcc
	v_add_co_u32_e32 v97, vcc, 10, v8
	v_addc_co_u32_e32 v98, vcc, 0, v9, vcc
	v_mul_lo_u32 v100, s15, v97
	v_mul_lo_u32 v101, s14, v98
	v_mad_u64_u32 v[97:98], s[10:11], s14, v97, 0
	v_mov_b32_e32 v99, s19
	v_add_co_u32_e32 v95, vcc, s18, v95
	v_add3_u32 v98, v98, v101, v100
	v_addc_co_u32_e32 v96, vcc, v99, v96, vcc
	v_lshlrev_b64 v[99:100], 1, v[97:98]
	v_mov_b32_e32 v98, s17
	v_add_co_u32_e32 v97, vcc, s16, v99
	v_addc_co_u32_e32 v98, vcc, v98, v100, vcc
	v_add_co_u32_e32 v101, vcc, 9, v8
	v_addc_co_u32_e32 v102, vcc, 0, v9, vcc
	v_mul_lo_u32 v104, s15, v101
	v_mul_lo_u32 v105, s14, v102
	v_mad_u64_u32 v[101:102], s[10:11], s14, v101, 0
	v_mov_b32_e32 v103, s19
	v_add_co_u32_e32 v99, vcc, s18, v99
	v_add3_u32 v102, v102, v105, v104
	v_addc_co_u32_e32 v100, vcc, v103, v100, vcc
	v_lshlrev_b64 v[103:104], 1, v[101:102]
	v_mov_b32_e32 v102, s17
	v_add_co_u32_e32 v101, vcc, s16, v103
	v_addc_co_u32_e32 v102, vcc, v102, v104, vcc
	v_add_co_u32_e32 v105, vcc, 8, v8
	v_addc_co_u32_e32 v106, vcc, 0, v9, vcc
	v_mul_lo_u32 v108, s15, v105
	v_mul_lo_u32 v109, s14, v106
	v_mad_u64_u32 v[105:106], s[10:11], s14, v105, 0
	v_mov_b32_e32 v107, s19
	v_add_co_u32_e32 v103, vcc, s18, v103
	v_add3_u32 v106, v106, v109, v108
	v_addc_co_u32_e32 v104, vcc, v107, v104, vcc
	v_lshlrev_b64 v[107:108], 1, v[105:106]
	v_mov_b32_e32 v106, s17
	v_add_co_u32_e32 v105, vcc, s16, v107
	v_addc_co_u32_e32 v106, vcc, v106, v108, vcc
	v_add_co_u32_e32 v109, vcc, 7, v8
	v_addc_co_u32_e32 v110, vcc, 0, v9, vcc
	v_mul_lo_u32 v112, s15, v109
	v_mul_lo_u32 v113, s14, v110
	v_mad_u64_u32 v[109:110], s[10:11], s14, v109, 0
	v_mov_b32_e32 v111, s19
	v_add_co_u32_e32 v107, vcc, s18, v107
	v_add3_u32 v110, v110, v113, v112
	v_addc_co_u32_e32 v108, vcc, v111, v108, vcc
	v_lshlrev_b64 v[111:112], 1, v[109:110]
	v_mov_b32_e32 v110, s17
	v_add_co_u32_e32 v109, vcc, s16, v111
	v_addc_co_u32_e32 v110, vcc, v110, v112, vcc
	v_add_co_u32_e32 v113, vcc, 6, v8
	v_addc_co_u32_e32 v114, vcc, 0, v9, vcc
	v_mul_lo_u32 v116, s15, v113
	v_mul_lo_u32 v117, s14, v114
	v_mad_u64_u32 v[113:114], s[10:11], s14, v113, 0
	v_mov_b32_e32 v115, s19
	v_add_co_u32_e32 v111, vcc, s18, v111
	v_add3_u32 v114, v114, v117, v116
	v_addc_co_u32_e32 v112, vcc, v115, v112, vcc
	v_lshlrev_b64 v[115:116], 1, v[113:114]
	v_mov_b32_e32 v114, s17
	v_add_co_u32_e32 v113, vcc, s16, v115
	v_addc_co_u32_e32 v114, vcc, v114, v116, vcc
	v_add_co_u32_e32 v117, vcc, 5, v8
	v_addc_co_u32_e32 v118, vcc, 0, v9, vcc
	v_mul_lo_u32 v120, s15, v117
	v_mul_lo_u32 v121, s14, v118
	v_mad_u64_u32 v[117:118], s[10:11], s14, v117, 0
	v_mov_b32_e32 v119, s19
	v_add_co_u32_e32 v115, vcc, s18, v115
	v_add3_u32 v118, v118, v121, v120
	v_addc_co_u32_e32 v116, vcc, v119, v116, vcc
	v_lshlrev_b64 v[119:120], 1, v[117:118]
	v_mov_b32_e32 v118, s17
	v_add_co_u32_e32 v117, vcc, s16, v119
	v_addc_co_u32_e32 v118, vcc, v118, v120, vcc
	v_add_co_u32_e32 v121, vcc, 4, v8
	v_addc_co_u32_e32 v122, vcc, 0, v9, vcc
	v_mul_lo_u32 v124, s15, v121
	v_mul_lo_u32 v125, s14, v122
	v_mad_u64_u32 v[121:122], s[10:11], s14, v121, 0
	v_mov_b32_e32 v123, s19
	v_add_co_u32_e32 v119, vcc, s18, v119
	v_add3_u32 v122, v122, v125, v124
	v_addc_co_u32_e32 v120, vcc, v123, v120, vcc
	v_lshlrev_b64 v[123:124], 1, v[121:122]
	v_mov_b32_e32 v122, s17
	v_add_co_u32_e32 v121, vcc, s16, v123
	v_addc_co_u32_e32 v122, vcc, v122, v124, vcc
	v_add_co_u32_e32 v125, vcc, 3, v8
	v_addc_co_u32_e32 v126, vcc, 0, v9, vcc
	v_mul_lo_u32 v128, s15, v125
	v_mul_lo_u32 v129, s14, v126
	v_mad_u64_u32 v[125:126], s[10:11], s14, v125, 0
	v_mov_b32_e32 v127, s19
	v_add_co_u32_e32 v123, vcc, s18, v123
	v_add3_u32 v126, v126, v129, v128
	v_addc_co_u32_e32 v124, vcc, v127, v124, vcc
	v_lshlrev_b64 v[127:128], 1, v[125:126]
	v_mov_b32_e32 v126, s17
	v_add_co_u32_e32 v125, vcc, s16, v127
	v_addc_co_u32_e32 v126, vcc, v126, v128, vcc
	v_add_co_u32_e32 v8, vcc, 2, v8
	v_addc_co_u32_e32 v9, vcc, 0, v9, vcc
	v_mul_lo_u32 v130, s15, v8
	v_mul_lo_u32 v131, s14, v9
	v_mad_u64_u32 v[8:9], s[10:11], s14, v8, 0
	v_mov_b32_e32 v129, s19
	v_add_co_u32_e32 v127, vcc, s18, v127
	v_add3_u32 v9, v9, v131, v130
	v_lshlrev_b64 v[8:9], 1, v[8:9]
	v_addc_co_u32_e32 v128, vcc, v129, v128, vcc
	v_mov_b32_e32 v130, s17
	v_add_co_u32_e32 v129, vcc, s16, v8
	v_addc_co_u32_e32 v131, vcc, v130, v9, vcc
	v_mov_b32_e32 v130, s19
	v_add_co_u32_e32 v132, vcc, s18, v8
	;; [unrolled: 3-line block ×3, first 2 shown]
	v_addc_co_u32_e32 v7, vcc, v7, v8, vcc
	v_lshlrev_b64 v[6:7], 1, v[6:7]
	v_mov_b32_e32 v8, s17
	v_add_co_u32_e32 v135, vcc, s16, v6
	v_addc_co_u32_e32 v136, vcc, v8, v7, vcc
	v_add_co_u32_e32 v137, vcc, s18, v6
	v_mbcnt_lo_u32_b32 v6, -1, 0
	v_mbcnt_hi_u32_b32 v6, -1, v6
	v_mov_b32_e32 v8, s19
	v_lshlrev_b32_e32 v6, 2, v6
	v_mov_b32_e32 v209, v3
	s_mov_b64 s[30:31], 31
	v_addc_co_u32_e32 v138, vcc, v8, v7, vcc
	v_and_b32_e32 v139, 0x100, v6
	v_mov_b32_e32 v133, 0
	v_mov_b32_e32 v140, 0
	s_mov_b64 s[34:35], s[24:25]
.LBB84_3:                               ; =>This Inner Loop Header: Depth=1
	s_add_u32 s10, s24, s30
	v_mov_b32_e32 v6, s12
	s_addc_u32 s11, 0, s31
	v_mov_b32_e32 v7, s13
	v_cmp_ge_i64_e32 vcc, s[10:11], v[6:7]
	v_add_co_u32_e64 v6, s[10:11], s24, v210
	v_addc_co_u32_e64 v7, s[10:11], 0, v209, s[10:11]
	s_mov_b64 s[10:11], -1
	s_and_b64 vcc, exec, vcc
                                        ; implicit-def: $vgpr8
                                        ; implicit-def: $vgpr165
                                        ; implicit-def: $vgpr169
                                        ; implicit-def: $vgpr9
                                        ; implicit-def: $vgpr130
                                        ; implicit-def: $vgpr141
	s_cbranch_vccz .LBB84_73
; %bb.4:                                ;   in Loop: Header=BB84_3 Depth=1
	s_load_dword s10, s[26:27], 0xc
	v_mov_b32_e32 v130, 0
	v_mov_b32_e32 v141, 0
	;; [unrolled: 1-line block ×3, first 2 shown]
	s_waitcnt lgkmcnt(0)
	s_and_b32 s10, s10, 0xffff
	v_mad_u32_u24 v8, v1, s10, v0
	v_and_b32_e32 v8, 63, v8
	v_cmp_gt_u32_e32 vcc, 32, v8
	s_and_saveexec_b64 s[10:11], vcc
	s_cbranch_execz .LBB84_8
; %bb.5:                                ;   in Loop: Header=BB84_3 Depth=1
	v_add_co_u32_e32 v8, vcc, v6, v8
	v_addc_co_u32_e32 v9, vcc, 0, v7, vcc
	v_cmp_gt_i64_e32 vcc, s[12:13], v[8:9]
	v_mov_b32_e32 v142, 0
	v_mov_b32_e32 v141, 0
	s_and_saveexec_b64 s[36:37], vcc
	s_cbranch_execz .LBB84_7
; %bb.6:                                ;   in Loop: Header=BB84_3 Depth=1
	v_lshlrev_b64 v[8:9], 2, v[8:9]
	v_mov_b32_e32 v141, s23
	v_add_co_u32_e32 v143, vcc, s22, v8
	v_addc_co_u32_e32 v144, vcc, v141, v9, vcc
	v_mov_b32_e32 v141, s21
	v_add_co_u32_e32 v8, vcc, s20, v8
	v_addc_co_u32_e32 v9, vcc, v141, v9, vcc
	global_load_dword v142, v[8:9], off
	global_load_dword v141, v[143:144], off
.LBB84_7:                               ;   in Loop: Header=BB84_3 Depth=1
	s_or_b64 exec, exec, s[36:37]
.LBB84_8:                               ;   in Loop: Header=BB84_3 Depth=1
	s_or_b64 exec, exec, s[10:11]
	v_cmp_gt_i64_e32 vcc, s[12:13], v[6:7]
	v_mov_b32_e32 v8, 0
	s_and_b64 s[36:37], s[2:3], vcc
	s_and_saveexec_b64 s[10:11], s[36:37]
	s_cbranch_execz .LBB84_10
; %bb.9:                                ;   in Loop: Header=BB84_3 Depth=1
	v_add_co_u32_e32 v8, vcc, v2, v4
	v_addc_co_u32_e32 v9, vcc, v10, v5, vcc
	global_load_ushort v130, v[8:9], off
	v_add_co_u32_e32 v8, vcc, v11, v4
	v_addc_co_u32_e32 v9, vcc, v12, v5, vcc
	global_load_ushort v8, v[8:9], off
	s_waitcnt vmcnt(1)
	v_cvt_f32_f16_e32 v130, v130
	s_waitcnt vmcnt(0)
	v_cvt_f32_f16_e32 v8, v8
.LBB84_10:                              ;   in Loop: Header=BB84_3 Depth=1
	s_or_b64 exec, exec, s[10:11]
	v_add_co_u32_e32 v143, vcc, 1, v6
	v_addc_co_u32_e32 v144, vcc, 0, v7, vcc
	v_cmp_gt_i64_e32 vcc, s[12:13], v[143:144]
	v_mov_b32_e32 v9, 0
	s_and_b64 s[36:37], s[2:3], vcc
	v_mov_b32_e32 v143, 0
	v_mov_b32_e32 v144, 0
	s_and_saveexec_b64 s[10:11], s[36:37]
	s_cbranch_execz .LBB84_12
; %bb.11:                               ;   in Loop: Header=BB84_3 Depth=1
	v_add_co_u32_e32 v143, vcc, v135, v4
	v_addc_co_u32_e32 v144, vcc, v136, v5, vcc
	global_load_ushort v145, v[143:144], off
	v_add_co_u32_e32 v143, vcc, v137, v4
	v_addc_co_u32_e32 v144, vcc, v138, v5, vcc
	global_load_ushort v144, v[143:144], off
	s_waitcnt vmcnt(1)
	v_cvt_f32_f16_e32 v143, v145
	s_waitcnt vmcnt(0)
	v_cvt_f32_f16_e32 v144, v144
.LBB84_12:                              ;   in Loop: Header=BB84_3 Depth=1
	s_or_b64 exec, exec, s[10:11]
	v_add_co_u32_e32 v145, vcc, 2, v6
	v_addc_co_u32_e32 v146, vcc, 0, v7, vcc
	v_cmp_gt_i64_e32 vcc, s[12:13], v[145:146]
	v_mov_b32_e32 v146, 0
	s_and_b64 s[36:37], s[2:3], vcc
	s_and_saveexec_b64 s[10:11], s[36:37]
	s_cbranch_execz .LBB84_14
; %bb.13:                               ;   in Loop: Header=BB84_3 Depth=1
	v_add_co_u32_e32 v145, vcc, v129, v4
	v_addc_co_u32_e32 v146, vcc, v131, v5, vcc
	global_load_ushort v9, v[145:146], off
	v_add_co_u32_e32 v145, vcc, v132, v4
	v_addc_co_u32_e32 v146, vcc, v134, v5, vcc
	global_load_ushort v145, v[145:146], off
	s_waitcnt vmcnt(1)
	v_cvt_f32_f16_e32 v9, v9
	s_waitcnt vmcnt(0)
	v_cvt_f32_f16_e32 v146, v145
.LBB84_14:                              ;   in Loop: Header=BB84_3 Depth=1
	s_or_b64 exec, exec, s[10:11]
	v_add_co_u32_e32 v147, vcc, 3, v6
	v_addc_co_u32_e32 v148, vcc, 0, v7, vcc
	v_cmp_gt_i64_e32 vcc, s[12:13], v[147:148]
	v_mov_b32_e32 v145, 0
	s_and_b64 s[36:37], s[2:3], vcc
	v_mov_b32_e32 v147, 0
	v_mov_b32_e32 v148, 0
	s_and_saveexec_b64 s[10:11], s[36:37]
	s_cbranch_execz .LBB84_16
; %bb.15:                               ;   in Loop: Header=BB84_3 Depth=1
	v_add_co_u32_e32 v147, vcc, v125, v4
	v_addc_co_u32_e32 v148, vcc, v126, v5, vcc
	global_load_ushort v149, v[147:148], off
	v_add_co_u32_e32 v147, vcc, v127, v4
	v_addc_co_u32_e32 v148, vcc, v128, v5, vcc
	global_load_ushort v148, v[147:148], off
	s_waitcnt vmcnt(1)
	v_cvt_f32_f16_e32 v147, v149
	s_waitcnt vmcnt(0)
	v_cvt_f32_f16_e32 v148, v148
.LBB84_16:                              ;   in Loop: Header=BB84_3 Depth=1
	s_or_b64 exec, exec, s[10:11]
	v_add_co_u32_e32 v149, vcc, 4, v6
	v_addc_co_u32_e32 v150, vcc, 0, v7, vcc
	v_cmp_gt_i64_e32 vcc, s[12:13], v[149:150]
	v_mov_b32_e32 v150, 0
	s_and_b64 s[36:37], s[2:3], vcc
	s_and_saveexec_b64 s[10:11], s[36:37]
	s_cbranch_execz .LBB84_18
; %bb.17:                               ;   in Loop: Header=BB84_3 Depth=1
	v_add_co_u32_e32 v149, vcc, v121, v4
	v_addc_co_u32_e32 v150, vcc, v122, v5, vcc
	global_load_ushort v145, v[149:150], off
	v_add_co_u32_e32 v149, vcc, v123, v4
	v_addc_co_u32_e32 v150, vcc, v124, v5, vcc
	global_load_ushort v149, v[149:150], off
	s_waitcnt vmcnt(1)
	v_cvt_f32_f16_e32 v145, v145
	s_waitcnt vmcnt(0)
	v_cvt_f32_f16_e32 v150, v149
.LBB84_18:                              ;   in Loop: Header=BB84_3 Depth=1
	;; [unrolled: 42-line block ×15, first 2 shown]
	s_or_b64 exec, exec, s[10:11]
	v_add_co_u32_e32 v204, vcc, 31, v6
	v_addc_co_u32_e32 v205, vcc, 0, v7, vcc
	v_cmp_gt_i64_e32 vcc, s[12:13], v[204:205]
	v_mov_b32_e32 v165, 0
	s_and_b64 s[36:37], s[2:3], vcc
	v_mov_b32_e32 v169, 0
	s_and_saveexec_b64 s[10:11], s[36:37]
	s_cbranch_execz .LBB84_72
; %bb.71:                               ;   in Loop: Header=BB84_3 Depth=1
	v_add_co_u32_e32 v204, vcc, v13, v4
	v_addc_co_u32_e32 v205, vcc, v14, v5, vcc
	global_load_ushort v165, v[204:205], off
	v_add_co_u32_e32 v204, vcc, v15, v4
	v_addc_co_u32_e32 v205, vcc, v16, v5, vcc
	global_load_ushort v169, v[204:205], off
	s_waitcnt vmcnt(1)
	v_cvt_f32_f16_e32 v165, v165
	s_waitcnt vmcnt(0)
	v_cvt_f32_f16_e32 v169, v169
.LBB84_72:                              ;   in Loop: Header=BB84_3 Depth=1
	s_or_b64 exec, exec, s[10:11]
	s_waitcnt vmcnt(1)
	ds_bpermute_b32 v204, v139, v142
	s_waitcnt vmcnt(0)
	ds_bpermute_b32 v205, v139, v141
	ds_bpermute_b32 v207, v139, v142 offset:4
	ds_bpermute_b32 v208, v139, v141 offset:4
	v_add_f32_e32 v206, v133, v130
	s_waitcnt lgkmcnt(3)
	v_sub_f32_e32 v8, v8, v204
	v_mul_f32_e32 v8, v130, v8
	s_waitcnt lgkmcnt(2)
	v_fma_f32 v130, v8, v205, v140
	s_waitcnt lgkmcnt(1)
	v_sub_f32_e32 v8, v144, v207
	ds_bpermute_b32 v144, v139, v142 offset:8
	v_mul_f32_e32 v8, v143, v8
	s_waitcnt lgkmcnt(1)
	v_fmac_f32_e32 v130, v8, v208
	ds_bpermute_b32 v8, v139, v141 offset:8
	v_add_f32_e32 v143, v206, v143
	s_waitcnt lgkmcnt(1)
	v_sub_f32_e32 v144, v146, v144
	ds_bpermute_b32 v146, v139, v142 offset:12
	v_mul_f32_e32 v144, v9, v144
	s_waitcnt lgkmcnt(1)
	v_fmac_f32_e32 v130, v144, v8
	ds_bpermute_b32 v8, v139, v141 offset:12
	ds_bpermute_b32 v144, v139, v142 offset:16
	v_add_f32_e32 v9, v143, v9
	s_waitcnt lgkmcnt(2)
	v_sub_f32_e32 v143, v148, v146
	v_mul_f32_e32 v143, v147, v143
	s_waitcnt lgkmcnt(1)
	v_fmac_f32_e32 v130, v143, v8
	ds_bpermute_b32 v8, v139, v141 offset:16
	s_waitcnt lgkmcnt(1)
	v_sub_f32_e32 v143, v150, v144
	ds_bpermute_b32 v144, v139, v142 offset:20
	v_mul_f32_e32 v143, v145, v143
	v_add_f32_e32 v9, v9, v147
	s_waitcnt lgkmcnt(1)
	v_fmac_f32_e32 v130, v143, v8
	ds_bpermute_b32 v8, v139, v141 offset:20
	s_waitcnt lgkmcnt(1)
	v_sub_f32_e32 v143, v152, v144
	ds_bpermute_b32 v144, v139, v142 offset:24
	v_mul_f32_e32 v143, v151, v143
	v_add_f32_e32 v9, v9, v145
	;; [unrolled: 8-line block ×25, first 2 shown]
	s_waitcnt lgkmcnt(1)
	v_fmac_f32_e32 v130, v143, v8
	ds_bpermute_b32 v8, v139, v141 offset:116
	s_waitcnt lgkmcnt(1)
	v_sub_f32_e32 v143, v202, v144
	ds_bpermute_b32 v144, v139, v142 offset:120
	v_add_f32_e32 v9, v9, v195
	v_mul_f32_e32 v143, v201, v143
	ds_bpermute_b32 v145, v139, v141 offset:120
	s_waitcnt lgkmcnt(2)
	v_fmac_f32_e32 v130, v143, v8
	v_add_f32_e32 v143, v9, v201
	ds_bpermute_b32 v8, v139, v141 offset:124
	ds_bpermute_b32 v9, v139, v142 offset:124
	s_waitcnt lgkmcnt(3)
	v_sub_f32_e32 v144, v203, v144
	v_mul_f32_e32 v141, v200, v144
	s_waitcnt lgkmcnt(2)
	v_fmac_f32_e32 v130, v141, v145
	v_add_f32_e32 v141, v143, v200
	s_mov_b64 s[10:11], 0
.LBB84_73:                              ;   in Loop: Header=BB84_3 Depth=1
	s_and_b64 vcc, exec, s[10:11]
	s_cbranch_vccz .LBB84_143
; %bb.74:                               ;   in Loop: Header=BB84_3 Depth=1
	s_load_dword s10, s[26:27], 0x0
	v_mov_b32_e32 v130, 0
	s_waitcnt lgkmcnt(0)
	v_mov_b32_e32 v8, 0
	s_cmp_lt_u32 s6, s10
	s_cselect_b32 s10, 12, 18
	s_add_u32 s10, s26, s10
	s_addc_u32 s11, s27, 0
	global_load_ushort v9, v3, s[10:11]
	s_waitcnt vmcnt(0)
	v_mad_u32_u24 v9, v1, v9, v0
	v_and_b32_e32 v141, 63, v9
	v_cmp_gt_u32_e32 vcc, 32, v141
	v_mov_b32_e32 v9, 0
	s_and_saveexec_b64 s[10:11], vcc
	s_cbranch_execz .LBB84_78
; %bb.75:                               ;   in Loop: Header=BB84_3 Depth=1
	v_add_co_u32_e32 v6, vcc, v6, v141
	v_addc_co_u32_e32 v7, vcc, 0, v7, vcc
	v_cmp_gt_i64_e32 vcc, s[12:13], v[6:7]
	v_mov_b32_e32 v9, 0
	v_mov_b32_e32 v8, 0
	s_and_saveexec_b64 s[36:37], vcc
	s_cbranch_execz .LBB84_77
; %bb.76:                               ;   in Loop: Header=BB84_3 Depth=1
	v_lshlrev_b64 v[6:7], 2, v[6:7]
	v_mov_b32_e32 v8, s23
	v_add_co_u32_e32 v141, vcc, s22, v6
	v_addc_co_u32_e32 v142, vcc, v8, v7, vcc
	v_mov_b32_e32 v8, s21
	v_add_co_u32_e32 v6, vcc, s20, v6
	v_addc_co_u32_e32 v7, vcc, v8, v7, vcc
	global_load_dword v9, v[6:7], off
	global_load_dword v8, v[141:142], off
.LBB84_77:                              ;   in Loop: Header=BB84_3 Depth=1
	s_or_b64 exec, exec, s[36:37]
.LBB84_78:                              ;   in Loop: Header=BB84_3 Depth=1
	s_or_b64 exec, exec, s[10:11]
	v_mov_b32_e32 v6, 0
	v_mov_b32_e32 v7, 0
	s_and_saveexec_b64 s[10:11], s[2:3]
	s_cbranch_execz .LBB84_80
; %bb.79:                               ;   in Loop: Header=BB84_3 Depth=1
	v_add_co_u32_e32 v6, vcc, v2, v4
	v_addc_co_u32_e32 v7, vcc, v10, v5, vcc
	global_load_ushort v141, v[6:7], off
	v_add_co_u32_e32 v6, vcc, v11, v4
	v_addc_co_u32_e32 v7, vcc, v12, v5, vcc
	global_load_ushort v7, v[6:7], off
	s_waitcnt vmcnt(1)
	v_cvt_f32_f16_e32 v6, v141
	s_waitcnt vmcnt(0)
	v_cvt_f32_f16_e32 v7, v7
.LBB84_80:                              ;   in Loop: Header=BB84_3 Depth=1
	s_or_b64 exec, exec, s[10:11]
	v_mov_b32_e32 v142, 0
	s_and_saveexec_b64 s[10:11], s[2:3]
	s_cbranch_execz .LBB84_82
; %bb.81:                               ;   in Loop: Header=BB84_3 Depth=1
	v_add_co_u32_e32 v141, vcc, v135, v4
	v_addc_co_u32_e32 v142, vcc, v136, v5, vcc
	global_load_ushort v130, v[141:142], off
	v_add_co_u32_e32 v141, vcc, v137, v4
	v_addc_co_u32_e32 v142, vcc, v138, v5, vcc
	global_load_ushort v141, v[141:142], off
	s_waitcnt vmcnt(1)
	v_cvt_f32_f16_e32 v130, v130
	s_waitcnt vmcnt(0)
	v_cvt_f32_f16_e32 v142, v141
.LBB84_82:                              ;   in Loop: Header=BB84_3 Depth=1
	s_or_b64 exec, exec, s[10:11]
	v_mov_b32_e32 v141, 0
	v_mov_b32_e32 v143, 0
	v_mov_b32_e32 v144, 0
	s_and_saveexec_b64 s[10:11], s[2:3]
	s_cbranch_execz .LBB84_84
; %bb.83:                               ;   in Loop: Header=BB84_3 Depth=1
	v_add_co_u32_e32 v143, vcc, v129, v4
	v_addc_co_u32_e32 v144, vcc, v131, v5, vcc
	global_load_ushort v145, v[143:144], off
	v_add_co_u32_e32 v143, vcc, v132, v4
	v_addc_co_u32_e32 v144, vcc, v134, v5, vcc
	global_load_ushort v144, v[143:144], off
	s_waitcnt vmcnt(1)
	v_cvt_f32_f16_e32 v143, v145
	s_waitcnt vmcnt(0)
	v_cvt_f32_f16_e32 v144, v144
.LBB84_84:                              ;   in Loop: Header=BB84_3 Depth=1
	s_or_b64 exec, exec, s[10:11]
	v_mov_b32_e32 v146, 0
	s_and_saveexec_b64 s[10:11], s[2:3]
	s_cbranch_execz .LBB84_86
; %bb.85:                               ;   in Loop: Header=BB84_3 Depth=1
	v_add_co_u32_e32 v145, vcc, v125, v4
	v_addc_co_u32_e32 v146, vcc, v126, v5, vcc
	global_load_ushort v141, v[145:146], off
	v_add_co_u32_e32 v145, vcc, v127, v4
	v_addc_co_u32_e32 v146, vcc, v128, v5, vcc
	global_load_ushort v145, v[145:146], off
	s_waitcnt vmcnt(1)
	v_cvt_f32_f16_e32 v141, v141
	s_waitcnt vmcnt(0)
	v_cvt_f32_f16_e32 v146, v145
.LBB84_86:                              ;   in Loop: Header=BB84_3 Depth=1
	s_or_b64 exec, exec, s[10:11]
	v_mov_b32_e32 v145, 0
	;; [unrolled: 34-line block ×5, first 2 shown]
	v_mov_b32_e32 v159, 0
	v_mov_b32_e32 v160, 0
	s_and_saveexec_b64 s[10:11], s[2:3]
	s_cbranch_execz .LBB84_100
; %bb.99:                               ;   in Loop: Header=BB84_3 Depth=1
	v_add_co_u32_e32 v159, vcc, v97, v4
	v_addc_co_u32_e32 v160, vcc, v98, v5, vcc
	global_load_ushort v161, v[159:160], off
	v_add_co_u32_e32 v159, vcc, v99, v4
	v_addc_co_u32_e32 v160, vcc, v100, v5, vcc
	global_load_ushort v160, v[159:160], off
	s_waitcnt vmcnt(1)
	v_cvt_f32_f16_e32 v159, v161
	s_waitcnt vmcnt(0)
	v_cvt_f32_f16_e32 v160, v160
.LBB84_100:                             ;   in Loop: Header=BB84_3 Depth=1
	s_or_b64 exec, exec, s[10:11]
	v_mov_b32_e32 v162, 0
	s_and_saveexec_b64 s[10:11], s[2:3]
	s_cbranch_execz .LBB84_102
; %bb.101:                              ;   in Loop: Header=BB84_3 Depth=1
	v_add_co_u32_e32 v161, vcc, v93, v4
	v_addc_co_u32_e32 v162, vcc, v94, v5, vcc
	global_load_ushort v157, v[161:162], off
	v_add_co_u32_e32 v161, vcc, v95, v4
	v_addc_co_u32_e32 v162, vcc, v96, v5, vcc
	global_load_ushort v161, v[161:162], off
	s_waitcnt vmcnt(1)
	v_cvt_f32_f16_e32 v157, v157
	s_waitcnt vmcnt(0)
	v_cvt_f32_f16_e32 v162, v161
.LBB84_102:                             ;   in Loop: Header=BB84_3 Depth=1
	s_or_b64 exec, exec, s[10:11]
	v_mov_b32_e32 v161, 0
	v_mov_b32_e32 v163, 0
	v_mov_b32_e32 v164, 0
	s_and_saveexec_b64 s[10:11], s[2:3]
	s_cbranch_execz .LBB84_104
; %bb.103:                              ;   in Loop: Header=BB84_3 Depth=1
	v_add_co_u32_e32 v163, vcc, v89, v4
	v_addc_co_u32_e32 v164, vcc, v90, v5, vcc
	global_load_ushort v165, v[163:164], off
	v_add_co_u32_e32 v163, vcc, v91, v4
	v_addc_co_u32_e32 v164, vcc, v92, v5, vcc
	global_load_ushort v164, v[163:164], off
	s_waitcnt vmcnt(1)
	v_cvt_f32_f16_e32 v163, v165
	s_waitcnt vmcnt(0)
	v_cvt_f32_f16_e32 v164, v164
.LBB84_104:                             ;   in Loop: Header=BB84_3 Depth=1
	s_or_b64 exec, exec, s[10:11]
	v_mov_b32_e32 v167, 0
	s_and_saveexec_b64 s[10:11], s[2:3]
	s_cbranch_execz .LBB84_106
; %bb.105:                              ;   in Loop: Header=BB84_3 Depth=1
	v_add_co_u32_e32 v165, vcc, v85, v4
	v_addc_co_u32_e32 v166, vcc, v86, v5, vcc
	global_load_ushort v161, v[165:166], off
	v_add_co_u32_e32 v165, vcc, v87, v4
	v_addc_co_u32_e32 v166, vcc, v88, v5, vcc
	global_load_ushort v165, v[165:166], off
	s_waitcnt vmcnt(1)
	v_cvt_f32_f16_e32 v161, v161
	s_waitcnt vmcnt(0)
	v_cvt_f32_f16_e32 v167, v165
.LBB84_106:                             ;   in Loop: Header=BB84_3 Depth=1
	s_or_b64 exec, exec, s[10:11]
	v_mov_b32_e32 v166, 0
	v_mov_b32_e32 v168, 0
	v_mov_b32_e32 v170, 0
	s_and_saveexec_b64 s[10:11], s[2:3]
	s_cbranch_execz .LBB84_108
; %bb.107:                              ;   in Loop: Header=BB84_3 Depth=1
	v_add_co_u32_e32 v168, vcc, v81, v4
	v_addc_co_u32_e32 v169, vcc, v82, v5, vcc
	global_load_ushort v165, v[168:169], off
	v_add_co_u32_e32 v168, vcc, v83, v4
	v_addc_co_u32_e32 v169, vcc, v84, v5, vcc
	global_load_ushort v169, v[168:169], off
	s_waitcnt vmcnt(1)
	v_cvt_f32_f16_e32 v168, v165
	s_waitcnt vmcnt(0)
	v_cvt_f32_f16_e32 v170, v169
.LBB84_108:                             ;   in Loop: Header=BB84_3 Depth=1
	s_or_b64 exec, exec, s[10:11]
	v_mov_b32_e32 v172, 0
	s_and_saveexec_b64 s[10:11], s[2:3]
	s_cbranch_execz .LBB84_110
; %bb.109:                              ;   in Loop: Header=BB84_3 Depth=1
	v_add_co_u32_e32 v165, vcc, v77, v4
	v_addc_co_u32_e32 v166, vcc, v78, v5, vcc
	global_load_ushort v169, v[165:166], off
	v_add_co_u32_e32 v165, vcc, v79, v4
	v_addc_co_u32_e32 v166, vcc, v80, v5, vcc
	global_load_ushort v165, v[165:166], off
	s_waitcnt vmcnt(1)
	v_cvt_f32_f16_e32 v166, v169
	s_waitcnt vmcnt(0)
	v_cvt_f32_f16_e32 v172, v165
.LBB84_110:                             ;   in Loop: Header=BB84_3 Depth=1
	s_or_b64 exec, exec, s[10:11]
	v_mov_b32_e32 v171, 0
	v_mov_b32_e32 v173, 0
	v_mov_b32_e32 v174, 0
	s_and_saveexec_b64 s[10:11], s[2:3]
	s_cbranch_execz .LBB84_112
; %bb.111:                              ;   in Loop: Header=BB84_3 Depth=1
	v_add_co_u32_e32 v173, vcc, v73, v4
	v_addc_co_u32_e32 v174, vcc, v74, v5, vcc
	global_load_ushort v165, v[173:174], off
	v_add_co_u32_e32 v173, vcc, v75, v4
	v_addc_co_u32_e32 v174, vcc, v76, v5, vcc
	global_load_ushort v169, v[173:174], off
	s_waitcnt vmcnt(1)
	v_cvt_f32_f16_e32 v173, v165
	s_waitcnt vmcnt(0)
	v_cvt_f32_f16_e32 v174, v169
.LBB84_112:                             ;   in Loop: Header=BB84_3 Depth=1
	s_or_b64 exec, exec, s[10:11]
	v_mov_b32_e32 v176, 0
	s_and_saveexec_b64 s[10:11], s[2:3]
	s_cbranch_execz .LBB84_114
; %bb.113:                              ;   in Loop: Header=BB84_3 Depth=1
	v_add_co_u32_e32 v175, vcc, v69, v4
	v_addc_co_u32_e32 v176, vcc, v70, v5, vcc
	global_load_ushort v165, v[175:176], off
	v_add_co_u32_e32 v175, vcc, v71, v4
	v_addc_co_u32_e32 v176, vcc, v72, v5, vcc
	global_load_ushort v169, v[175:176], off
	s_waitcnt vmcnt(1)
	v_cvt_f32_f16_e32 v171, v165
	s_waitcnt vmcnt(0)
	v_cvt_f32_f16_e32 v176, v169
.LBB84_114:                             ;   in Loop: Header=BB84_3 Depth=1
	s_or_b64 exec, exec, s[10:11]
	v_mov_b32_e32 v175, 0
	v_mov_b32_e32 v177, 0
	v_mov_b32_e32 v178, 0
	s_and_saveexec_b64 s[10:11], s[2:3]
	s_cbranch_execz .LBB84_116
; %bb.115:                              ;   in Loop: Header=BB84_3 Depth=1
	v_add_co_u32_e32 v177, vcc, v65, v4
	v_addc_co_u32_e32 v178, vcc, v66, v5, vcc
	global_load_ushort v165, v[177:178], off
	v_add_co_u32_e32 v177, vcc, v67, v4
	v_addc_co_u32_e32 v178, vcc, v68, v5, vcc
	global_load_ushort v169, v[177:178], off
	s_waitcnt vmcnt(1)
	v_cvt_f32_f16_e32 v177, v165
	s_waitcnt vmcnt(0)
	v_cvt_f32_f16_e32 v178, v169
.LBB84_116:                             ;   in Loop: Header=BB84_3 Depth=1
	s_or_b64 exec, exec, s[10:11]
	v_mov_b32_e32 v180, 0
	s_and_saveexec_b64 s[10:11], s[2:3]
	s_cbranch_execz .LBB84_118
; %bb.117:                              ;   in Loop: Header=BB84_3 Depth=1
	v_add_co_u32_e32 v179, vcc, v61, v4
	v_addc_co_u32_e32 v180, vcc, v62, v5, vcc
	global_load_ushort v165, v[179:180], off
	v_add_co_u32_e32 v179, vcc, v63, v4
	v_addc_co_u32_e32 v180, vcc, v64, v5, vcc
	global_load_ushort v169, v[179:180], off
	s_waitcnt vmcnt(1)
	v_cvt_f32_f16_e32 v175, v165
	s_waitcnt vmcnt(0)
	v_cvt_f32_f16_e32 v180, v169
.LBB84_118:                             ;   in Loop: Header=BB84_3 Depth=1
	s_or_b64 exec, exec, s[10:11]
	v_mov_b32_e32 v179, 0
	v_mov_b32_e32 v181, 0
	v_mov_b32_e32 v182, 0
	s_and_saveexec_b64 s[10:11], s[2:3]
	s_cbranch_execz .LBB84_120
; %bb.119:                              ;   in Loop: Header=BB84_3 Depth=1
	v_add_co_u32_e32 v181, vcc, v57, v4
	v_addc_co_u32_e32 v182, vcc, v58, v5, vcc
	global_load_ushort v165, v[181:182], off
	v_add_co_u32_e32 v181, vcc, v59, v4
	v_addc_co_u32_e32 v182, vcc, v60, v5, vcc
	global_load_ushort v169, v[181:182], off
	s_waitcnt vmcnt(1)
	v_cvt_f32_f16_e32 v181, v165
	s_waitcnt vmcnt(0)
	v_cvt_f32_f16_e32 v182, v169
.LBB84_120:                             ;   in Loop: Header=BB84_3 Depth=1
	s_or_b64 exec, exec, s[10:11]
	v_mov_b32_e32 v184, 0
	s_and_saveexec_b64 s[10:11], s[2:3]
	s_cbranch_execz .LBB84_122
; %bb.121:                              ;   in Loop: Header=BB84_3 Depth=1
	v_add_co_u32_e32 v183, vcc, v53, v4
	v_addc_co_u32_e32 v184, vcc, v54, v5, vcc
	global_load_ushort v165, v[183:184], off
	v_add_co_u32_e32 v183, vcc, v55, v4
	v_addc_co_u32_e32 v184, vcc, v56, v5, vcc
	global_load_ushort v169, v[183:184], off
	s_waitcnt vmcnt(1)
	v_cvt_f32_f16_e32 v179, v165
	s_waitcnt vmcnt(0)
	v_cvt_f32_f16_e32 v184, v169
.LBB84_122:                             ;   in Loop: Header=BB84_3 Depth=1
	s_or_b64 exec, exec, s[10:11]
	v_mov_b32_e32 v183, 0
	v_mov_b32_e32 v185, 0
	v_mov_b32_e32 v186, 0
	s_and_saveexec_b64 s[10:11], s[2:3]
	s_cbranch_execz .LBB84_124
; %bb.123:                              ;   in Loop: Header=BB84_3 Depth=1
	v_add_co_u32_e32 v185, vcc, v49, v4
	v_addc_co_u32_e32 v186, vcc, v50, v5, vcc
	global_load_ushort v165, v[185:186], off
	v_add_co_u32_e32 v185, vcc, v51, v4
	v_addc_co_u32_e32 v186, vcc, v52, v5, vcc
	global_load_ushort v169, v[185:186], off
	s_waitcnt vmcnt(1)
	v_cvt_f32_f16_e32 v185, v165
	s_waitcnt vmcnt(0)
	v_cvt_f32_f16_e32 v186, v169
.LBB84_124:                             ;   in Loop: Header=BB84_3 Depth=1
	s_or_b64 exec, exec, s[10:11]
	v_mov_b32_e32 v188, 0
	s_and_saveexec_b64 s[10:11], s[2:3]
	s_cbranch_execz .LBB84_126
; %bb.125:                              ;   in Loop: Header=BB84_3 Depth=1
	v_add_co_u32_e32 v187, vcc, v45, v4
	v_addc_co_u32_e32 v188, vcc, v46, v5, vcc
	global_load_ushort v165, v[187:188], off
	v_add_co_u32_e32 v187, vcc, v47, v4
	v_addc_co_u32_e32 v188, vcc, v48, v5, vcc
	global_load_ushort v169, v[187:188], off
	s_waitcnt vmcnt(1)
	v_cvt_f32_f16_e32 v183, v165
	s_waitcnt vmcnt(0)
	v_cvt_f32_f16_e32 v188, v169
.LBB84_126:                             ;   in Loop: Header=BB84_3 Depth=1
	s_or_b64 exec, exec, s[10:11]
	v_mov_b32_e32 v187, 0
	v_mov_b32_e32 v189, 0
	v_mov_b32_e32 v190, 0
	s_and_saveexec_b64 s[10:11], s[2:3]
	s_cbranch_execz .LBB84_128
; %bb.127:                              ;   in Loop: Header=BB84_3 Depth=1
	v_add_co_u32_e32 v189, vcc, v41, v4
	v_addc_co_u32_e32 v190, vcc, v42, v5, vcc
	global_load_ushort v165, v[189:190], off
	v_add_co_u32_e32 v189, vcc, v43, v4
	v_addc_co_u32_e32 v190, vcc, v44, v5, vcc
	global_load_ushort v169, v[189:190], off
	s_waitcnt vmcnt(1)
	v_cvt_f32_f16_e32 v189, v165
	s_waitcnt vmcnt(0)
	v_cvt_f32_f16_e32 v190, v169
.LBB84_128:                             ;   in Loop: Header=BB84_3 Depth=1
	s_or_b64 exec, exec, s[10:11]
	v_mov_b32_e32 v192, 0
	s_and_saveexec_b64 s[10:11], s[2:3]
	s_cbranch_execz .LBB84_130
; %bb.129:                              ;   in Loop: Header=BB84_3 Depth=1
	v_add_co_u32_e32 v191, vcc, v37, v4
	v_addc_co_u32_e32 v192, vcc, v38, v5, vcc
	global_load_ushort v165, v[191:192], off
	v_add_co_u32_e32 v191, vcc, v39, v4
	v_addc_co_u32_e32 v192, vcc, v40, v5, vcc
	global_load_ushort v169, v[191:192], off
	s_waitcnt vmcnt(1)
	v_cvt_f32_f16_e32 v187, v165
	s_waitcnt vmcnt(0)
	v_cvt_f32_f16_e32 v192, v169
.LBB84_130:                             ;   in Loop: Header=BB84_3 Depth=1
	s_or_b64 exec, exec, s[10:11]
	v_mov_b32_e32 v191, 0
	v_mov_b32_e32 v193, 0
	v_mov_b32_e32 v194, 0
	s_and_saveexec_b64 s[10:11], s[2:3]
	s_cbranch_execz .LBB84_132
; %bb.131:                              ;   in Loop: Header=BB84_3 Depth=1
	v_add_co_u32_e32 v193, vcc, v33, v4
	v_addc_co_u32_e32 v194, vcc, v34, v5, vcc
	global_load_ushort v165, v[193:194], off
	v_add_co_u32_e32 v193, vcc, v35, v4
	v_addc_co_u32_e32 v194, vcc, v36, v5, vcc
	global_load_ushort v169, v[193:194], off
	s_waitcnt vmcnt(1)
	v_cvt_f32_f16_e32 v193, v165
	s_waitcnt vmcnt(0)
	v_cvt_f32_f16_e32 v194, v169
.LBB84_132:                             ;   in Loop: Header=BB84_3 Depth=1
	s_or_b64 exec, exec, s[10:11]
	v_mov_b32_e32 v196, 0
	s_and_saveexec_b64 s[10:11], s[2:3]
	s_cbranch_execz .LBB84_134
; %bb.133:                              ;   in Loop: Header=BB84_3 Depth=1
	v_add_co_u32_e32 v195, vcc, v29, v4
	v_addc_co_u32_e32 v196, vcc, v30, v5, vcc
	global_load_ushort v165, v[195:196], off
	v_add_co_u32_e32 v195, vcc, v31, v4
	v_addc_co_u32_e32 v196, vcc, v32, v5, vcc
	global_load_ushort v169, v[195:196], off
	s_waitcnt vmcnt(1)
	v_cvt_f32_f16_e32 v191, v165
	s_waitcnt vmcnt(0)
	v_cvt_f32_f16_e32 v196, v169
.LBB84_134:                             ;   in Loop: Header=BB84_3 Depth=1
	s_or_b64 exec, exec, s[10:11]
	v_mov_b32_e32 v195, 0
	v_mov_b32_e32 v197, 0
	v_mov_b32_e32 v198, 0
	s_and_saveexec_b64 s[10:11], s[2:3]
	s_cbranch_execz .LBB84_136
; %bb.135:                              ;   in Loop: Header=BB84_3 Depth=1
	v_add_co_u32_e32 v197, vcc, v25, v4
	v_addc_co_u32_e32 v198, vcc, v26, v5, vcc
	global_load_ushort v165, v[197:198], off
	v_add_co_u32_e32 v197, vcc, v27, v4
	v_addc_co_u32_e32 v198, vcc, v28, v5, vcc
	global_load_ushort v169, v[197:198], off
	s_waitcnt vmcnt(1)
	v_cvt_f32_f16_e32 v197, v165
	s_waitcnt vmcnt(0)
	v_cvt_f32_f16_e32 v198, v169
.LBB84_136:                             ;   in Loop: Header=BB84_3 Depth=1
	s_or_b64 exec, exec, s[10:11]
	v_mov_b32_e32 v199, 0
	s_and_saveexec_b64 s[10:11], s[2:3]
	s_cbranch_execz .LBB84_138
; %bb.137:                              ;   in Loop: Header=BB84_3 Depth=1
	v_add_co_u32_e32 v199, vcc, v21, v4
	v_addc_co_u32_e32 v200, vcc, v22, v5, vcc
	global_load_ushort v165, v[199:200], off
	v_add_co_u32_e32 v199, vcc, v23, v4
	v_addc_co_u32_e32 v200, vcc, v24, v5, vcc
	global_load_ushort v169, v[199:200], off
	s_waitcnt vmcnt(1)
	v_cvt_f32_f16_e32 v195, v165
	s_waitcnt vmcnt(0)
	v_cvt_f32_f16_e32 v199, v169
.LBB84_138:                             ;   in Loop: Header=BB84_3 Depth=1
	s_or_b64 exec, exec, s[10:11]
	v_mov_b32_e32 v165, 0
	v_mov_b32_e32 v200, 0
	v_mov_b32_e32 v201, 0
	s_and_saveexec_b64 s[10:11], s[2:3]
	s_cbranch_execz .LBB84_140
; %bb.139:                              ;   in Loop: Header=BB84_3 Depth=1
	v_add_co_u32_e32 v200, vcc, v17, v4
	v_addc_co_u32_e32 v201, vcc, v18, v5, vcc
	global_load_ushort v169, v[200:201], off
	v_add_co_u32_e32 v200, vcc, v19, v4
	v_addc_co_u32_e32 v201, vcc, v20, v5, vcc
	global_load_ushort v201, v[200:201], off
	s_waitcnt vmcnt(1)
	v_cvt_f32_f16_e32 v200, v169
	s_waitcnt vmcnt(0)
	v_cvt_f32_f16_e32 v201, v201
.LBB84_140:                             ;   in Loop: Header=BB84_3 Depth=1
	s_or_b64 exec, exec, s[10:11]
	v_mov_b32_e32 v169, 0
	s_and_saveexec_b64 s[10:11], s[2:3]
	s_cbranch_execz .LBB84_142
; %bb.141:                              ;   in Loop: Header=BB84_3 Depth=1
	v_add_co_u32_e32 v202, vcc, v13, v4
	v_addc_co_u32_e32 v203, vcc, v14, v5, vcc
	global_load_ushort v165, v[202:203], off
	v_add_co_u32_e32 v202, vcc, v15, v4
	v_addc_co_u32_e32 v203, vcc, v16, v5, vcc
	global_load_ushort v169, v[202:203], off
	s_waitcnt vmcnt(1)
	v_cvt_f32_f16_e32 v165, v165
	s_waitcnt vmcnt(0)
	v_cvt_f32_f16_e32 v169, v169
.LBB84_142:                             ;   in Loop: Header=BB84_3 Depth=1
	s_or_b64 exec, exec, s[10:11]
	s_waitcnt vmcnt(1)
	ds_bpermute_b32 v202, v139, v9
	s_waitcnt vmcnt(0)
	ds_bpermute_b32 v203, v139, v8
	ds_bpermute_b32 v204, v139, v9 offset:4
	ds_bpermute_b32 v205, v139, v8 offset:4
	v_add_f32_e32 v133, v133, v6
	s_waitcnt lgkmcnt(3)
	v_sub_f32_e32 v7, v7, v202
	v_mul_f32_e32 v6, v6, v7
	s_waitcnt lgkmcnt(2)
	v_fmac_f32_e32 v140, v6, v203
	s_waitcnt lgkmcnt(1)
	v_sub_f32_e32 v6, v142, v204
	ds_bpermute_b32 v7, v139, v9 offset:8
	v_mul_f32_e32 v6, v130, v6
	s_waitcnt lgkmcnt(1)
	v_fmac_f32_e32 v140, v6, v205
	ds_bpermute_b32 v6, v139, v8 offset:8
	v_add_f32_e32 v130, v133, v130
	s_waitcnt lgkmcnt(1)
	v_sub_f32_e32 v7, v144, v7
	ds_bpermute_b32 v133, v139, v9 offset:12
	v_mul_f32_e32 v7, v143, v7
	s_waitcnt lgkmcnt(1)
	v_fmac_f32_e32 v140, v7, v6
	ds_bpermute_b32 v6, v139, v8 offset:12
	v_add_f32_e32 v7, v130, v143
	s_waitcnt lgkmcnt(1)
	v_sub_f32_e32 v130, v146, v133
	ds_bpermute_b32 v133, v139, v9 offset:16
	v_mul_f32_e32 v130, v141, v130
	s_waitcnt lgkmcnt(1)
	v_fmac_f32_e32 v140, v130, v6
	ds_bpermute_b32 v6, v139, v8 offset:16
	v_add_f32_e32 v7, v7, v141
	s_waitcnt lgkmcnt(1)
	v_sub_f32_e32 v130, v148, v133
	ds_bpermute_b32 v133, v139, v9 offset:20
	v_mul_f32_e32 v130, v147, v130
	s_waitcnt lgkmcnt(1)
	v_fmac_f32_e32 v140, v130, v6
	ds_bpermute_b32 v6, v139, v8 offset:20
	v_add_f32_e32 v7, v7, v147
	s_waitcnt lgkmcnt(1)
	v_sub_f32_e32 v130, v150, v133
	ds_bpermute_b32 v133, v139, v9 offset:24
	v_mul_f32_e32 v130, v145, v130
	s_waitcnt lgkmcnt(1)
	v_fmac_f32_e32 v140, v130, v6
	ds_bpermute_b32 v6, v139, v8 offset:24
	v_add_f32_e32 v7, v7, v145
	s_waitcnt lgkmcnt(1)
	v_sub_f32_e32 v130, v152, v133
	ds_bpermute_b32 v133, v139, v9 offset:28
	v_mul_f32_e32 v130, v151, v130
	s_waitcnt lgkmcnt(1)
	v_fmac_f32_e32 v140, v130, v6
	ds_bpermute_b32 v6, v139, v8 offset:28
	v_add_f32_e32 v7, v7, v151
	s_waitcnt lgkmcnt(1)
	v_sub_f32_e32 v130, v154, v133
	ds_bpermute_b32 v133, v139, v9 offset:32
	v_mul_f32_e32 v130, v149, v130
	s_waitcnt lgkmcnt(1)
	v_fmac_f32_e32 v140, v130, v6
	ds_bpermute_b32 v6, v139, v8 offset:32
	v_add_f32_e32 v7, v7, v149
	s_waitcnt lgkmcnt(1)
	v_sub_f32_e32 v130, v156, v133
	ds_bpermute_b32 v133, v139, v9 offset:36
	v_mul_f32_e32 v130, v155, v130
	s_waitcnt lgkmcnt(1)
	v_fmac_f32_e32 v140, v130, v6
	ds_bpermute_b32 v6, v139, v8 offset:36
	v_add_f32_e32 v7, v7, v155
	s_waitcnt lgkmcnt(1)
	v_sub_f32_e32 v130, v158, v133
	ds_bpermute_b32 v133, v139, v9 offset:40
	v_mul_f32_e32 v130, v153, v130
	s_waitcnt lgkmcnt(1)
	v_fmac_f32_e32 v140, v130, v6
	ds_bpermute_b32 v6, v139, v8 offset:40
	v_add_f32_e32 v7, v7, v153
	s_waitcnt lgkmcnt(1)
	v_sub_f32_e32 v130, v160, v133
	ds_bpermute_b32 v133, v139, v9 offset:44
	v_mul_f32_e32 v130, v159, v130
	s_waitcnt lgkmcnt(1)
	v_fmac_f32_e32 v140, v130, v6
	ds_bpermute_b32 v6, v139, v8 offset:44
	v_add_f32_e32 v7, v7, v159
	s_waitcnt lgkmcnt(1)
	v_sub_f32_e32 v130, v162, v133
	ds_bpermute_b32 v133, v139, v9 offset:48
	v_mul_f32_e32 v130, v157, v130
	s_waitcnt lgkmcnt(1)
	v_fmac_f32_e32 v140, v130, v6
	ds_bpermute_b32 v6, v139, v8 offset:48
	v_add_f32_e32 v7, v7, v157
	s_waitcnt lgkmcnt(1)
	v_sub_f32_e32 v130, v164, v133
	ds_bpermute_b32 v133, v139, v9 offset:52
	v_mul_f32_e32 v130, v163, v130
	s_waitcnt lgkmcnt(1)
	v_fmac_f32_e32 v140, v130, v6
	ds_bpermute_b32 v6, v139, v8 offset:52
	v_add_f32_e32 v7, v7, v163
	s_waitcnt lgkmcnt(1)
	v_sub_f32_e32 v130, v167, v133
	ds_bpermute_b32 v133, v139, v9 offset:56
	v_mul_f32_e32 v130, v161, v130
	s_waitcnt lgkmcnt(1)
	v_fmac_f32_e32 v140, v130, v6
	ds_bpermute_b32 v6, v139, v8 offset:56
	v_add_f32_e32 v7, v7, v161
	s_waitcnt lgkmcnt(1)
	v_sub_f32_e32 v130, v170, v133
	ds_bpermute_b32 v133, v139, v9 offset:60
	v_mul_f32_e32 v130, v168, v130
	s_waitcnt lgkmcnt(1)
	v_fmac_f32_e32 v140, v130, v6
	ds_bpermute_b32 v6, v139, v8 offset:60
	v_add_f32_e32 v7, v7, v168
	s_waitcnt lgkmcnt(1)
	v_sub_f32_e32 v130, v172, v133
	ds_bpermute_b32 v133, v139, v9 offset:64
	v_mul_f32_e32 v130, v166, v130
	s_waitcnt lgkmcnt(1)
	v_fmac_f32_e32 v140, v130, v6
	ds_bpermute_b32 v6, v139, v8 offset:64
	v_add_f32_e32 v7, v7, v166
	s_waitcnt lgkmcnt(1)
	v_sub_f32_e32 v130, v174, v133
	ds_bpermute_b32 v133, v139, v9 offset:68
	v_mul_f32_e32 v130, v173, v130
	s_waitcnt lgkmcnt(1)
	v_fmac_f32_e32 v140, v130, v6
	ds_bpermute_b32 v6, v139, v8 offset:68
	v_add_f32_e32 v7, v7, v173
	s_waitcnt lgkmcnt(1)
	v_sub_f32_e32 v130, v176, v133
	ds_bpermute_b32 v133, v139, v9 offset:72
	v_mul_f32_e32 v130, v171, v130
	s_waitcnt lgkmcnt(1)
	v_fmac_f32_e32 v140, v130, v6
	ds_bpermute_b32 v6, v139, v8 offset:72
	v_add_f32_e32 v7, v7, v171
	s_waitcnt lgkmcnt(1)
	v_sub_f32_e32 v130, v178, v133
	ds_bpermute_b32 v133, v139, v9 offset:76
	v_mul_f32_e32 v130, v177, v130
	s_waitcnt lgkmcnt(1)
	v_fmac_f32_e32 v140, v130, v6
	ds_bpermute_b32 v6, v139, v8 offset:76
	v_add_f32_e32 v7, v7, v177
	s_waitcnt lgkmcnt(1)
	v_sub_f32_e32 v130, v180, v133
	ds_bpermute_b32 v133, v139, v9 offset:80
	v_mul_f32_e32 v130, v175, v130
	s_waitcnt lgkmcnt(1)
	v_fmac_f32_e32 v140, v130, v6
	ds_bpermute_b32 v6, v139, v8 offset:80
	v_add_f32_e32 v7, v7, v175
	s_waitcnt lgkmcnt(1)
	v_sub_f32_e32 v130, v182, v133
	ds_bpermute_b32 v133, v139, v9 offset:84
	v_mul_f32_e32 v130, v181, v130
	s_waitcnt lgkmcnt(1)
	v_fmac_f32_e32 v140, v130, v6
	ds_bpermute_b32 v6, v139, v8 offset:84
	v_add_f32_e32 v7, v7, v181
	s_waitcnt lgkmcnt(1)
	v_sub_f32_e32 v130, v184, v133
	ds_bpermute_b32 v133, v139, v9 offset:88
	v_mul_f32_e32 v130, v179, v130
	s_waitcnt lgkmcnt(1)
	v_fmac_f32_e32 v140, v130, v6
	ds_bpermute_b32 v6, v139, v8 offset:88
	v_add_f32_e32 v7, v7, v179
	s_waitcnt lgkmcnt(1)
	v_sub_f32_e32 v130, v186, v133
	ds_bpermute_b32 v133, v139, v9 offset:92
	v_mul_f32_e32 v130, v185, v130
	s_waitcnt lgkmcnt(1)
	v_fmac_f32_e32 v140, v130, v6
	ds_bpermute_b32 v6, v139, v8 offset:92
	v_add_f32_e32 v7, v7, v185
	s_waitcnt lgkmcnt(1)
	v_sub_f32_e32 v130, v188, v133
	ds_bpermute_b32 v133, v139, v9 offset:96
	v_mul_f32_e32 v130, v183, v130
	s_waitcnt lgkmcnt(1)
	v_fmac_f32_e32 v140, v130, v6
	ds_bpermute_b32 v6, v139, v8 offset:96
	v_add_f32_e32 v7, v7, v183
	s_waitcnt lgkmcnt(1)
	v_sub_f32_e32 v130, v190, v133
	ds_bpermute_b32 v133, v139, v9 offset:100
	v_mul_f32_e32 v130, v189, v130
	s_waitcnt lgkmcnt(1)
	v_fmac_f32_e32 v140, v130, v6
	ds_bpermute_b32 v6, v139, v8 offset:100
	v_add_f32_e32 v7, v7, v189
	s_waitcnt lgkmcnt(1)
	v_sub_f32_e32 v130, v192, v133
	ds_bpermute_b32 v133, v139, v9 offset:104
	v_mul_f32_e32 v130, v187, v130
	s_waitcnt lgkmcnt(1)
	v_fmac_f32_e32 v140, v130, v6
	ds_bpermute_b32 v6, v139, v8 offset:104
	v_add_f32_e32 v7, v7, v187
	s_waitcnt lgkmcnt(1)
	v_sub_f32_e32 v130, v194, v133
	ds_bpermute_b32 v133, v139, v9 offset:108
	v_mul_f32_e32 v130, v193, v130
	s_waitcnt lgkmcnt(1)
	v_fmac_f32_e32 v140, v130, v6
	ds_bpermute_b32 v6, v139, v8 offset:108
	v_add_f32_e32 v7, v7, v193
	s_waitcnt lgkmcnt(1)
	v_sub_f32_e32 v130, v196, v133
	ds_bpermute_b32 v133, v139, v9 offset:112
	v_mul_f32_e32 v130, v191, v130
	s_waitcnt lgkmcnt(1)
	v_fmac_f32_e32 v140, v130, v6
	ds_bpermute_b32 v6, v139, v8 offset:112
	v_add_f32_e32 v7, v7, v191
	s_waitcnt lgkmcnt(1)
	v_sub_f32_e32 v130, v198, v133
	ds_bpermute_b32 v133, v139, v9 offset:116
	v_mul_f32_e32 v130, v197, v130
	s_waitcnt lgkmcnt(1)
	v_fmac_f32_e32 v140, v130, v6
	ds_bpermute_b32 v6, v139, v8 offset:116
	v_add_f32_e32 v7, v7, v197
	s_waitcnt lgkmcnt(1)
	v_sub_f32_e32 v130, v199, v133
	ds_bpermute_b32 v133, v139, v9 offset:120
	v_mul_f32_e32 v130, v195, v130
	s_waitcnt lgkmcnt(1)
	v_fmac_f32_e32 v140, v130, v6
	v_add_f32_e32 v6, v7, v195
	ds_bpermute_b32 v7, v139, v8 offset:120
	ds_bpermute_b32 v8, v139, v8 offset:124
	;; [unrolled: 1-line block ×3, first 2 shown]
	s_waitcnt lgkmcnt(3)
	v_sub_f32_e32 v130, v201, v133
	v_mul_f32_e32 v130, v200, v130
	s_waitcnt lgkmcnt(2)
	v_fmac_f32_e32 v140, v130, v7
	v_add_f32_e32 v141, v6, v200
	v_mov_b32_e32 v130, v140
.LBB84_143:                             ;   in Loop: Header=BB84_3 Depth=1
	s_waitcnt lgkmcnt(0)
	v_sub_f32_e32 v6, v169, v9
	v_mul_f32_e32 v6, v165, v6
	v_fmac_f32_e32 v130, v6, v8
	v_mov_b32_e32 v6, s29
	v_add_co_u32_e32 v2, vcc, s28, v2
	v_addc_co_u32_e32 v10, vcc, v10, v6, vcc
	v_add_co_u32_e32 v11, vcc, s28, v11
	v_addc_co_u32_e32 v12, vcc, v12, v6, vcc
	;; [unrolled: 2-line block ×64, first 2 shown]
	s_add_u32 s34, s34, s9
	v_add_co_u32_e32 v210, vcc, s9, v210
	v_mov_b32_e32 v6, s12
	s_addc_u32 s35, s35, 0
	v_addc_co_u32_e32 v209, vcc, 0, v209, vcc
	v_mov_b32_e32 v7, s13
	v_cmp_lt_i64_e32 vcc, s[34:35], v[6:7]
	s_add_u32 s30, s30, s9
	v_add_f32_e32 v133, v141, v165
	s_addc_u32 s31, 0, s31
	s_cbranch_vccz .LBB84_146
; %bb.144:                              ;   in Loop: Header=BB84_3 Depth=1
	v_mov_b32_e32 v140, v130
	s_branch .LBB84_3
.LBB84_145:
                                        ; implicit-def: $vgpr130
                                        ; implicit-def: $vgpr133
	s_branch .LBB84_147
.LBB84_146:
	s_cbranch_execnz .LBB84_228
.LBB84_147:
	v_mov_b32_e32 v130, 0
	s_and_b64 vcc, exec, s[0:1]
	v_mov_b32_e32 v133, 0
	s_cbranch_vccnz .LBB84_228
; %bb.148:
	v_mov_b32_e32 v4, 0
	v_mov_b32_e32 v2, v4
	buffer_store_dword v0, off, s[40:43], 0 offset:300 ; 4-byte Folded Spill
	v_lshlrev_b32_e32 v135, 5, v1
	s_load_dword s0, s[4:5], 0x44
	buffer_store_dword v1, off, s[40:43], 0 offset:304 ; 4-byte Folded Spill
	s_nop 0
	buffer_store_dword v2, off, s[40:43], 0 offset:308 ; 4-byte Folded Spill
	v_add_u32_e32 v3, s7, v0
	s_add_u32 s2, s4, 64
	v_add_co_u32_e32 v0, vcc, s24, v135
	s_addc_u32 s3, s5, 0
	s_waitcnt lgkmcnt(0)
	s_lshl_b32 s7, s0, 5
	v_addc_co_u32_e64 v166, s[0:1], 0, 0, vcc
	v_mov_b32_e32 v136, v4
	v_lshlrev_b64 v[4:5], 1, v[3:4]
	v_mul_lo_u32 v2, s15, v0
	v_mul_lo_u32 v3, s14, v166
	v_mad_u64_u32 v[130:131], s[0:1], s14, v0, 0
	s_mul_i32 s0, s15, s7
	s_mul_hi_u32 s1, s14, s7
	v_add3_u32 v131, v131, v3, v2
	v_lshlrev_b64 v[2:3], 1, v[130:131]
	s_add_i32 s1, s1, s0
	v_add_co_u32_e32 v6, vcc, s16, v2
	buffer_store_dword v6, off, s[40:43], 0 ; 4-byte Folded Spill
	v_mov_b32_e32 v6, s17
	v_addc_co_u32_e32 v6, vcc, v6, v3, vcc
	v_add_co_u32_e32 v2, vcc, s18, v2
	buffer_store_dword v2, off, s[40:43], 0 offset:8 ; 4-byte Folded Spill
	v_mov_b32_e32 v2, s19
	v_addc_co_u32_e32 v2, vcc, v2, v3, vcc
	buffer_store_dword v2, off, s[40:43], 0 offset:12 ; 4-byte Folded Spill
	buffer_store_dword v6, off, s[40:43], 0 offset:4 ; 4-byte Folded Spill
	s_mul_i32 s0, s14, s7
	s_lshl_b64 s[10:11], s[0:1], 1
	s_lshl_b64 s[0:1], s[24:25], 1
	s_mov_b64 s[26:27], 31
	v_mov_b32_e32 v208, 0
	v_mov_b32_e32 v2, v1
	buffer_store_dword v2, off, s[40:43], 0 offset:292 ; 4-byte Folded Spill
	s_nop 0
	buffer_store_dword v3, off, s[40:43], 0 offset:296 ; 4-byte Folded Spill
	v_lshlrev_b32_e32 v2, 6, v1
	v_add_co_u32_e32 v66, vcc, s0, v2
	v_mov_b32_e32 v2, s1
	v_addc_co_u32_e32 v67, vcc, 0, v2, vcc
	v_add_co_u32_e32 v68, vcc, 2, v66
	v_addc_co_u32_e32 v8, vcc, 0, v67, vcc
	v_add_co_u32_e32 v72, vcc, 4, v66
	;; [unrolled: 2-line block ×30, first 2 shown]
	v_mov_b32_e32 v2, s16
	v_addc_co_u32_e32 v69, vcc, 0, v67, vcc
	v_mov_b32_e32 v3, s17
	v_add_co_u32_e32 v163, vcc, 62, v66
	v_mad_u64_u32 v[6:7], s[0:1], s14, v68, v[2:3]
	v_mul_lo_u32 v70, s14, v8
	v_mad_u64_u32 v[8:9], s[0:1], s14, v72, v[2:3]
	v_mul_lo_u32 v73, s14, v10
	;; [unrolled: 2-line block ×30, first 2 shown]
	v_addc_co_u32_e32 v69, vcc, 0, v67, vcc
	v_mad_u64_u32 v[66:67], s[0:1], s14, v163, v[2:3]
	v_mov_b32_e32 v2, s18
	v_mov_b32_e32 v3, s19
	v_mul_lo_u32 v71, s15, v68
	v_mul_lo_u32 v164, s14, v69
	v_mad_u64_u32 v[68:69], s[0:1], s14, v68, v[2:3]
	v_add3_u32 v7, v71, v7, v70
	v_mul_lo_u32 v74, s15, v72
	v_add3_u32 v69, v71, v69, v70
	v_mad_u64_u32 v[70:71], s[0:1], s14, v72, v[2:3]
	v_add3_u32 v9, v74, v9, v73
	v_mul_lo_u32 v77, s15, v75
	v_add3_u32 v71, v74, v71, v73
	v_mad_u64_u32 v[72:73], s[0:1], s14, v75, v[2:3]
	v_mul_lo_u32 v80, s15, v78
	v_mad_u64_u32 v[74:75], s[0:1], s14, v78, v[2:3]
	v_add3_u32 v11, v77, v11, v76
	v_mul_lo_u32 v83, s15, v81
	v_add3_u32 v73, v77, v73, v76
	v_mad_u64_u32 v[76:77], s[0:1], s14, v81, v[2:3]
	v_add3_u32 v13, v80, v13, v79
	v_mul_lo_u32 v86, s15, v84
	v_add3_u32 v75, v80, v75, v79
	v_mad_u64_u32 v[78:79], s[0:1], s14, v84, v[2:3]
	v_add3_u32 v15, v83, v15, v82
	v_mul_lo_u32 v89, s15, v87
	v_mul_lo_u32 v92, s15, v90
	v_add3_u32 v77, v83, v77, v82
	v_mad_u64_u32 v[80:81], s[0:1], s14, v87, v[2:3]
	v_mad_u64_u32 v[82:83], s[0:1], s14, v90, v[2:3]
	v_add3_u32 v17, v86, v17, v85
	v_mul_lo_u32 v95, s15, v93
	v_add3_u32 v79, v86, v79, v85
	v_mad_u64_u32 v[84:85], s[0:1], s14, v93, v[2:3]
	v_add3_u32 v19, v89, v19, v88
	v_add3_u32 v21, v92, v21, v91
	v_mul_lo_u32 v98, s15, v96
	v_mul_lo_u32 v101, s15, v99
	;; [unrolled: 1-line block ×4, first 2 shown]
	v_add3_u32 v81, v89, v81, v88
	v_add3_u32 v83, v92, v83, v91
	v_mad_u64_u32 v[86:87], s[0:1], s14, v96, v[2:3]
	v_mad_u64_u32 v[88:89], s[0:1], s14, v99, v[2:3]
	;; [unrolled: 1-line block ×4, first 2 shown]
	v_add3_u32 v23, v95, v23, v94
	v_mul_lo_u32 v110, s15, v108
	v_add3_u32 v85, v95, v85, v94
	v_mad_u64_u32 v[94:95], s[0:1], s14, v108, v[2:3]
	v_add3_u32 v25, v98, v25, v97
	v_add3_u32 v27, v101, v27, v100
	;; [unrolled: 1-line block ×4, first 2 shown]
	v_mul_lo_u32 v113, s15, v111
	v_mul_lo_u32 v116, s15, v114
	;; [unrolled: 1-line block ×6, first 2 shown]
	v_add3_u32 v87, v98, v87, v97
	v_add3_u32 v89, v101, v89, v100
	;; [unrolled: 1-line block ×4, first 2 shown]
	v_mad_u64_u32 v[96:97], s[0:1], s14, v111, v[2:3]
	v_mad_u64_u32 v[98:99], s[0:1], s14, v114, v[2:3]
	;; [unrolled: 1-line block ×6, first 2 shown]
	v_add3_u32 v33, v110, v33, v109
	v_mul_lo_u32 v133, s15, v129
	v_add3_u32 v95, v110, v95, v109
	v_mad_u64_u32 v[108:109], s[0:1], s14, v129, v[2:3]
	v_add3_u32 v35, v113, v35, v112
	v_add3_u32 v37, v116, v37, v115
	;; [unrolled: 1-line block ×12, first 2 shown]
	v_mad_u64_u32 v[110:111], s[0:1], s14, v134, v[2:3]
	v_mad_u64_u32 v[112:113], s[0:1], s14, v139, v[2:3]
	;; [unrolled: 1-line block ×10, first 2 shown]
	v_add_co_u32_e32 v2, vcc, 31, v0
	v_addc_co_u32_e32 v3, vcc, 0, v166, vcc
	v_add3_u32 v47, v133, v47, v132
	v_add3_u32 v109, v133, v109, v132
	v_mul_lo_u32 v132, s15, v2
	v_mul_lo_u32 v133, s14, v3
	v_mad_u64_u32 v[2:3], s[0:1], s14, v2, 0
	v_mul_lo_u32 v141, s15, v139
	v_mul_lo_u32 v144, s15, v142
	v_add3_u32 v3, v3, v133, v132
	v_lshlrev_b64 v[2:3], 1, v[2:3]
	v_mov_b32_e32 v132, s17
	v_add_co_u32_e32 v1, vcc, s16, v2
	buffer_store_dword v1, off, s[40:43], 0 offset:16 ; 4-byte Folded Spill
	v_addc_co_u32_e32 v1, vcc, v132, v3, vcc
	buffer_store_dword v1, off, s[40:43], 0 offset:20 ; 4-byte Folded Spill
	v_add_co_u32_e32 v1, vcc, s18, v2
	v_mov_b32_e32 v2, s19
	buffer_store_dword v1, off, s[40:43], 0 offset:24 ; 4-byte Folded Spill
	v_addc_co_u32_e32 v1, vcc, v2, v3, vcc
	v_add_co_u32_e32 v2, vcc, 30, v0
	v_addc_co_u32_e32 v3, vcc, 0, v166, vcc
	v_mul_lo_u32 v132, s15, v2
	v_mul_lo_u32 v133, s14, v3
	v_mad_u64_u32 v[2:3], s[0:1], s14, v2, 0
	buffer_store_dword v1, off, s[40:43], 0 offset:28 ; 4-byte Folded Spill
	v_add3_u32 v51, v141, v51, v140
	v_add3_u32 v3, v3, v133, v132
	v_lshlrev_b64 v[2:3], 1, v[2:3]
	v_mov_b32_e32 v132, s17
	v_add_co_u32_e32 v1, vcc, s16, v2
	buffer_store_dword v1, off, s[40:43], 0 offset:32 ; 4-byte Folded Spill
	v_addc_co_u32_e32 v1, vcc, v132, v3, vcc
	buffer_store_dword v1, off, s[40:43], 0 offset:36 ; 4-byte Folded Spill
	v_add_co_u32_e32 v1, vcc, s18, v2
	v_mov_b32_e32 v2, s19
	buffer_store_dword v1, off, s[40:43], 0 offset:40 ; 4-byte Folded Spill
	v_addc_co_u32_e32 v1, vcc, v2, v3, vcc
	v_add_co_u32_e32 v2, vcc, 29, v0
	v_addc_co_u32_e32 v3, vcc, 0, v166, vcc
	v_mul_lo_u32 v132, s15, v2
	v_mul_lo_u32 v133, s14, v3
	v_mad_u64_u32 v[2:3], s[0:1], s14, v2, 0
	buffer_store_dword v1, off, s[40:43], 0 offset:44 ; 4-byte Folded Spill
	v_add3_u32 v113, v141, v113, v140
	v_add3_u32 v3, v3, v133, v132
	v_lshlrev_b64 v[2:3], 1, v[2:3]
	v_mov_b32_e32 v132, s17
	v_add_co_u32_e32 v1, vcc, s16, v2
	buffer_store_dword v1, off, s[40:43], 0 offset:48 ; 4-byte Folded Spill
	v_addc_co_u32_e32 v1, vcc, v132, v3, vcc
	buffer_store_dword v1, off, s[40:43], 0 offset:52 ; 4-byte Folded Spill
	v_add_co_u32_e32 v1, vcc, s18, v2
	v_mov_b32_e32 v2, s19
	buffer_store_dword v1, off, s[40:43], 0 offset:56 ; 4-byte Folded Spill
	v_addc_co_u32_e32 v1, vcc, v2, v3, vcc
	v_add_co_u32_e32 v2, vcc, 28, v0
	v_addc_co_u32_e32 v3, vcc, 0, v166, vcc
	v_mul_lo_u32 v132, s15, v2
	v_mul_lo_u32 v133, s14, v3
	v_mad_u64_u32 v[2:3], s[0:1], s14, v2, 0
	buffer_store_dword v1, off, s[40:43], 0 offset:60 ; 4-byte Folded Spill
	v_mul_lo_u32 v138, s15, v134
	v_add3_u32 v3, v3, v133, v132
	v_lshlrev_b64 v[2:3], 1, v[2:3]
	v_mov_b32_e32 v132, s17
	v_add_co_u32_e32 v1, vcc, s16, v2
	buffer_store_dword v1, off, s[40:43], 0 offset:64 ; 4-byte Folded Spill
	v_addc_co_u32_e32 v1, vcc, v132, v3, vcc
	buffer_store_dword v1, off, s[40:43], 0 offset:68 ; 4-byte Folded Spill
	v_add_co_u32_e32 v1, vcc, s18, v2
	v_mov_b32_e32 v2, s19
	buffer_store_dword v1, off, s[40:43], 0 offset:72 ; 4-byte Folded Spill
	v_addc_co_u32_e32 v1, vcc, v2, v3, vcc
	v_add_co_u32_e32 v2, vcc, 27, v0
	v_addc_co_u32_e32 v3, vcc, 0, v166, vcc
	v_mul_lo_u32 v132, s15, v2
	v_mul_lo_u32 v133, s14, v3
	v_mad_u64_u32 v[2:3], s[0:1], s14, v2, 0
	buffer_store_dword v1, off, s[40:43], 0 offset:76 ; 4-byte Folded Spill
	v_add3_u32 v53, v144, v53, v143
	v_add3_u32 v3, v3, v133, v132
	v_lshlrev_b64 v[2:3], 1, v[2:3]
	v_mov_b32_e32 v132, s17
	v_add_co_u32_e32 v1, vcc, s16, v2
	buffer_store_dword v1, off, s[40:43], 0 offset:80 ; 4-byte Folded Spill
	v_addc_co_u32_e32 v1, vcc, v132, v3, vcc
	buffer_store_dword v1, off, s[40:43], 0 offset:84 ; 4-byte Folded Spill
	v_add_co_u32_e32 v1, vcc, s18, v2
	v_mov_b32_e32 v2, s19
	buffer_store_dword v1, off, s[40:43], 0 offset:88 ; 4-byte Folded Spill
	v_addc_co_u32_e32 v1, vcc, v2, v3, vcc
	v_add_co_u32_e32 v2, vcc, 26, v0
	v_addc_co_u32_e32 v3, vcc, 0, v166, vcc
	v_mul_lo_u32 v132, s15, v2
	v_mul_lo_u32 v133, s14, v3
	v_mad_u64_u32 v[2:3], s[0:1], s14, v2, 0
	buffer_store_dword v1, off, s[40:43], 0 offset:92 ; 4-byte Folded Spill
	v_mul_lo_u32 v147, s15, v145
	v_add3_u32 v3, v3, v133, v132
	v_lshlrev_b64 v[2:3], 1, v[2:3]
	v_mov_b32_e32 v132, s17
	v_add_co_u32_e32 v1, vcc, s16, v2
	buffer_store_dword v1, off, s[40:43], 0 offset:96 ; 4-byte Folded Spill
	v_addc_co_u32_e32 v1, vcc, v132, v3, vcc
	buffer_store_dword v1, off, s[40:43], 0 offset:100 ; 4-byte Folded Spill
	v_add_co_u32_e32 v1, vcc, s18, v2
	v_mov_b32_e32 v2, s19
	buffer_store_dword v1, off, s[40:43], 0 offset:104 ; 4-byte Folded Spill
	v_addc_co_u32_e32 v1, vcc, v2, v3, vcc
	v_add_co_u32_e32 v2, vcc, 25, v0
	v_addc_co_u32_e32 v3, vcc, 0, v166, vcc
	v_mul_lo_u32 v132, s15, v2
	v_mul_lo_u32 v133, s14, v3
	v_mad_u64_u32 v[2:3], s[0:1], s14, v2, 0
	buffer_store_dword v1, off, s[40:43], 0 offset:108 ; 4-byte Folded Spill
	v_mul_lo_u32 v150, s15, v148
	;; [unrolled: 18-line block ×7, first 2 shown]
	v_add3_u32 v3, v3, v133, v132
	v_lshlrev_b64 v[2:3], 1, v[2:3]
	v_mov_b32_e32 v132, s17
	v_add_co_u32_e32 v1, vcc, s16, v2
	buffer_store_dword v1, off, s[40:43], 0 offset:192 ; 4-byte Folded Spill
	v_addc_co_u32_e32 v1, vcc, v132, v3, vcc
	buffer_store_dword v1, off, s[40:43], 0 offset:196 ; 4-byte Folded Spill
	v_add_co_u32_e32 v1, vcc, s18, v2
	v_mov_b32_e32 v2, s19
	buffer_store_dword v1, off, s[40:43], 0 offset:200 ; 4-byte Folded Spill
	v_addc_co_u32_e32 v1, vcc, v2, v3, vcc
	v_add_co_u32_e32 v2, vcc, 19, v0
	v_addc_co_u32_e32 v3, vcc, 0, v166, vcc
	v_mul_lo_u32 v132, s15, v2
	v_mul_lo_u32 v133, s14, v3
	v_mad_u64_u32 v[2:3], s[0:1], s14, v2, 0
	buffer_store_dword v1, off, s[40:43], 0 offset:204 ; 4-byte Folded Spill
	v_add3_u32 v115, v144, v115, v143
	v_add3_u32 v3, v3, v133, v132
	v_lshlrev_b64 v[2:3], 1, v[2:3]
	v_mov_b32_e32 v132, s17
	v_add_co_u32_e32 v1, vcc, s16, v2
	buffer_store_dword v1, off, s[40:43], 0 offset:208 ; 4-byte Folded Spill
	v_addc_co_u32_e32 v1, vcc, v132, v3, vcc
	buffer_store_dword v1, off, s[40:43], 0 offset:212 ; 4-byte Folded Spill
	v_add_co_u32_e32 v1, vcc, s18, v2
	v_mov_b32_e32 v2, s19
	buffer_store_dword v1, off, s[40:43], 0 offset:216 ; 4-byte Folded Spill
	v_addc_co_u32_e32 v1, vcc, v2, v3, vcc
	v_add_co_u32_e32 v2, vcc, 18, v0
	v_addc_co_u32_e32 v3, vcc, 0, v166, vcc
	v_mul_lo_u32 v132, s15, v2
	v_mul_lo_u32 v133, s14, v3
	v_mad_u64_u32 v[2:3], s[0:1], s14, v2, 0
	buffer_store_dword v1, off, s[40:43], 0 offset:220 ; 4-byte Folded Spill
	v_add3_u32 v49, v138, v49, v137
	;; [unrolled: 18-line block ×6, first 2 shown]
	v_add3_u32 v3, v3, v133, v132
	v_lshlrev_b64 v[2:3], 1, v[2:3]
	v_mov_b32_e32 v132, s17
	v_add_co_u32_e32 v1, vcc, s16, v2
	v_addc_co_u32_e32 v209, vcc, v132, v3, vcc
	v_add_co_u32_e32 v210, vcc, s18, v2
	v_mov_b32_e32 v2, s19
	v_addc_co_u32_e32 v211, vcc, v2, v3, vcc
	v_add_co_u32_e32 v2, vcc, 13, v0
	v_addc_co_u32_e32 v3, vcc, 0, v166, vcc
	v_mul_lo_u32 v132, s15, v2
	v_mul_lo_u32 v133, s14, v3
	v_mad_u64_u32 v[2:3], s[0:1], s14, v2, 0
	buffer_store_dword v1, off, s[40:43], 0 offset:288 ; 4-byte Folded Spill
	v_add3_u32 v63, v159, v63, v158
	v_add3_u32 v3, v3, v133, v132
	v_lshlrev_b64 v[2:3], 1, v[2:3]
	v_mov_b32_e32 v132, s17
	v_add_co_u32_e32 v212, vcc, s16, v2
	v_addc_co_u32_e32 v213, vcc, v132, v3, vcc
	v_add_co_u32_e32 v214, vcc, s18, v2
	v_mov_b32_e32 v2, s19
	v_addc_co_u32_e32 v215, vcc, v2, v3, vcc
	v_add_co_u32_e32 v2, vcc, 12, v0
	v_addc_co_u32_e32 v3, vcc, 0, v166, vcc
	v_mul_lo_u32 v132, s15, v2
	v_mul_lo_u32 v133, s14, v3
	v_mad_u64_u32 v[2:3], s[0:1], s14, v2, 0
	v_add3_u32 v65, v162, v65, v161
	v_add3_u32 v67, v165, v67, v164
	v_add3_u32 v3, v3, v133, v132
	v_lshlrev_b64 v[2:3], 1, v[2:3]
	v_mov_b32_e32 v132, s17
	v_add_co_u32_e32 v216, vcc, s16, v2
	v_addc_co_u32_e32 v217, vcc, v132, v3, vcc
	v_add_co_u32_e32 v218, vcc, s18, v2
	v_mov_b32_e32 v2, s19
	v_addc_co_u32_e32 v219, vcc, v2, v3, vcc
	v_add_co_u32_e32 v2, vcc, 11, v0
	v_addc_co_u32_e32 v3, vcc, 0, v166, vcc
	v_mul_lo_u32 v132, s15, v2
	v_mul_lo_u32 v133, s14, v3
	v_mad_u64_u32 v[2:3], s[0:1], s14, v2, 0
	v_add3_u32 v111, v138, v111, v137
	;; [unrolled: 15-line block ×5, first 2 shown]
	v_add3_u32 v129, v165, v129, v164
	v_add3_u32 v3, v3, v133, v132
	v_lshlrev_b64 v[2:3], 1, v[2:3]
	v_mov_b32_e32 v132, s17
	v_add_co_u32_e32 v232, vcc, s16, v2
	v_addc_co_u32_e32 v233, vcc, v132, v3, vcc
	v_add_co_u32_e32 v234, vcc, s18, v2
	v_mov_b32_e32 v2, s19
	v_addc_co_u32_e32 v235, vcc, v2, v3, vcc
	v_add_co_u32_e32 v2, vcc, 7, v0
	v_addc_co_u32_e32 v3, vcc, 0, v166, vcc
	v_mul_lo_u32 v132, s15, v2
	v_mul_lo_u32 v133, s14, v3
	v_mad_u64_u32 v[2:3], s[0:1], s14, v2, 0
	v_mov_b32_e32 v146, 0
	v_add3_u32 v3, v3, v133, v132
	v_lshlrev_b64 v[2:3], 1, v[2:3]
	v_mov_b32_e32 v132, s17
	v_add_co_u32_e32 v236, vcc, s16, v2
	v_addc_co_u32_e32 v237, vcc, v132, v3, vcc
	v_add_co_u32_e32 v238, vcc, s18, v2
	v_mov_b32_e32 v2, s19
	v_addc_co_u32_e32 v239, vcc, v2, v3, vcc
	v_add_co_u32_e32 v2, vcc, 6, v0
	v_addc_co_u32_e32 v3, vcc, 0, v166, vcc
	v_mul_lo_u32 v132, s15, v2
	v_mul_lo_u32 v133, s14, v3
	v_mad_u64_u32 v[2:3], s[0:1], s14, v2, 0
	v_add3_u32 v3, v3, v133, v132
	v_lshlrev_b64 v[2:3], 1, v[2:3]
	v_mov_b32_e32 v132, s17
	v_add_co_u32_e32 v240, vcc, s16, v2
	v_addc_co_u32_e32 v241, vcc, v132, v3, vcc
	v_add_co_u32_e32 v242, vcc, s18, v2
	v_mov_b32_e32 v2, s19
	v_addc_co_u32_e32 v243, vcc, v2, v3, vcc
	v_add_co_u32_e32 v2, vcc, 5, v0
	v_addc_co_u32_e32 v3, vcc, 0, v166, vcc
	v_mul_lo_u32 v132, s15, v2
	v_mul_lo_u32 v133, s14, v3
	v_mad_u64_u32 v[2:3], s[0:1], s14, v2, 0
	;; [unrolled: 13-line block ×5, first 2 shown]
	v_add3_u32 v1, v1, v3, v2
	v_lshlrev_b64 v[0:1], 1, v[0:1]
	v_mov_b32_e32 v2, s17
	v_add_co_u32_e32 v3, vcc, s16, v0
	v_addc_co_u32_e32 v140, vcc, v2, v1, vcc
	v_add_co_u32_e32 v0, vcc, s18, v0
	v_mov_b32_e32 v2, s19
	v_addc_co_u32_e32 v1, vcc, v2, v1, vcc
	v_add_co_u32_e32 v130, vcc, s14, v130
	v_mov_b32_e32 v2, s15
	v_addc_co_u32_e32 v131, vcc, v131, v2, vcc
	v_lshlrev_b64 v[130:131], 1, v[130:131]
	v_mov_b32_e32 v2, s17
	v_add_co_u32_e32 v141, vcc, s16, v130
	v_addc_co_u32_e32 v142, vcc, v2, v131, vcc
	v_add_co_u32_e32 v143, vcc, s18, v130
	v_mov_b32_e32 v2, s19
	v_addc_co_u32_e32 v144, vcc, v2, v131, vcc
	v_mbcnt_lo_u32_b32 v2, -1, 0
	v_mbcnt_hi_u32_b32 v2, -1, v2
	v_lshlrev_b32_e32 v2, 2, v2
	v_and_b32_e32 v145, 0x100, v2
	s_mov_b64 s[16:17], s[24:25]
.LBB84_149:                             ; =>This Inner Loop Header: Depth=1
	s_add_u32 s0, s24, s26
	v_mov_b32_e32 v131, s13
	s_addc_u32 s1, 0, s27
	v_mov_b32_e32 v130, s12
	v_cmp_ge_i64_e32 vcc, s[0:1], v[130:131]
	v_add_co_u32_e64 v131, s[0:1], s24, v135
	v_addc_co_u32_e64 v132, s[0:1], 0, v136, s[0:1]
	s_mov_b64 s[0:1], -1
                                        ; implicit-def: $vgpr133
                                        ; implicit-def: $vgpr130
	s_cbranch_vccz .LBB84_219
; %bb.150:                              ;   in Loop: Header=BB84_149 Depth=1
	s_load_dword s0, s[2:3], 0xc
	buffer_load_dword v133, off, s[40:43], 0 offset:292 ; 4-byte Folded Reload
	buffer_load_dword v134, off, s[40:43], 0 offset:296 ; 4-byte Folded Reload
	;; [unrolled: 1-line block ×3, first 2 shown]
	v_mov_b32_e32 v149, 0
	v_mov_b32_e32 v148, 0
	;; [unrolled: 1-line block ×3, first 2 shown]
	s_waitcnt lgkmcnt(0)
	s_and_b32 s0, s0, 0xffff
	s_waitcnt vmcnt(0)
	v_mad_u32_u24 v2, v133, s0, v2
	v_and_b32_e32 v2, 63, v2
	v_cmp_gt_u32_e32 vcc, 32, v2
	s_and_saveexec_b64 s[0:1], vcc
	s_cbranch_execz .LBB84_154
; %bb.151:                              ;   in Loop: Header=BB84_149 Depth=1
	v_add_co_u32_e32 v133, vcc, v131, v2
	v_addc_co_u32_e32 v134, vcc, 0, v132, vcc
	v_cmp_gt_i64_e32 vcc, s[12:13], v[133:134]
	v_mov_b32_e32 v147, 0
	v_mov_b32_e32 v148, 0
	s_and_saveexec_b64 s[18:19], vcc
	s_cbranch_execz .LBB84_153
; %bb.152:                              ;   in Loop: Header=BB84_149 Depth=1
	v_lshlrev_b64 v[133:134], 2, v[133:134]
	v_mov_b32_e32 v2, s23
	v_add_co_u32_e32 v137, vcc, s22, v133
	v_addc_co_u32_e32 v138, vcc, v2, v134, vcc
	v_mov_b32_e32 v2, s21
	v_add_co_u32_e32 v133, vcc, s20, v133
	v_addc_co_u32_e32 v134, vcc, v2, v134, vcc
	global_load_dword v147, v[133:134], off
	global_load_dword v148, v[137:138], off
.LBB84_153:                             ;   in Loop: Header=BB84_149 Depth=1
	s_or_b64 exec, exec, s[18:19]
.LBB84_154:                             ;   in Loop: Header=BB84_149 Depth=1
	s_or_b64 exec, exec, s[0:1]
	v_cmp_gt_i64_e32 vcc, s[12:13], v[131:132]
	v_mov_b32_e32 v130, 0
	s_and_saveexec_b64 s[0:1], vcc
	s_cbranch_execz .LBB84_156
; %bb.155:                              ;   in Loop: Header=BB84_149 Depth=1
	buffer_load_dword v2, off, s[40:43], 0  ; 4-byte Folded Reload
	buffer_load_dword v130, off, s[40:43], 0 offset:8 ; 4-byte Folded Reload
	s_waitcnt vmcnt(1)
	v_add_co_u32_e32 v133, vcc, v2, v4
	buffer_load_dword v2, off, s[40:43], 0 offset:4 ; 4-byte Folded Reload
	s_waitcnt vmcnt(0)
	v_addc_co_u32_e32 v134, vcc, v2, v5, vcc
	global_load_ushort v2, v[133:134], off
	v_add_co_u32_e32 v133, vcc, v130, v4
	buffer_load_dword v130, off, s[40:43], 0 offset:12 ; 4-byte Folded Reload
	s_waitcnt vmcnt(1)
	v_cvt_f32_f16_e32 v149, v2
	s_waitcnt vmcnt(0)
	v_addc_co_u32_e32 v134, vcc, v130, v5, vcc
	global_load_ushort v130, v[133:134], off
	s_waitcnt vmcnt(0)
	v_cvt_f32_f16_e32 v130, v130
.LBB84_156:                             ;   in Loop: Header=BB84_149 Depth=1
	s_or_b64 exec, exec, s[0:1]
	v_add_co_u32_e32 v133, vcc, 1, v131
	v_addc_co_u32_e32 v134, vcc, 0, v132, vcc
	v_cmp_gt_i64_e32 vcc, s[12:13], v[133:134]
	v_mov_b32_e32 v133, 0
	v_mov_b32_e32 v159, 0
	v_mov_b32_e32 v163, 0
	s_and_saveexec_b64 s[0:1], vcc
	s_cbranch_execz .LBB84_158
; %bb.157:                              ;   in Loop: Header=BB84_149 Depth=1
	v_add_co_u32_e32 v137, vcc, v141, v4
	v_addc_co_u32_e32 v138, vcc, v142, v5, vcc
	global_load_ushort v2, v[137:138], off
	v_add_co_u32_e32 v137, vcc, v143, v4
	v_addc_co_u32_e32 v138, vcc, v144, v5, vcc
	global_load_ushort v134, v[137:138], off
	s_waitcnt vmcnt(1)
	v_cvt_f32_f16_e32 v159, v2
	s_waitcnt vmcnt(0)
	v_cvt_f32_f16_e32 v163, v134
.LBB84_158:                             ;   in Loop: Header=BB84_149 Depth=1
	s_or_b64 exec, exec, s[0:1]
	v_add_co_u32_e32 v137, vcc, 2, v131
	v_addc_co_u32_e32 v138, vcc, 0, v132, vcc
	v_cmp_gt_i64_e32 vcc, s[12:13], v[137:138]
	v_mov_b32_e32 v164, 0
	s_and_saveexec_b64 s[0:1], vcc
	s_cbranch_execz .LBB84_160
; %bb.159:                              ;   in Loop: Header=BB84_149 Depth=1
	v_add_co_u32_e32 v133, vcc, v3, v4
	v_addc_co_u32_e32 v134, vcc, v140, v5, vcc
	global_load_ushort v2, v[133:134], off
	v_add_co_u32_e32 v133, vcc, v0, v4
	v_addc_co_u32_e32 v134, vcc, v1, v5, vcc
	global_load_ushort v134, v[133:134], off
	s_waitcnt vmcnt(1)
	v_cvt_f32_f16_e32 v133, v2
	s_waitcnt vmcnt(0)
	v_cvt_f32_f16_e32 v164, v134
.LBB84_160:                             ;   in Loop: Header=BB84_149 Depth=1
	s_or_b64 exec, exec, s[0:1]
	v_add_co_u32_e32 v137, vcc, 3, v131
	v_addc_co_u32_e32 v138, vcc, 0, v132, vcc
	v_cmp_gt_i64_e32 vcc, s[12:13], v[137:138]
	v_mov_b32_e32 v134, 0
	v_mov_b32_e32 v161, 0
	v_mov_b32_e32 v167, 0
	s_and_saveexec_b64 s[0:1], vcc
	s_cbranch_execz .LBB84_162
; %bb.161:                              ;   in Loop: Header=BB84_149 Depth=1
	v_add_co_u32_e32 v137, vcc, v252, v4
	v_addc_co_u32_e32 v138, vcc, v253, v5, vcc
	global_load_ushort v2, v[137:138], off
	v_add_co_u32_e32 v137, vcc, v254, v4
	v_addc_co_u32_e32 v138, vcc, v255, v5, vcc
	global_load_ushort v137, v[137:138], off
	s_waitcnt vmcnt(1)
	v_cvt_f32_f16_e32 v161, v2
	s_waitcnt vmcnt(0)
	v_cvt_f32_f16_e32 v167, v137
.LBB84_162:                             ;   in Loop: Header=BB84_149 Depth=1
	s_or_b64 exec, exec, s[0:1]
	v_add_co_u32_e32 v137, vcc, 4, v131
	v_addc_co_u32_e32 v138, vcc, 0, v132, vcc
	v_cmp_gt_i64_e32 vcc, s[12:13], v[137:138]
	v_mov_b32_e32 v2, 0
	s_and_saveexec_b64 s[0:1], vcc
	s_cbranch_execz .LBB84_164
; %bb.163:                              ;   in Loop: Header=BB84_149 Depth=1
	v_add_co_u32_e32 v137, vcc, v248, v4
	v_addc_co_u32_e32 v138, vcc, v249, v5, vcc
	global_load_ushort v2, v[137:138], off
	v_add_co_u32_e32 v137, vcc, v250, v4
	v_addc_co_u32_e32 v138, vcc, v251, v5, vcc
	global_load_ushort v137, v[137:138], off
	s_waitcnt vmcnt(1)
	v_cvt_f32_f16_e32 v134, v2
	s_waitcnt vmcnt(0)
	v_cvt_f32_f16_e32 v2, v137
.LBB84_164:                             ;   in Loop: Header=BB84_149 Depth=1
	;; [unrolled: 40-line block ×6, first 2 shown]
	s_or_b64 exec, exec, s[0:1]
	v_add_co_u32_e32 v154, vcc, 13, v131
	v_addc_co_u32_e32 v155, vcc, 0, v132, vcc
	v_cmp_gt_i64_e32 vcc, s[12:13], v[154:155]
	v_mov_b32_e32 v154, 0
	v_mov_b32_e32 v139, 0
	;; [unrolled: 1-line block ×3, first 2 shown]
	s_and_saveexec_b64 s[0:1], vcc
	s_cbranch_execz .LBB84_182
; %bb.181:                              ;   in Loop: Header=BB84_149 Depth=1
	v_add_co_u32_e32 v155, vcc, v212, v4
	v_addc_co_u32_e32 v156, vcc, v213, v5, vcc
	global_load_ushort v137, v[155:156], off
	v_add_co_u32_e32 v155, vcc, v214, v4
	v_addc_co_u32_e32 v156, vcc, v215, v5, vcc
	global_load_ushort v155, v[155:156], off
	s_waitcnt vmcnt(1)
	v_cvt_f32_f16_e32 v139, v137
	s_waitcnt vmcnt(0)
	v_cvt_f32_f16_e32 v179, v155
.LBB84_182:                             ;   in Loop: Header=BB84_149 Depth=1
	s_or_b64 exec, exec, s[0:1]
	v_add_co_u32_e32 v155, vcc, 14, v131
	v_addc_co_u32_e32 v156, vcc, 0, v132, vcc
	v_cmp_gt_i64_e32 vcc, s[12:13], v[155:156]
	v_mov_b32_e32 v180, 0
	s_and_saveexec_b64 s[0:1], vcc
	s_cbranch_execz .LBB84_184
; %bb.183:                              ;   in Loop: Header=BB84_149 Depth=1
	buffer_load_dword v137, off, s[40:43], 0 offset:288 ; 4-byte Folded Reload
	s_waitcnt vmcnt(0)
	v_add_co_u32_e32 v154, vcc, v137, v4
	v_addc_co_u32_e32 v155, vcc, v209, v5, vcc
	global_load_ushort v137, v[154:155], off
	v_add_co_u32_e32 v154, vcc, v210, v4
	v_addc_co_u32_e32 v155, vcc, v211, v5, vcc
	global_load_ushort v155, v[154:155], off
	s_waitcnt vmcnt(1)
	v_cvt_f32_f16_e32 v154, v137
	s_waitcnt vmcnt(0)
	v_cvt_f32_f16_e32 v180, v155
.LBB84_184:                             ;   in Loop: Header=BB84_149 Depth=1
	s_or_b64 exec, exec, s[0:1]
	v_add_co_u32_e32 v155, vcc, 15, v131
	v_addc_co_u32_e32 v156, vcc, 0, v132, vcc
	v_cmp_gt_i64_e32 vcc, s[12:13], v[155:156]
	v_mov_b32_e32 v155, 0
	v_mov_b32_e32 v178, 0
	;; [unrolled: 1-line block ×3, first 2 shown]
	s_and_saveexec_b64 s[0:1], vcc
	s_cbranch_execz .LBB84_186
; %bb.185:                              ;   in Loop: Header=BB84_149 Depth=1
	buffer_load_dword v137, off, s[40:43], 0 offset:272 ; 4-byte Folded Reload
	s_waitcnt vmcnt(0)
	v_add_co_u32_e32 v156, vcc, v137, v4
	buffer_load_dword v137, off, s[40:43], 0 offset:276 ; 4-byte Folded Reload
	s_waitcnt vmcnt(0)
	v_addc_co_u32_e32 v157, vcc, v137, v5, vcc
	global_load_ushort v137, v[156:157], off
	s_waitcnt vmcnt(0)
	v_cvt_f32_f16_e32 v178, v137
	buffer_load_dword v156, off, s[40:43], 0 offset:280 ; 4-byte Folded Reload
	buffer_load_dword v157, off, s[40:43], 0 offset:284 ; 4-byte Folded Reload
	s_waitcnt vmcnt(1)
	v_add_co_u32_e32 v156, vcc, v156, v4
	s_waitcnt vmcnt(0)
	v_addc_co_u32_e32 v157, vcc, v157, v5, vcc
	global_load_ushort v156, v[156:157], off
	s_waitcnt vmcnt(0)
	v_cvt_f32_f16_e32 v182, v156
.LBB84_186:                             ;   in Loop: Header=BB84_149 Depth=1
	s_or_b64 exec, exec, s[0:1]
	v_add_co_u32_e32 v156, vcc, 16, v131
	v_addc_co_u32_e32 v157, vcc, 0, v132, vcc
	v_cmp_gt_i64_e32 vcc, s[12:13], v[156:157]
	v_mov_b32_e32 v183, 0
	s_and_saveexec_b64 s[0:1], vcc
	s_cbranch_execz .LBB84_188
; %bb.187:                              ;   in Loop: Header=BB84_149 Depth=1
	buffer_load_dword v137, off, s[40:43], 0 offset:256 ; 4-byte Folded Reload
	s_waitcnt vmcnt(0)
	v_add_co_u32_e32 v155, vcc, v137, v4
	buffer_load_dword v137, off, s[40:43], 0 offset:260 ; 4-byte Folded Reload
	s_waitcnt vmcnt(0)
	v_addc_co_u32_e32 v156, vcc, v137, v5, vcc
	global_load_ushort v137, v[155:156], off
	s_nop 0
	buffer_load_dword v155, off, s[40:43], 0 offset:264 ; 4-byte Folded Reload
	buffer_load_dword v156, off, s[40:43], 0 offset:268 ; 4-byte Folded Reload
	s_waitcnt vmcnt(1)
	v_add_co_u32_e32 v155, vcc, v155, v4
	s_waitcnt vmcnt(0)
	v_addc_co_u32_e32 v156, vcc, v156, v5, vcc
	global_load_ushort v156, v[155:156], off
	v_cvt_f32_f16_e32 v155, v137
	s_waitcnt vmcnt(0)
	v_cvt_f32_f16_e32 v183, v156
.LBB84_188:                             ;   in Loop: Header=BB84_149 Depth=1
	s_or_b64 exec, exec, s[0:1]
	v_add_co_u32_e32 v156, vcc, 17, v131
	v_addc_co_u32_e32 v157, vcc, 0, v132, vcc
	v_cmp_gt_i64_e32 vcc, s[12:13], v[156:157]
	v_mov_b32_e32 v156, 0
	v_mov_b32_e32 v181, 0
	;; [unrolled: 1-line block ×3, first 2 shown]
	s_and_saveexec_b64 s[0:1], vcc
	s_cbranch_execz .LBB84_190
; %bb.189:                              ;   in Loop: Header=BB84_149 Depth=1
	buffer_load_dword v137, off, s[40:43], 0 offset:240 ; 4-byte Folded Reload
	s_waitcnt vmcnt(0)
	v_add_co_u32_e32 v157, vcc, v137, v4
	buffer_load_dword v137, off, s[40:43], 0 offset:244 ; 4-byte Folded Reload
	s_waitcnt vmcnt(0)
	v_addc_co_u32_e32 v158, vcc, v137, v5, vcc
	global_load_ushort v137, v[157:158], off
	s_waitcnt vmcnt(0)
	v_cvt_f32_f16_e32 v181, v137
	buffer_load_dword v157, off, s[40:43], 0 offset:248 ; 4-byte Folded Reload
	buffer_load_dword v158, off, s[40:43], 0 offset:252 ; 4-byte Folded Reload
	s_waitcnt vmcnt(1)
	v_add_co_u32_e32 v157, vcc, v157, v4
	s_waitcnt vmcnt(0)
	v_addc_co_u32_e32 v158, vcc, v158, v5, vcc
	global_load_ushort v157, v[157:158], off
	s_waitcnt vmcnt(0)
	v_cvt_f32_f16_e32 v185, v157
.LBB84_190:                             ;   in Loop: Header=BB84_149 Depth=1
	s_or_b64 exec, exec, s[0:1]
	v_add_co_u32_e32 v157, vcc, 18, v131
	v_addc_co_u32_e32 v158, vcc, 0, v132, vcc
	v_cmp_gt_i64_e32 vcc, s[12:13], v[157:158]
	v_mov_b32_e32 v186, 0
	s_and_saveexec_b64 s[0:1], vcc
	s_cbranch_execz .LBB84_192
; %bb.191:                              ;   in Loop: Header=BB84_149 Depth=1
	buffer_load_dword v137, off, s[40:43], 0 offset:224 ; 4-byte Folded Reload
	s_waitcnt vmcnt(0)
	v_add_co_u32_e32 v156, vcc, v137, v4
	buffer_load_dword v137, off, s[40:43], 0 offset:228 ; 4-byte Folded Reload
	s_waitcnt vmcnt(0)
	v_addc_co_u32_e32 v157, vcc, v137, v5, vcc
	global_load_ushort v137, v[156:157], off
	s_nop 0
	buffer_load_dword v156, off, s[40:43], 0 offset:232 ; 4-byte Folded Reload
	buffer_load_dword v157, off, s[40:43], 0 offset:236 ; 4-byte Folded Reload
	s_waitcnt vmcnt(1)
	v_add_co_u32_e32 v156, vcc, v156, v4
	s_waitcnt vmcnt(0)
	v_addc_co_u32_e32 v157, vcc, v157, v5, vcc
	global_load_ushort v157, v[156:157], off
	v_cvt_f32_f16_e32 v156, v137
	s_waitcnt vmcnt(0)
	v_cvt_f32_f16_e32 v186, v157
.LBB84_192:                             ;   in Loop: Header=BB84_149 Depth=1
	s_or_b64 exec, exec, s[0:1]
	v_add_co_u32_e32 v157, vcc, 19, v131
	v_addc_co_u32_e32 v158, vcc, 0, v132, vcc
	v_cmp_gt_i64_e32 vcc, s[12:13], v[157:158]
	v_mov_b32_e32 v157, 0
	v_mov_b32_e32 v184, 0
	;; [unrolled: 1-line block ×3, first 2 shown]
	s_and_saveexec_b64 s[0:1], vcc
	s_cbranch_execz .LBB84_194
; %bb.193:                              ;   in Loop: Header=BB84_149 Depth=1
	buffer_load_dword v137, off, s[40:43], 0 offset:208 ; 4-byte Folded Reload
	buffer_load_dword v158, off, s[40:43], 0 offset:216 ; 4-byte Folded Reload
	s_waitcnt vmcnt(1)
	v_add_co_u32_e32 v187, vcc, v137, v4
	buffer_load_dword v137, off, s[40:43], 0 offset:212 ; 4-byte Folded Reload
	s_waitcnt vmcnt(0)
	v_addc_co_u32_e32 v188, vcc, v137, v5, vcc
	global_load_ushort v137, v[187:188], off
	v_add_co_u32_e32 v187, vcc, v158, v4
	buffer_load_dword v158, off, s[40:43], 0 offset:220 ; 4-byte Folded Reload
	s_waitcnt vmcnt(1)
	v_cvt_f32_f16_e32 v184, v137
	s_waitcnt vmcnt(0)
	v_addc_co_u32_e32 v188, vcc, v158, v5, vcc
	global_load_ushort v158, v[187:188], off
	s_waitcnt vmcnt(0)
	v_cvt_f32_f16_e32 v188, v158
.LBB84_194:                             ;   in Loop: Header=BB84_149 Depth=1
	s_or_b64 exec, exec, s[0:1]
	v_add_co_u32_e32 v189, vcc, 20, v131
	v_addc_co_u32_e32 v190, vcc, 0, v132, vcc
	v_cmp_gt_i64_e32 vcc, s[12:13], v[189:190]
	v_mov_b32_e32 v189, 0
	s_and_saveexec_b64 s[0:1], vcc
	s_cbranch_execz .LBB84_196
; %bb.195:                              ;   in Loop: Header=BB84_149 Depth=1
	buffer_load_dword v137, off, s[40:43], 0 offset:192 ; 4-byte Folded Reload
	s_waitcnt vmcnt(0)
	v_add_co_u32_e32 v157, vcc, v137, v4
	buffer_load_dword v137, off, s[40:43], 0 offset:196 ; 4-byte Folded Reload
	s_waitcnt vmcnt(0)
	v_addc_co_u32_e32 v158, vcc, v137, v5, vcc
	global_load_ushort v137, v[157:158], off
	s_nop 0
	buffer_load_dword v157, off, s[40:43], 0 offset:200 ; 4-byte Folded Reload
	buffer_load_dword v158, off, s[40:43], 0 offset:204 ; 4-byte Folded Reload
	s_waitcnt vmcnt(1)
	v_add_co_u32_e32 v157, vcc, v157, v4
	s_waitcnt vmcnt(0)
	v_addc_co_u32_e32 v158, vcc, v158, v5, vcc
	global_load_ushort v158, v[157:158], off
	v_cvt_f32_f16_e32 v157, v137
	s_waitcnt vmcnt(0)
	v_cvt_f32_f16_e32 v189, v158
.LBB84_196:                             ;   in Loop: Header=BB84_149 Depth=1
	s_or_b64 exec, exec, s[0:1]
	v_add_co_u32_e32 v190, vcc, 21, v131
	v_addc_co_u32_e32 v191, vcc, 0, v132, vcc
	v_cmp_gt_i64_e32 vcc, s[12:13], v[190:191]
	v_mov_b32_e32 v158, 0
	v_mov_b32_e32 v187, 0
	v_mov_b32_e32 v191, 0
	s_and_saveexec_b64 s[0:1], vcc
	s_cbranch_execz .LBB84_198
; %bb.197:                              ;   in Loop: Header=BB84_149 Depth=1
	buffer_load_dword v137, off, s[40:43], 0 offset:176 ; 4-byte Folded Reload
	buffer_load_dword v160, off, s[40:43], 0 offset:184 ; 4-byte Folded Reload
	s_waitcnt vmcnt(1)
	v_add_co_u32_e32 v190, vcc, v137, v4
	buffer_load_dword v137, off, s[40:43], 0 offset:180 ; 4-byte Folded Reload
	s_waitcnt vmcnt(0)
	v_addc_co_u32_e32 v191, vcc, v137, v5, vcc
	global_load_ushort v137, v[190:191], off
	v_add_co_u32_e32 v190, vcc, v160, v4
	buffer_load_dword v160, off, s[40:43], 0 offset:188 ; 4-byte Folded Reload
	s_waitcnt vmcnt(1)
	v_cvt_f32_f16_e32 v187, v137
	s_waitcnt vmcnt(0)
	v_addc_co_u32_e32 v191, vcc, v160, v5, vcc
	global_load_ushort v160, v[190:191], off
	s_waitcnt vmcnt(0)
	v_cvt_f32_f16_e32 v191, v160
.LBB84_198:                             ;   in Loop: Header=BB84_149 Depth=1
	s_or_b64 exec, exec, s[0:1]
	v_add_co_u32_e32 v192, vcc, 22, v131
	v_addc_co_u32_e32 v193, vcc, 0, v132, vcc
	v_cmp_gt_i64_e32 vcc, s[12:13], v[192:193]
	v_mov_b32_e32 v192, 0
	s_and_saveexec_b64 s[0:1], vcc
	s_cbranch_execz .LBB84_200
; %bb.199:                              ;   in Loop: Header=BB84_149 Depth=1
	buffer_load_dword v137, off, s[40:43], 0 offset:160 ; 4-byte Folded Reload
	buffer_load_dword v158, off, s[40:43], 0 offset:168 ; 4-byte Folded Reload
	s_waitcnt vmcnt(1)
	v_add_co_u32_e32 v192, vcc, v137, v4
	buffer_load_dword v137, off, s[40:43], 0 offset:164 ; 4-byte Folded Reload
	s_waitcnt vmcnt(0)
	v_addc_co_u32_e32 v193, vcc, v137, v5, vcc
	global_load_ushort v137, v[192:193], off
	v_add_co_u32_e32 v192, vcc, v158, v4
	buffer_load_dword v158, off, s[40:43], 0 offset:172 ; 4-byte Folded Reload
	s_waitcnt vmcnt(0)
	v_addc_co_u32_e32 v193, vcc, v158, v5, vcc
	global_load_ushort v160, v[192:193], off
	v_cvt_f32_f16_e32 v158, v137
	s_waitcnt vmcnt(0)
	v_cvt_f32_f16_e32 v192, v160
.LBB84_200:                             ;   in Loop: Header=BB84_149 Depth=1
	s_or_b64 exec, exec, s[0:1]
	v_add_co_u32_e32 v193, vcc, 23, v131
	v_addc_co_u32_e32 v194, vcc, 0, v132, vcc
	v_cmp_gt_i64_e32 vcc, s[12:13], v[193:194]
	v_mov_b32_e32 v160, 0
	v_mov_b32_e32 v190, 0
	v_mov_b32_e32 v194, 0
	s_and_saveexec_b64 s[0:1], vcc
	s_cbranch_execz .LBB84_202
; %bb.201:                              ;   in Loop: Header=BB84_149 Depth=1
	buffer_load_dword v137, off, s[40:43], 0 offset:144 ; 4-byte Folded Reload
	buffer_load_dword v162, off, s[40:43], 0 offset:152 ; 4-byte Folded Reload
	s_waitcnt vmcnt(1)
	v_add_co_u32_e32 v193, vcc, v137, v4
	buffer_load_dword v137, off, s[40:43], 0 offset:148 ; 4-byte Folded Reload
	s_waitcnt vmcnt(0)
	v_addc_co_u32_e32 v194, vcc, v137, v5, vcc
	global_load_ushort v137, v[193:194], off
	v_add_co_u32_e32 v193, vcc, v162, v4
	buffer_load_dword v162, off, s[40:43], 0 offset:156 ; 4-byte Folded Reload
	s_waitcnt vmcnt(1)
	v_cvt_f32_f16_e32 v190, v137
	s_waitcnt vmcnt(0)
	v_addc_co_u32_e32 v194, vcc, v162, v5, vcc
	global_load_ushort v162, v[193:194], off
	s_waitcnt vmcnt(0)
	v_cvt_f32_f16_e32 v194, v162
.LBB84_202:                             ;   in Loop: Header=BB84_149 Depth=1
	s_or_b64 exec, exec, s[0:1]
	v_add_co_u32_e32 v195, vcc, 24, v131
	v_addc_co_u32_e32 v196, vcc, 0, v132, vcc
	v_cmp_gt_i64_e32 vcc, s[12:13], v[195:196]
	v_mov_b32_e32 v195, 0
	s_and_saveexec_b64 s[0:1], vcc
	s_cbranch_execz .LBB84_204
; %bb.203:                              ;   in Loop: Header=BB84_149 Depth=1
	buffer_load_dword v137, off, s[40:43], 0 offset:128 ; 4-byte Folded Reload
	buffer_load_dword v160, off, s[40:43], 0 offset:136 ; 4-byte Folded Reload
	s_waitcnt vmcnt(1)
	v_add_co_u32_e32 v195, vcc, v137, v4
	buffer_load_dword v137, off, s[40:43], 0 offset:132 ; 4-byte Folded Reload
	s_waitcnt vmcnt(0)
	v_addc_co_u32_e32 v196, vcc, v137, v5, vcc
	global_load_ushort v137, v[195:196], off
	v_add_co_u32_e32 v195, vcc, v160, v4
	buffer_load_dword v160, off, s[40:43], 0 offset:140 ; 4-byte Folded Reload
	s_waitcnt vmcnt(0)
	v_addc_co_u32_e32 v196, vcc, v160, v5, vcc
	global_load_ushort v162, v[195:196], off
	v_cvt_f32_f16_e32 v160, v137
	s_waitcnt vmcnt(0)
	v_cvt_f32_f16_e32 v195, v162
.LBB84_204:                             ;   in Loop: Header=BB84_149 Depth=1
	;; [unrolled: 53-line block ×3, first 2 shown]
	s_or_b64 exec, exec, s[0:1]
	v_add_co_u32_e32 v199, vcc, 27, v131
	v_addc_co_u32_e32 v200, vcc, 0, v132, vcc
	v_cmp_gt_i64_e32 vcc, s[12:13], v[199:200]
	v_mov_b32_e32 v166, 0
	v_mov_b32_e32 v196, 0
	;; [unrolled: 1-line block ×3, first 2 shown]
	s_and_saveexec_b64 s[0:1], vcc
	s_cbranch_execz .LBB84_210
; %bb.209:                              ;   in Loop: Header=BB84_149 Depth=1
	buffer_load_dword v137, off, s[40:43], 0 offset:80 ; 4-byte Folded Reload
	buffer_load_dword v196, off, s[40:43], 0 offset:88 ; 4-byte Folded Reload
	s_waitcnt vmcnt(1)
	v_add_co_u32_e32 v199, vcc, v137, v4
	buffer_load_dword v137, off, s[40:43], 0 offset:84 ; 4-byte Folded Reload
	s_waitcnt vmcnt(0)
	v_addc_co_u32_e32 v200, vcc, v137, v5, vcc
	global_load_ushort v137, v[199:200], off
	v_add_co_u32_e32 v199, vcc, v196, v4
	buffer_load_dword v196, off, s[40:43], 0 offset:92 ; 4-byte Folded Reload
	s_waitcnt vmcnt(0)
	v_addc_co_u32_e32 v200, vcc, v196, v5, vcc
	global_load_ushort v199, v[199:200], off
	v_cvt_f32_f16_e32 v196, v137
	s_waitcnt vmcnt(0)
	v_cvt_f32_f16_e32 v201, v199
.LBB84_210:                             ;   in Loop: Header=BB84_149 Depth=1
	s_or_b64 exec, exec, s[0:1]
	v_add_co_u32_e32 v199, vcc, 28, v131
	v_addc_co_u32_e32 v200, vcc, 0, v132, vcc
	v_cmp_gt_i64_e32 vcc, s[12:13], v[199:200]
	v_mov_b32_e32 v202, 0
	s_and_saveexec_b64 s[0:1], vcc
	s_cbranch_execz .LBB84_212
; %bb.211:                              ;   in Loop: Header=BB84_149 Depth=1
	buffer_load_dword v137, off, s[40:43], 0 offset:64 ; 4-byte Folded Reload
	buffer_load_dword v166, off, s[40:43], 0 offset:72 ; 4-byte Folded Reload
	s_waitcnt vmcnt(1)
	v_add_co_u32_e32 v199, vcc, v137, v4
	buffer_load_dword v137, off, s[40:43], 0 offset:68 ; 4-byte Folded Reload
	s_waitcnt vmcnt(0)
	v_addc_co_u32_e32 v200, vcc, v137, v5, vcc
	global_load_ushort v137, v[199:200], off
	v_add_co_u32_e32 v199, vcc, v166, v4
	buffer_load_dword v166, off, s[40:43], 0 offset:76 ; 4-byte Folded Reload
	s_waitcnt vmcnt(0)
	v_addc_co_u32_e32 v200, vcc, v166, v5, vcc
	global_load_ushort v199, v[199:200], off
	v_cvt_f32_f16_e32 v166, v137
	s_waitcnt vmcnt(0)
	v_cvt_f32_f16_e32 v202, v199
.LBB84_212:                             ;   in Loop: Header=BB84_149 Depth=1
	s_or_b64 exec, exec, s[0:1]
	v_add_co_u32_e32 v199, vcc, 29, v131
	v_addc_co_u32_e32 v200, vcc, 0, v132, vcc
	v_cmp_gt_i64_e32 vcc, s[12:13], v[199:200]
	v_mov_b32_e32 v137, 0
	v_mov_b32_e32 v199, 0
	;; [unrolled: 1-line block ×3, first 2 shown]
	s_and_saveexec_b64 s[0:1], vcc
	s_cbranch_execz .LBB84_214
; %bb.213:                              ;   in Loop: Header=BB84_149 Depth=1
	buffer_load_dword v199, off, s[40:43], 0 offset:48 ; 4-byte Folded Reload
	buffer_load_dword v200, off, s[40:43], 0 offset:52 ; 4-byte Folded Reload
	s_waitcnt vmcnt(1)
	v_add_co_u32_e32 v199, vcc, v199, v4
	s_waitcnt vmcnt(0)
	v_addc_co_u32_e32 v200, vcc, v200, v5, vcc
	global_load_ushort v203, v[199:200], off
	s_nop 0
	buffer_load_dword v199, off, s[40:43], 0 offset:56 ; 4-byte Folded Reload
	buffer_load_dword v200, off, s[40:43], 0 offset:60 ; 4-byte Folded Reload
	s_waitcnt vmcnt(1)
	v_add_co_u32_e32 v199, vcc, v199, v4
	s_waitcnt vmcnt(0)
	v_addc_co_u32_e32 v200, vcc, v200, v5, vcc
	global_load_ushort v200, v[199:200], off
	v_cvt_f32_f16_e32 v199, v203
	s_waitcnt vmcnt(0)
	v_cvt_f32_f16_e32 v203, v200
.LBB84_214:                             ;   in Loop: Header=BB84_149 Depth=1
	s_or_b64 exec, exec, s[0:1]
	v_add_co_u32_e32 v204, vcc, 30, v131
	v_addc_co_u32_e32 v205, vcc, 0, v132, vcc
	v_cmp_gt_i64_e32 vcc, s[12:13], v[204:205]
	v_mov_b32_e32 v204, 0
	s_and_saveexec_b64 s[0:1], vcc
	s_cbranch_execz .LBB84_216
; %bb.215:                              ;   in Loop: Header=BB84_149 Depth=1
	buffer_load_dword v137, off, s[40:43], 0 offset:32 ; 4-byte Folded Reload
	buffer_load_dword v200, off, s[40:43], 0 offset:40 ; 4-byte Folded Reload
	s_waitcnt vmcnt(1)
	v_add_co_u32_e32 v204, vcc, v137, v4
	buffer_load_dword v137, off, s[40:43], 0 offset:36 ; 4-byte Folded Reload
	s_waitcnt vmcnt(0)
	v_addc_co_u32_e32 v205, vcc, v137, v5, vcc
	global_load_ushort v137, v[204:205], off
	v_add_co_u32_e32 v204, vcc, v200, v4
	buffer_load_dword v200, off, s[40:43], 0 offset:44 ; 4-byte Folded Reload
	s_waitcnt vmcnt(1)
	v_cvt_f32_f16_e32 v137, v137
	s_waitcnt vmcnt(0)
	v_addc_co_u32_e32 v205, vcc, v200, v5, vcc
	global_load_ushort v200, v[204:205], off
	s_waitcnt vmcnt(0)
	v_cvt_f32_f16_e32 v204, v200
.LBB84_216:                             ;   in Loop: Header=BB84_149 Depth=1
	s_or_b64 exec, exec, s[0:1]
	v_add_co_u32_e32 v205, vcc, 31, v131
	v_addc_co_u32_e32 v206, vcc, 0, v132, vcc
	v_cmp_gt_i64_e32 vcc, s[12:13], v[205:206]
	v_mov_b32_e32 v200, 0
	v_mov_b32_e32 v205, 0
	s_and_saveexec_b64 s[0:1], vcc
	s_cbranch_execz .LBB84_218
; %bb.217:                              ;   in Loop: Header=BB84_149 Depth=1
	buffer_load_dword v200, off, s[40:43], 0 offset:16 ; 4-byte Folded Reload
	s_waitcnt vmcnt(0)
	v_add_co_u32_e32 v205, vcc, v200, v4
	buffer_load_dword v200, off, s[40:43], 0 offset:20 ; 4-byte Folded Reload
	s_waitcnt vmcnt(0)
	v_addc_co_u32_e32 v206, vcc, v200, v5, vcc
	global_load_ushort v200, v[205:206], off
	s_waitcnt vmcnt(0)
	v_cvt_f32_f16_e32 v200, v200
	buffer_load_dword v205, off, s[40:43], 0 offset:24 ; 4-byte Folded Reload
	buffer_load_dword v206, off, s[40:43], 0 offset:28 ; 4-byte Folded Reload
	s_waitcnt vmcnt(1)
	v_add_co_u32_e32 v205, vcc, v205, v4
	s_waitcnt vmcnt(0)
	v_addc_co_u32_e32 v206, vcc, v206, v5, vcc
	global_load_ushort v205, v[205:206], off
	s_waitcnt vmcnt(0)
	v_cvt_f32_f16_e32 v205, v205
.LBB84_218:                             ;   in Loop: Header=BB84_149 Depth=1
	s_or_b64 exec, exec, s[0:1]
	s_waitcnt vmcnt(1)
	ds_bpermute_b32 v207, v145, v147
	s_waitcnt vmcnt(0)
	ds_bpermute_b32 v206, v145, v148
	s_mov_b64 s[0:1], 0
	s_waitcnt lgkmcnt(1)
	v_sub_f32_e32 v130, v130, v207
	ds_bpermute_b32 v207, v145, v147 offset:4
	v_mul_f32_e32 v130, v149, v130
	s_waitcnt lgkmcnt(1)
	v_fma_f32 v130, v130, v206, v146
	ds_bpermute_b32 v206, v145, v148 offset:4
	v_add_f32_e32 v149, v208, v149
	s_waitcnt lgkmcnt(1)
	v_sub_f32_e32 v163, v163, v207
	v_mul_f32_e32 v163, v159, v163
	v_add_f32_e32 v149, v149, v159
	s_waitcnt lgkmcnt(0)
	v_fmac_f32_e32 v130, v163, v206
	ds_bpermute_b32 v163, v145, v147 offset:8
	ds_bpermute_b32 v159, v145, v148 offset:8
	s_waitcnt lgkmcnt(1)
	v_sub_f32_e32 v163, v164, v163
	v_mul_f32_e32 v163, v133, v163
	s_waitcnt lgkmcnt(0)
	v_fmac_f32_e32 v130, v163, v159
	ds_bpermute_b32 v159, v145, v147 offset:12
	v_add_f32_e32 v133, v149, v133
	ds_bpermute_b32 v149, v145, v148 offset:12
	v_add_f32_e32 v133, v133, v161
	s_waitcnt lgkmcnt(1)
	v_sub_f32_e32 v159, v167, v159
	v_mul_f32_e32 v159, v161, v159
	s_waitcnt lgkmcnt(0)
	v_fmac_f32_e32 v130, v159, v149
	ds_bpermute_b32 v159, v145, v147 offset:16
	ds_bpermute_b32 v149, v145, v148 offset:16
	s_waitcnt lgkmcnt(1)
	v_sub_f32_e32 v2, v2, v159
	v_mul_f32_e32 v2, v134, v2
	s_waitcnt lgkmcnt(0)
	v_fmac_f32_e32 v130, v2, v149
	v_add_f32_e32 v2, v133, v134
	ds_bpermute_b32 v134, v145, v147 offset:20
	ds_bpermute_b32 v133, v145, v148 offset:20
	v_add_f32_e32 v2, v2, v165
	v_add_f32_e32 v2, v2, v150
	v_add_f32_e32 v2, v2, v168
	s_waitcnt lgkmcnt(1)
	v_sub_f32_e32 v134, v169, v134
	v_mul_f32_e32 v134, v165, v134
	s_waitcnt lgkmcnt(0)
	v_fmac_f32_e32 v130, v134, v133
	ds_bpermute_b32 v134, v145, v147 offset:24
	ds_bpermute_b32 v133, v145, v148 offset:24
	v_add_f32_e32 v2, v2, v151
	v_add_f32_e32 v2, v2, v171
	v_add_f32_e32 v2, v2, v152
	s_waitcnt lgkmcnt(1)
	v_sub_f32_e32 v134, v170, v134
	v_mul_f32_e32 v134, v150, v134
	s_waitcnt lgkmcnt(0)
	v_fmac_f32_e32 v130, v134, v133
	;; [unrolled: 10-line block ×8, first 2 shown]
	ds_bpermute_b32 v134, v145, v147 offset:52
	ds_bpermute_b32 v133, v145, v148 offset:52
	v_add_f32_e32 v2, v2, v199
	v_add_f32_e32 v2, v2, v137
	s_waitcnt lgkmcnt(1)
	v_sub_f32_e32 v134, v179, v134
	v_mul_f32_e32 v134, v139, v134
	s_waitcnt lgkmcnt(0)
	v_fmac_f32_e32 v130, v134, v133
	ds_bpermute_b32 v134, v145, v147 offset:56
	ds_bpermute_b32 v133, v145, v148 offset:56
	s_waitcnt lgkmcnt(1)
	v_sub_f32_e32 v134, v180, v134
	v_mul_f32_e32 v134, v154, v134
	s_waitcnt lgkmcnt(0)
	v_fmac_f32_e32 v130, v134, v133
	ds_bpermute_b32 v134, v145, v147 offset:60
	ds_bpermute_b32 v133, v145, v148 offset:60
	;; [unrolled: 7-line block ×18, first 2 shown]
	s_waitcnt lgkmcnt(1)
	v_sub_f32_e32 v134, v205, v134
	v_mul_f32_e32 v134, v200, v134
	s_waitcnt lgkmcnt(0)
	v_fmac_f32_e32 v130, v134, v133
	v_add_f32_e32 v133, v2, v200
.LBB84_219:                             ;   in Loop: Header=BB84_149 Depth=1
	s_and_b64 vcc, exec, s[0:1]
	s_cbranch_vccz .LBB84_225
; %bb.220:                              ;   in Loop: Header=BB84_149 Depth=1
	s_load_dword s0, s[2:3], 0x0
	buffer_load_dword v133, off, s[40:43], 0 offset:304 ; 4-byte Folded Reload
	buffer_load_dword v134, off, s[40:43], 0 offset:308 ; 4-byte Folded Reload
	v_mov_b32_e32 v2, 0
	s_waitcnt lgkmcnt(0)
	s_cmp_lt_u32 s6, s0
	s_cselect_b32 s0, 12, 18
	s_add_u32 s0, s2, s0
	s_addc_u32 s1, s3, 0
	s_waitcnt vmcnt(0)
	global_load_ushort v130, v134, s[0:1]
	s_nop 0
	buffer_load_dword v133, off, s[40:43], 0 offset:292 ; 4-byte Folded Reload
	buffer_load_dword v134, off, s[40:43], 0 offset:296 ; 4-byte Folded Reload
	;; [unrolled: 1-line block ×3, first 2 shown]
	s_waitcnt vmcnt(0)
	v_mad_u32_u24 v130, v133, v130, v134
	v_and_b32_e32 v130, 63, v130
	v_cmp_gt_u32_e32 vcc, 32, v130
	v_mov_b32_e32 v133, 0
	s_and_saveexec_b64 s[0:1], vcc
	s_cbranch_execz .LBB84_224
; %bb.221:                              ;   in Loop: Header=BB84_149 Depth=1
	v_add_co_u32_e32 v130, vcc, v131, v130
	v_addc_co_u32_e32 v131, vcc, 0, v132, vcc
	v_cmp_gt_i64_e32 vcc, s[12:13], v[130:131]
	v_mov_b32_e32 v133, 0
	v_mov_b32_e32 v2, 0
	s_and_saveexec_b64 s[18:19], vcc
	s_cbranch_execz .LBB84_223
; %bb.222:                              ;   in Loop: Header=BB84_149 Depth=1
	v_lshlrev_b64 v[130:131], 2, v[130:131]
	v_mov_b32_e32 v2, s23
	v_add_co_u32_e32 v137, vcc, s22, v130
	v_addc_co_u32_e32 v138, vcc, v2, v131, vcc
	v_mov_b32_e32 v2, s21
	v_add_co_u32_e32 v130, vcc, s20, v130
	v_addc_co_u32_e32 v131, vcc, v2, v131, vcc
	global_load_dword v133, v[130:131], off
	global_load_dword v2, v[137:138], off
.LBB84_223:                             ;   in Loop: Header=BB84_149 Depth=1
	s_or_b64 exec, exec, s[18:19]
.LBB84_224:                             ;   in Loop: Header=BB84_149 Depth=1
	s_or_b64 exec, exec, s[0:1]
	buffer_load_dword v130, off, s[40:43], 0 ; 4-byte Folded Reload
	buffer_load_dword v131, off, s[40:43], 0 offset:4 ; 4-byte Folded Reload
	s_waitcnt vmcnt(2)
	ds_bpermute_b32 v205, v145, v2
	s_waitcnt vmcnt(1)
	v_add_co_u32_e32 v130, vcc, v130, v4
	s_waitcnt vmcnt(0)
	v_addc_co_u32_e32 v131, vcc, v131, v5, vcc
	global_load_ushort v132, v[130:131], off
	s_nop 0
	buffer_load_dword v130, off, s[40:43], 0 offset:8 ; 4-byte Folded Reload
	buffer_load_dword v131, off, s[40:43], 0 offset:12 ; 4-byte Folded Reload
	s_waitcnt vmcnt(1)
	v_add_co_u32_e32 v130, vcc, v130, v4
	s_waitcnt vmcnt(0)
	v_addc_co_u32_e32 v131, vcc, v131, v5, vcc
	global_load_ushort v134, v[130:131], off
	v_add_co_u32_e32 v130, vcc, v6, v4
	v_addc_co_u32_e32 v131, vcc, v7, v5, vcc
	global_load_ushort v137, v[130:131], off
	v_add_co_u32_e32 v130, vcc, v68, v4
	;; [unrolled: 3-line block ×62, first 2 shown]
	v_addc_co_u32_e32 v131, vcc, v129, v5, vcc
	global_load_ushort v130, v[130:131], off
	v_cvt_f32_f16_e32 v131, v132
	s_waitcnt vmcnt(62)
	v_cvt_f32_f16_e32 v132, v134
	s_waitcnt vmcnt(61)
	;; [unrolled: 2-line block ×60, first 2 shown]
	v_cvt_f32_f16_e32 v201, v202
	ds_bpermute_b32 v202, v145, v133
	s_waitcnt vmcnt(2)
	v_cvt_f32_f16_e32 v203, v203
	s_waitcnt lgkmcnt(0)
	v_sub_f32_e32 v132, v132, v202
	ds_bpermute_b32 v202, v145, v133 offset:4
	v_mul_f32_e32 v132, v132, v131
	v_fmac_f32_e32 v146, v132, v205
	ds_bpermute_b32 v132, v145, v2 offset:4
	v_add_f32_e32 v131, v208, v131
	s_waitcnt lgkmcnt(1)
	v_sub_f32_e32 v137, v137, v202
	ds_bpermute_b32 v202, v145, v133 offset:8
	v_mul_f32_e32 v137, v137, v134
	s_waitcnt lgkmcnt(1)
	v_fmac_f32_e32 v146, v137, v132
	ds_bpermute_b32 v132, v145, v2 offset:8
	v_add_f32_e32 v131, v131, v134
	s_waitcnt lgkmcnt(1)
	v_sub_f32_e32 v134, v139, v202
	ds_bpermute_b32 v137, v145, v133 offset:12
	v_mul_f32_e32 v134, v134, v138
	s_waitcnt lgkmcnt(1)
	;; [unrolled: 8-line block ×24, first 2 shown]
	v_fmac_f32_e32 v146, v134, v132
	ds_bpermute_b32 v132, v145, v2 offset:100
	s_waitcnt vmcnt(0)
	v_cvt_f32_f16_e32 v130, v130
	s_waitcnt lgkmcnt(1)
	v_sub_f32_e32 v134, v192, v137
	ds_bpermute_b32 v137, v145, v133 offset:104
	v_mul_f32_e32 v134, v134, v191
	s_waitcnt lgkmcnt(1)
	v_fmac_f32_e32 v146, v134, v132
	ds_bpermute_b32 v132, v145, v2 offset:104
	v_add_f32_e32 v131, v131, v189
	s_waitcnt lgkmcnt(1)
	v_sub_f32_e32 v134, v194, v137
	ds_bpermute_b32 v137, v145, v133 offset:108
	v_mul_f32_e32 v134, v134, v193
	s_waitcnt lgkmcnt(1)
	v_fmac_f32_e32 v146, v134, v132
	ds_bpermute_b32 v132, v145, v2 offset:108
	v_cvt_f32_f16_e32 v204, v204
	s_waitcnt lgkmcnt(1)
	v_sub_f32_e32 v134, v196, v137
	ds_bpermute_b32 v137, v145, v133 offset:112
	v_mul_f32_e32 v134, v134, v195
	s_waitcnt lgkmcnt(1)
	v_fmac_f32_e32 v146, v134, v132
	ds_bpermute_b32 v132, v145, v2 offset:112
	v_add_f32_e32 v131, v131, v191
	s_waitcnt lgkmcnt(1)
	v_sub_f32_e32 v134, v198, v137
	ds_bpermute_b32 v137, v145, v133 offset:116
	v_mul_f32_e32 v134, v134, v197
	s_waitcnt lgkmcnt(1)
	v_fmac_f32_e32 v146, v134, v132
	ds_bpermute_b32 v132, v145, v2 offset:116
	v_add_f32_e32 v131, v131, v193
	s_waitcnt lgkmcnt(1)
	v_sub_f32_e32 v134, v200, v137
	ds_bpermute_b32 v137, v145, v133 offset:120
	v_mul_f32_e32 v134, v134, v199
	ds_bpermute_b32 v133, v145, v133 offset:124
	s_waitcnt lgkmcnt(2)
	v_fmac_f32_e32 v146, v134, v132
	ds_bpermute_b32 v132, v145, v2 offset:120
	ds_bpermute_b32 v2, v145, v2 offset:124
	v_add_f32_e32 v131, v131, v195
	s_waitcnt lgkmcnt(3)
	v_sub_f32_e32 v134, v203, v137
	v_add_f32_e32 v131, v131, v197
	v_mul_f32_e32 v134, v134, v201
	s_waitcnt lgkmcnt(2)
	v_sub_f32_e32 v130, v130, v133
	v_add_f32_e32 v131, v131, v199
	s_waitcnt lgkmcnt(1)
	v_fmac_f32_e32 v146, v134, v132
	v_mul_f32_e32 v130, v130, v204
	v_add_f32_e32 v131, v131, v201
	s_waitcnt lgkmcnt(0)
	v_fmac_f32_e32 v146, v130, v2
	v_add_f32_e32 v133, v131, v204
	v_mov_b32_e32 v130, v146
.LBB84_225:                             ;   in Loop: Header=BB84_149 Depth=1
	buffer_load_dword v2, off, s[40:43], 0  ; 4-byte Folded Reload
	buffer_load_dword v131, off, s[40:43], 0 offset:4 ; 4-byte Folded Reload
	s_add_u32 s16, s16, s7
	s_addc_u32 s17, s17, 0
	s_add_u32 s26, s26, s7
	s_addc_u32 s27, 0, s27
	s_waitcnt vmcnt(1)
	v_add_co_u32_e32 v2, vcc, s10, v2
	buffer_store_dword v2, off, s[40:43], 0 ; 4-byte Folded Spill
	v_mov_b32_e32 v2, s11
	s_waitcnt vmcnt(1)
	v_addc_co_u32_e32 v131, vcc, v131, v2, vcc
	buffer_store_dword v131, off, s[40:43], 0 offset:4 ; 4-byte Folded Spill
	buffer_load_dword v131, off, s[40:43], 0 offset:8 ; 4-byte Folded Reload
	s_waitcnt vmcnt(0)
	v_add_co_u32_e32 v131, vcc, s10, v131
	buffer_store_dword v131, off, s[40:43], 0 offset:8 ; 4-byte Folded Spill
	buffer_load_dword v131, off, s[40:43], 0 offset:12 ; 4-byte Folded Reload
	s_waitcnt vmcnt(0)
	v_addc_co_u32_e32 v131, vcc, v131, v2, vcc
	v_add_co_u32_e32 v135, vcc, s7, v135
	v_addc_co_u32_e32 v136, vcc, 0, v136, vcc
	v_add_co_u32_e32 v6, vcc, s10, v6
	;; [unrolled: 2-line block ×23, first 2 shown]
	v_addc_co_u32_e32 v49, vcc, v49, v2, vcc
	buffer_store_dword v131, off, s[40:43], 0 offset:12 ; 4-byte Folded Spill
	v_add_co_u32_e32 v50, vcc, s10, v50
	buffer_load_dword v131, off, s[40:43], 0 offset:16 ; 4-byte Folded Reload
	v_addc_co_u32_e32 v51, vcc, v51, v2, vcc
	v_add_co_u32_e32 v52, vcc, s10, v52
	v_addc_co_u32_e32 v53, vcc, v53, v2, vcc
	v_add_co_u32_e32 v54, vcc, s10, v54
	v_addc_co_u32_e32 v55, vcc, v55, v2, vcc
	v_add_co_u32_e32 v56, vcc, s10, v56
	v_addc_co_u32_e32 v57, vcc, v57, v2, vcc
	v_add_co_u32_e32 v58, vcc, s10, v58
	v_addc_co_u32_e32 v59, vcc, v59, v2, vcc
	v_add_co_u32_e32 v60, vcc, s10, v60
	v_addc_co_u32_e32 v61, vcc, v61, v2, vcc
	v_add_co_u32_e32 v62, vcc, s10, v62
	v_addc_co_u32_e32 v63, vcc, v63, v2, vcc
	v_add_co_u32_e32 v64, vcc, s10, v64
	v_addc_co_u32_e32 v65, vcc, v65, v2, vcc
	v_add_co_u32_e32 v66, vcc, s10, v66
	v_addc_co_u32_e32 v67, vcc, v67, v2, vcc
	v_add_co_u32_e32 v68, vcc, s10, v68
	v_addc_co_u32_e32 v69, vcc, v69, v2, vcc
	v_add_co_u32_e32 v70, vcc, s10, v70
	v_addc_co_u32_e32 v71, vcc, v71, v2, vcc
	v_add_co_u32_e32 v72, vcc, s10, v72
	v_addc_co_u32_e32 v73, vcc, v73, v2, vcc
	v_add_co_u32_e32 v74, vcc, s10, v74
	v_addc_co_u32_e32 v75, vcc, v75, v2, vcc
	v_add_co_u32_e32 v76, vcc, s10, v76
	v_addc_co_u32_e32 v77, vcc, v77, v2, vcc
	v_add_co_u32_e32 v78, vcc, s10, v78
	v_addc_co_u32_e32 v79, vcc, v79, v2, vcc
	v_add_co_u32_e32 v80, vcc, s10, v80
	v_addc_co_u32_e32 v81, vcc, v81, v2, vcc
	v_add_co_u32_e32 v82, vcc, s10, v82
	v_addc_co_u32_e32 v83, vcc, v83, v2, vcc
	v_add_co_u32_e32 v84, vcc, s10, v84
	v_addc_co_u32_e32 v85, vcc, v85, v2, vcc
	v_add_co_u32_e32 v86, vcc, s10, v86
	v_addc_co_u32_e32 v87, vcc, v87, v2, vcc
	v_add_co_u32_e32 v88, vcc, s10, v88
	v_addc_co_u32_e32 v89, vcc, v89, v2, vcc
	v_add_co_u32_e32 v90, vcc, s10, v90
	v_addc_co_u32_e32 v91, vcc, v91, v2, vcc
	v_add_co_u32_e32 v92, vcc, s10, v92
	v_addc_co_u32_e32 v93, vcc, v93, v2, vcc
	v_add_co_u32_e32 v94, vcc, s10, v94
	v_addc_co_u32_e32 v95, vcc, v95, v2, vcc
	v_add_co_u32_e32 v96, vcc, s10, v96
	v_addc_co_u32_e32 v97, vcc, v97, v2, vcc
	v_add_co_u32_e32 v98, vcc, s10, v98
	v_addc_co_u32_e32 v99, vcc, v99, v2, vcc
	v_add_co_u32_e32 v100, vcc, s10, v100
	v_addc_co_u32_e32 v101, vcc, v101, v2, vcc
	v_add_co_u32_e32 v102, vcc, s10, v102
	v_addc_co_u32_e32 v103, vcc, v103, v2, vcc
	v_add_co_u32_e32 v104, vcc, s10, v104
	v_addc_co_u32_e32 v105, vcc, v105, v2, vcc
	v_add_co_u32_e32 v106, vcc, s10, v106
	v_addc_co_u32_e32 v107, vcc, v107, v2, vcc
	v_add_co_u32_e32 v108, vcc, s10, v108
	v_addc_co_u32_e32 v109, vcc, v109, v2, vcc
	v_add_co_u32_e32 v110, vcc, s10, v110
	v_addc_co_u32_e32 v111, vcc, v111, v2, vcc
	v_add_co_u32_e32 v112, vcc, s10, v112
	v_addc_co_u32_e32 v113, vcc, v113, v2, vcc
	v_add_co_u32_e32 v114, vcc, s10, v114
	v_addc_co_u32_e32 v115, vcc, v115, v2, vcc
	v_add_co_u32_e32 v116, vcc, s10, v116
	v_addc_co_u32_e32 v117, vcc, v117, v2, vcc
	v_add_co_u32_e32 v118, vcc, s10, v118
	v_addc_co_u32_e32 v119, vcc, v119, v2, vcc
	v_add_co_u32_e32 v120, vcc, s10, v120
	v_addc_co_u32_e32 v121, vcc, v121, v2, vcc
	v_add_co_u32_e32 v122, vcc, s10, v122
	v_addc_co_u32_e32 v123, vcc, v123, v2, vcc
	v_add_co_u32_e32 v124, vcc, s10, v124
	v_addc_co_u32_e32 v125, vcc, v125, v2, vcc
	v_add_co_u32_e32 v126, vcc, s10, v126
	v_addc_co_u32_e32 v127, vcc, v127, v2, vcc
	v_add_co_u32_e32 v128, vcc, s10, v128
	v_addc_co_u32_e32 v129, vcc, v129, v2, vcc
	s_waitcnt vmcnt(0)
	v_add_co_u32_e32 v131, vcc, s10, v131
	buffer_store_dword v131, off, s[40:43], 0 offset:16 ; 4-byte Folded Spill
	buffer_load_dword v131, off, s[40:43], 0 offset:20 ; 4-byte Folded Reload
	s_waitcnt vmcnt(0)
	v_addc_co_u32_e32 v131, vcc, v131, v2, vcc
	buffer_store_dword v131, off, s[40:43], 0 offset:20 ; 4-byte Folded Spill
	buffer_load_dword v131, off, s[40:43], 0 offset:24 ; 4-byte Folded Reload
	s_waitcnt vmcnt(0)
	v_add_co_u32_e32 v131, vcc, s10, v131
	buffer_store_dword v131, off, s[40:43], 0 offset:24 ; 4-byte Folded Spill
	buffer_load_dword v131, off, s[40:43], 0 offset:28 ; 4-byte Folded Reload
	s_waitcnt vmcnt(0)
	v_addc_co_u32_e32 v131, vcc, v131, v2, vcc
	buffer_store_dword v131, off, s[40:43], 0 offset:28 ; 4-byte Folded Spill
	buffer_load_dword v131, off, s[40:43], 0 offset:32 ; 4-byte Folded Reload
	;; [unrolled: 8-line block ×34, first 2 shown]
	s_waitcnt vmcnt(0)
	v_add_co_u32_e32 v131, vcc, s10, v131
	v_addc_co_u32_e32 v209, vcc, v209, v2, vcc
	v_add_co_u32_e32 v210, vcc, s10, v210
	v_addc_co_u32_e32 v211, vcc, v211, v2, vcc
	;; [unrolled: 2-line block ×27, first 2 shown]
	buffer_store_dword v131, off, s[40:43], 0 offset:288 ; 4-byte Folded Spill
	v_add_co_u32_e32 v143, vcc, s10, v143
	v_mov_b32_e32 v132, s13
	v_addc_co_u32_e32 v144, vcc, v144, v2, vcc
	v_mov_b32_e32 v131, s12
	v_cmp_ge_i64_e32 vcc, s[16:17], v[131:132]
	s_cbranch_vccnz .LBB84_227
; %bb.226:                              ;   in Loop: Header=BB84_149 Depth=1
	v_mov_b32_e32 v208, v133
	v_mov_b32_e32 v146, v130
	s_branch .LBB84_149
.LBB84_227:
	buffer_load_dword v1, off, s[40:43], 0 offset:292 ; 4-byte Folded Reload
	buffer_load_dword v2, off, s[40:43], 0 offset:296 ; 4-byte Folded Reload
	;; [unrolled: 1-line block ×3, first 2 shown]
.LBB84_228:
	s_mov_b32 s7, 0
	s_lshl_b64 s[0:1], s[6:7], 5
	s_waitcnt vmcnt(0)
	v_or_b32_e32 v4, s0, v0
	v_mov_b32_e32 v5, s1
	v_cmp_gt_i64_e32 vcc, s[14:15], v[4:5]
	s_and_saveexec_b64 s[0:1], vcc
	s_cbranch_execz .LBB84_233
; %bb.229:
	s_load_dword s0, s[4:5], 0x4c
	v_mov_b32_e32 v2, 0
	v_mov_b32_e32 v0, s8
	s_waitcnt lgkmcnt(0)
	s_lshr_b32 s0, s0, 16
	v_mad_u64_u32 v[2:3], s[0:1], s0, v0, v[1:2]
	s_load_dwordx4 s[0:3], s[4:5], 0x30
	v_lshlrev_b64 v[0:1], 1, v[4:5]
	v_mul_lo_u32 v3, v3, s14
	v_mul_lo_u32 v6, v2, s15
	s_waitcnt lgkmcnt(0)
	s_cmp_eq_u64 s[0:1], 0
	s_cbranch_scc1 .LBB84_231
; %bb.230:
	v_mad_u64_u32 v[4:5], s[4:5], v2, s14, 0
	v_cvt_f16_f32_e32 v7, v130
	v_mov_b32_e32 v8, s1
	v_add3_u32 v5, v5, v6, v3
	v_lshlrev_b64 v[4:5], 1, v[4:5]
	v_add_co_u32_e32 v4, vcc, s0, v4
	v_addc_co_u32_e32 v5, vcc, v8, v5, vcc
	v_add_co_u32_e32 v4, vcc, v4, v0
	v_addc_co_u32_e32 v5, vcc, v5, v1, vcc
	global_store_short v[4:5], v7, off
.LBB84_231:
	s_cmp_eq_u64 s[2:3], 0
	s_cbranch_scc1 .LBB84_233
; %bb.232:
	v_mad_u64_u32 v[4:5], s[0:1], v2, s14, 0
	v_cvt_f16_f32_e32 v7, v133
	v_mov_b32_e32 v8, s3
	v_add3_u32 v5, v5, v6, v3
	v_lshlrev_b64 v[2:3], 1, v[4:5]
	v_add_co_u32_e32 v2, vcc, s2, v2
	v_addc_co_u32_e32 v3, vcc, v8, v3, vcc
	v_add_co_u32_e32 v0, vcc, v2, v0
	v_addc_co_u32_e32 v1, vcc, v3, v1, vcc
	global_store_short v[0:1], v7, off
.LBB84_233:
	s_endpgm
	.section	.rodata,"a",@progbits
	.p2align	6, 0x0
	.amdhsa_kernel _ZN2at6native12_GLOBAL__N_135GammaBetaBackwardCUDAKernelTemplateIN3c104HalfEfLj32ELj1ELj32ELb1ELb0ELb0EEEvllPKT_S7_PKT0_SA_PS5_SB_
		.amdhsa_group_segment_fixed_size 0
		.amdhsa_private_segment_fixed_size 316
		.amdhsa_kernarg_size 320
		.amdhsa_user_sgpr_count 6
		.amdhsa_user_sgpr_private_segment_buffer 1
		.amdhsa_user_sgpr_dispatch_ptr 0
		.amdhsa_user_sgpr_queue_ptr 0
		.amdhsa_user_sgpr_kernarg_segment_ptr 1
		.amdhsa_user_sgpr_dispatch_id 0
		.amdhsa_user_sgpr_flat_scratch_init 0
		.amdhsa_user_sgpr_private_segment_size 0
		.amdhsa_uses_dynamic_stack 0
		.amdhsa_system_sgpr_private_segment_wavefront_offset 1
		.amdhsa_system_sgpr_workgroup_id_x 1
		.amdhsa_system_sgpr_workgroup_id_y 1
		.amdhsa_system_sgpr_workgroup_id_z 0
		.amdhsa_system_sgpr_workgroup_info 0
		.amdhsa_system_vgpr_workitem_id 1
		.amdhsa_next_free_vgpr 256
		.amdhsa_next_free_sgpr 44
		.amdhsa_reserve_vcc 1
		.amdhsa_reserve_flat_scratch 0
		.amdhsa_float_round_mode_32 0
		.amdhsa_float_round_mode_16_64 0
		.amdhsa_float_denorm_mode_32 3
		.amdhsa_float_denorm_mode_16_64 3
		.amdhsa_dx10_clamp 1
		.amdhsa_ieee_mode 1
		.amdhsa_fp16_overflow 0
		.amdhsa_exception_fp_ieee_invalid_op 0
		.amdhsa_exception_fp_denorm_src 0
		.amdhsa_exception_fp_ieee_div_zero 0
		.amdhsa_exception_fp_ieee_overflow 0
		.amdhsa_exception_fp_ieee_underflow 0
		.amdhsa_exception_fp_ieee_inexact 0
		.amdhsa_exception_int_div_zero 0
	.end_amdhsa_kernel
	.section	.text._ZN2at6native12_GLOBAL__N_135GammaBetaBackwardCUDAKernelTemplateIN3c104HalfEfLj32ELj1ELj32ELb1ELb0ELb0EEEvllPKT_S7_PKT0_SA_PS5_SB_,"axG",@progbits,_ZN2at6native12_GLOBAL__N_135GammaBetaBackwardCUDAKernelTemplateIN3c104HalfEfLj32ELj1ELj32ELb1ELb0ELb0EEEvllPKT_S7_PKT0_SA_PS5_SB_,comdat
.Lfunc_end84:
	.size	_ZN2at6native12_GLOBAL__N_135GammaBetaBackwardCUDAKernelTemplateIN3c104HalfEfLj32ELj1ELj32ELb1ELb0ELb0EEEvllPKT_S7_PKT0_SA_PS5_SB_, .Lfunc_end84-_ZN2at6native12_GLOBAL__N_135GammaBetaBackwardCUDAKernelTemplateIN3c104HalfEfLj32ELj1ELj32ELb1ELb0ELb0EEEvllPKT_S7_PKT0_SA_PS5_SB_
                                        ; -- End function
	.set _ZN2at6native12_GLOBAL__N_135GammaBetaBackwardCUDAKernelTemplateIN3c104HalfEfLj32ELj1ELj32ELb1ELb0ELb0EEEvllPKT_S7_PKT0_SA_PS5_SB_.num_vgpr, 256
	.set _ZN2at6native12_GLOBAL__N_135GammaBetaBackwardCUDAKernelTemplateIN3c104HalfEfLj32ELj1ELj32ELb1ELb0ELb0EEEvllPKT_S7_PKT0_SA_PS5_SB_.num_agpr, 0
	.set _ZN2at6native12_GLOBAL__N_135GammaBetaBackwardCUDAKernelTemplateIN3c104HalfEfLj32ELj1ELj32ELb1ELb0ELb0EEEvllPKT_S7_PKT0_SA_PS5_SB_.numbered_sgpr, 44
	.set _ZN2at6native12_GLOBAL__N_135GammaBetaBackwardCUDAKernelTemplateIN3c104HalfEfLj32ELj1ELj32ELb1ELb0ELb0EEEvllPKT_S7_PKT0_SA_PS5_SB_.num_named_barrier, 0
	.set _ZN2at6native12_GLOBAL__N_135GammaBetaBackwardCUDAKernelTemplateIN3c104HalfEfLj32ELj1ELj32ELb1ELb0ELb0EEEvllPKT_S7_PKT0_SA_PS5_SB_.private_seg_size, 316
	.set _ZN2at6native12_GLOBAL__N_135GammaBetaBackwardCUDAKernelTemplateIN3c104HalfEfLj32ELj1ELj32ELb1ELb0ELb0EEEvllPKT_S7_PKT0_SA_PS5_SB_.uses_vcc, 1
	.set _ZN2at6native12_GLOBAL__N_135GammaBetaBackwardCUDAKernelTemplateIN3c104HalfEfLj32ELj1ELj32ELb1ELb0ELb0EEEvllPKT_S7_PKT0_SA_PS5_SB_.uses_flat_scratch, 0
	.set _ZN2at6native12_GLOBAL__N_135GammaBetaBackwardCUDAKernelTemplateIN3c104HalfEfLj32ELj1ELj32ELb1ELb0ELb0EEEvllPKT_S7_PKT0_SA_PS5_SB_.has_dyn_sized_stack, 0
	.set _ZN2at6native12_GLOBAL__N_135GammaBetaBackwardCUDAKernelTemplateIN3c104HalfEfLj32ELj1ELj32ELb1ELb0ELb0EEEvllPKT_S7_PKT0_SA_PS5_SB_.has_recursion, 0
	.set _ZN2at6native12_GLOBAL__N_135GammaBetaBackwardCUDAKernelTemplateIN3c104HalfEfLj32ELj1ELj32ELb1ELb0ELb0EEEvllPKT_S7_PKT0_SA_PS5_SB_.has_indirect_call, 0
	.section	.AMDGPU.csdata,"",@progbits
; Kernel info:
; codeLenInByte = 26396
; TotalNumSgprs: 48
; NumVgprs: 256
; ScratchSize: 316
; MemoryBound: 0
; FloatMode: 240
; IeeeMode: 1
; LDSByteSize: 0 bytes/workgroup (compile time only)
; SGPRBlocks: 5
; VGPRBlocks: 63
; NumSGPRsForWavesPerEU: 48
; NumVGPRsForWavesPerEU: 256
; Occupancy: 1
; WaveLimiterHint : 0
; COMPUTE_PGM_RSRC2:SCRATCH_EN: 1
; COMPUTE_PGM_RSRC2:USER_SGPR: 6
; COMPUTE_PGM_RSRC2:TRAP_HANDLER: 0
; COMPUTE_PGM_RSRC2:TGID_X_EN: 1
; COMPUTE_PGM_RSRC2:TGID_Y_EN: 1
; COMPUTE_PGM_RSRC2:TGID_Z_EN: 0
; COMPUTE_PGM_RSRC2:TIDIG_COMP_CNT: 1
	.section	.text._ZN2at6native12_GLOBAL__N_135GammaBetaBackwardCUDAKernelTemplateIN3c104HalfEfLj32ELj1ELj8ELb1ELb1ELb0EEEvllPKT_S7_PKT0_SA_PS5_SB_,"axG",@progbits,_ZN2at6native12_GLOBAL__N_135GammaBetaBackwardCUDAKernelTemplateIN3c104HalfEfLj32ELj1ELj8ELb1ELb1ELb0EEEvllPKT_S7_PKT0_SA_PS5_SB_,comdat
	.globl	_ZN2at6native12_GLOBAL__N_135GammaBetaBackwardCUDAKernelTemplateIN3c104HalfEfLj32ELj1ELj8ELb1ELb1ELb0EEEvllPKT_S7_PKT0_SA_PS5_SB_ ; -- Begin function _ZN2at6native12_GLOBAL__N_135GammaBetaBackwardCUDAKernelTemplateIN3c104HalfEfLj32ELj1ELj8ELb1ELb1ELb0EEEvllPKT_S7_PKT0_SA_PS5_SB_
	.p2align	8
	.type	_ZN2at6native12_GLOBAL__N_135GammaBetaBackwardCUDAKernelTemplateIN3c104HalfEfLj32ELj1ELj8ELb1ELb1ELb0EEEvllPKT_S7_PKT0_SA_PS5_SB_,@function
_ZN2at6native12_GLOBAL__N_135GammaBetaBackwardCUDAKernelTemplateIN3c104HalfEfLj32ELj1ELj8ELb1ELb1ELb0EEEvllPKT_S7_PKT0_SA_PS5_SB_: ; @_ZN2at6native12_GLOBAL__N_135GammaBetaBackwardCUDAKernelTemplateIN3c104HalfEfLj32ELj1ELj8ELb1ELb1ELb0EEEvllPKT_S7_PKT0_SA_PS5_SB_
; %bb.0:
	s_load_dwordx4 s[16:19], s[4:5], 0x0
	s_lshl_b32 s24, s7, 3
	s_mov_b32 s25, 0
	v_mov_b32_e32 v2, s24
	v_mov_b32_e32 v3, s25
	s_waitcnt lgkmcnt(0)
	v_cmp_gt_i64_e32 vcc, s[16:17], v[2:3]
	s_mov_b32 s2, s7
	s_cbranch_vccnz .LBB85_2
; %bb.1:
	s_add_u32 s26, s4, 64
	s_addc_u32 s27, s5, 0
	s_mov_b64 s[0:1], 0
	s_branch .LBB85_3
.LBB85_2:
	s_mov_b64 s[0:1], -1
                                        ; implicit-def: $sgpr26_sgpr27
.LBB85_3:
	s_load_dwordx4 s[20:23], s[4:5], 0x30
	v_mov_b32_e32 v5, 0
	s_andn2_b64 vcc, exec, s[0:1]
	v_mov_b32_e32 v4, 0
	s_cbranch_vccnz .LBB85_11
; %bb.4:
	v_mbcnt_lo_u32_b32 v4, -1, 0
	v_lshlrev_b32_e32 v3, 3, v1
	v_mbcnt_hi_u32_b32 v4, -1, v4
	s_load_dword s0, s[4:5], 0x4c
	s_load_dword s3, s[4:5], 0x44
	s_load_dwordx8 s[8:15], s[4:5], 0x10
	s_add_u32 s26, s4, 64
	v_lshlrev_b32_e32 v4, 2, v4
	v_add_co_u32_e32 v3, vcc, s24, v3
	s_addc_u32 s27, s5, 0
	v_and_b32_e32 v7, 0x100, v4
	v_addc_co_u32_e64 v4, s[4:5], 0, 0, vcc
	v_mul_lo_u32 v17, s19, v3
	v_mul_lo_u32 v18, s18, v4
	v_mad_u64_u32 v[15:16], s[4:5], s18, v3, 0
	s_waitcnt lgkmcnt(0)
	s_and_b32 s0, s0, 0xffff
	v_mad_u32_u24 v2, v1, s0, v0
	v_and_b32_e32 v2, 63, v2
	v_cmp_gt_u32_e64 s[0:1], 8, v2
	v_mov_b32_e32 v6, 0
	v_lshl_or_b32 v5, s6, 5, v0
	v_add_co_u32_e32 v2, vcc, v3, v2
	v_add3_u32 v16, v16, v18, v17
	v_addc_co_u32_e32 v3, vcc, 0, v4, vcc
	v_lshlrev_b64 v[15:16], 1, v[15:16]
	v_lshlrev_b64 v[4:5], 1, v[5:6]
	s_lshl_b32 s28, s3, 3
	v_add_co_u32_e32 v15, vcc, v15, v4
	s_mul_i32 s3, s19, s28
	s_mul_hi_u32 s4, s18, s28
	s_mov_b32 s29, 0
	v_addc_co_u32_e32 v16, vcc, v16, v5, vcc
	v_lshlrev_b64 v[4:5], 2, v[2:3]
	s_add_i32 s5, s4, s3
	s_mul_i32 s4, s18, s28
	v_or_b32_e32 v8, 4, v7
	v_or_b32_e32 v9, 8, v7
	;; [unrolled: 1-line block ×7, first 2 shown]
	s_lshl_b64 s[30:31], s[28:29], 2
	s_lshl_b64 s[34:35], s[4:5], 1
	;; [unrolled: 1-line block ×3, first 2 shown]
	v_mov_b32_e32 v17, v6
	s_branch .LBB85_7
.LBB85_5:                               ;   in Loop: Header=BB85_7 Depth=1
	s_or_b64 exec, exec, s[38:39]
.LBB85_6:                               ;   in Loop: Header=BB85_7 Depth=1
	s_or_b64 exec, exec, s[4:5]
	v_mov_b32_e32 v21, s11
	v_add_co_u32_e32 v20, vcc, s10, v15
	v_addc_co_u32_e32 v21, vcc, v21, v16, vcc
	v_mov_b32_e32 v26, s37
	v_add_co_u32_e32 v22, vcc, s36, v20
	v_addc_co_u32_e32 v23, vcc, v21, v26, vcc
	global_load_ushort v27, v[20:21], off
	v_mov_b32_e32 v21, s9
	v_add_co_u32_e32 v20, vcc, s8, v15
	v_addc_co_u32_e32 v21, vcc, v21, v16, vcc
	v_add_co_u32_e32 v24, vcc, s36, v20
	global_load_ushort v20, v[20:21], off
	v_addc_co_u32_e32 v25, vcc, v21, v26, vcc
	s_add_u32 s24, s24, s28
	s_addc_u32 s25, s25, 0
	v_add_co_u32_e64 v15, s[4:5], s34, v15
	s_waitcnt vmcnt(1)
	v_cvt_f32_f16_e32 v21, v27
	ds_bpermute_b32 v27, v7, v19
	s_waitcnt lgkmcnt(0)
	v_sub_f32_e32 v21, v21, v27
	global_load_ushort v27, v[22:23], off
	s_waitcnt vmcnt(1)
	v_cvt_f32_f16_e32 v20, v20
	v_add_f32_e32 v6, v6, v20
	v_mul_f32_e32 v20, v21, v20
	ds_bpermute_b32 v21, v7, v18
	s_waitcnt lgkmcnt(0)
	v_fmac_f32_e32 v17, v20, v21
	v_add_co_u32_e32 v20, vcc, s36, v22
	v_addc_co_u32_e32 v21, vcc, v23, v26, vcc
	global_load_ushort v28, v[20:21], off
	v_add_co_u32_e32 v22, vcc, s36, v24
	global_load_ushort v24, v[24:25], off
	v_addc_co_u32_e32 v23, vcc, v25, v26, vcc
	s_waitcnt vmcnt(2)
	v_cvt_f32_f16_e32 v25, v27
	ds_bpermute_b32 v27, v8, v19
	s_waitcnt lgkmcnt(0)
	v_sub_f32_e32 v25, v25, v27
	s_waitcnt vmcnt(0)
	v_cvt_f32_f16_e32 v27, v24
	v_mul_f32_e32 v24, v25, v27
	ds_bpermute_b32 v25, v8, v18
	v_add_f32_e32 v6, v6, v27
	s_waitcnt lgkmcnt(0)
	v_fmac_f32_e32 v17, v24, v25
	v_add_co_u32_e32 v24, vcc, s36, v20
	v_addc_co_u32_e32 v25, vcc, v21, v26, vcc
	v_add_co_u32_e32 v20, vcc, s36, v22
	global_load_ushort v22, v[22:23], off
	v_addc_co_u32_e32 v21, vcc, v23, v26, vcc
	v_cvt_f32_f16_e32 v23, v28
	ds_bpermute_b32 v28, v9, v19
	global_load_ushort v29, v[24:25], off
	s_waitcnt lgkmcnt(0)
	v_sub_f32_e32 v23, v23, v28
	s_waitcnt vmcnt(1)
	v_cvt_f32_f16_e32 v28, v22
	v_mul_f32_e32 v22, v23, v28
	ds_bpermute_b32 v23, v9, v18
	v_add_f32_e32 v6, v6, v28
	s_waitcnt lgkmcnt(0)
	v_fmac_f32_e32 v17, v22, v23
	v_add_co_u32_e32 v22, vcc, s36, v24
	v_addc_co_u32_e32 v23, vcc, v25, v26, vcc
	global_load_ushort v30, v[22:23], off
	v_add_co_u32_e32 v24, vcc, s36, v20
	global_load_ushort v20, v[20:21], off
	v_addc_co_u32_e32 v25, vcc, v21, v26, vcc
	s_waitcnt vmcnt(2)
	v_cvt_f32_f16_e32 v21, v29
	ds_bpermute_b32 v29, v10, v19
	s_waitcnt lgkmcnt(0)
	v_sub_f32_e32 v21, v21, v29
	s_waitcnt vmcnt(0)
	v_cvt_f32_f16_e32 v29, v20
	v_mul_f32_e32 v20, v21, v29
	ds_bpermute_b32 v21, v10, v18
	v_add_f32_e32 v6, v6, v29
	s_waitcnt lgkmcnt(0)
	v_fmac_f32_e32 v17, v20, v21
	v_add_co_u32_e32 v20, vcc, s36, v22
	v_addc_co_u32_e32 v21, vcc, v23, v26, vcc
	global_load_ushort v31, v[20:21], off
	v_add_co_u32_e32 v22, vcc, s36, v24
	global_load_ushort v24, v[24:25], off
	v_addc_co_u32_e32 v23, vcc, v25, v26, vcc
	v_cvt_f32_f16_e32 v25, v30
	ds_bpermute_b32 v30, v11, v19
	s_waitcnt lgkmcnt(0)
	v_sub_f32_e32 v25, v25, v30
	s_waitcnt vmcnt(0)
	v_cvt_f32_f16_e32 v30, v24
	v_mul_f32_e32 v24, v25, v30
	ds_bpermute_b32 v25, v11, v18
	v_add_f32_e32 v6, v6, v30
	s_waitcnt lgkmcnt(0)
	v_fmac_f32_e32 v17, v24, v25
	v_add_co_u32_e32 v24, vcc, s36, v20
	v_addc_co_u32_e32 v25, vcc, v21, v26, vcc
	v_add_co_u32_e32 v20, vcc, s36, v22
	global_load_ushort v22, v[22:23], off
	v_addc_co_u32_e32 v21, vcc, v23, v26, vcc
	v_cvt_f32_f16_e32 v23, v31
	ds_bpermute_b32 v31, v12, v19
	global_load_ushort v32, v[24:25], off
	s_waitcnt lgkmcnt(0)
	v_sub_f32_e32 v23, v23, v31
	s_waitcnt vmcnt(1)
	v_cvt_f32_f16_e32 v31, v22
	v_mul_f32_e32 v22, v23, v31
	ds_bpermute_b32 v23, v12, v18
	v_add_f32_e32 v6, v6, v31
	s_waitcnt lgkmcnt(0)
	v_fmac_f32_e32 v17, v22, v23
	v_add_co_u32_e32 v22, vcc, s36, v24
	v_addc_co_u32_e32 v23, vcc, v25, v26, vcc
	v_add_co_u32_e32 v24, vcc, s36, v20
	global_load_ushort v20, v[20:21], off
	v_addc_co_u32_e32 v25, vcc, v21, v26, vcc
	ds_bpermute_b32 v26, v13, v19
	s_waitcnt vmcnt(1)
	v_cvt_f32_f16_e32 v21, v32
	ds_bpermute_b32 v19, v14, v19
	v_add_co_u32_e32 v4, vcc, s30, v4
	s_waitcnt lgkmcnt(1)
	v_sub_f32_e32 v21, v21, v26
	ds_bpermute_b32 v26, v13, v18
	ds_bpermute_b32 v18, v14, v18
	s_waitcnt vmcnt(0)
	v_cvt_f32_f16_e32 v20, v20
	v_mul_f32_e32 v21, v21, v20
	s_waitcnt lgkmcnt(1)
	v_fmac_f32_e32 v17, v21, v26
	global_load_ushort v21, v[24:25], off
	global_load_ushort v26, v[22:23], off
	v_add_f32_e32 v6, v6, v20
	v_mov_b32_e32 v20, s35
	v_addc_co_u32_e64 v16, s[4:5], v16, v20, s[4:5]
	s_waitcnt vmcnt(1)
	v_cvt_f32_f16_e32 v21, v21
	s_waitcnt vmcnt(0)
	v_cvt_f32_f16_e32 v22, v26
	v_add_f32_e32 v6, v6, v21
	v_sub_f32_e32 v19, v22, v19
	v_mul_f32_e32 v19, v19, v21
	s_waitcnt lgkmcnt(0)
	v_fmac_f32_e32 v17, v19, v18
	v_mov_b32_e32 v18, s31
	v_addc_co_u32_e32 v5, vcc, v5, v18, vcc
	v_add_co_u32_e32 v2, vcc, s28, v2
	v_mov_b32_e32 v19, s17
	v_addc_co_u32_e32 v3, vcc, 0, v3, vcc
	v_mov_b32_e32 v18, s16
	v_cmp_lt_i64_e32 vcc, s[24:25], v[18:19]
	s_cbranch_vccz .LBB85_10
.LBB85_7:                               ; =>This Inner Loop Header: Depth=1
	v_mov_b32_e32 v18, 0
	v_mov_b32_e32 v19, 0
	s_and_saveexec_b64 s[4:5], s[0:1]
	s_cbranch_execz .LBB85_6
; %bb.8:                                ;   in Loop: Header=BB85_7 Depth=1
	v_cmp_gt_i64_e32 vcc, s[16:17], v[2:3]
	v_mov_b32_e32 v19, 0
	v_mov_b32_e32 v18, 0
	s_and_saveexec_b64 s[38:39], vcc
	s_cbranch_execz .LBB85_5
; %bb.9:                                ;   in Loop: Header=BB85_7 Depth=1
	v_mov_b32_e32 v18, s15
	v_add_co_u32_e32 v20, vcc, s14, v4
	v_addc_co_u32_e32 v21, vcc, v18, v5, vcc
	v_mov_b32_e32 v18, s13
	v_add_co_u32_e32 v22, vcc, s12, v4
	v_addc_co_u32_e32 v23, vcc, v18, v5, vcc
	global_load_dword v19, v[22:23], off
	global_load_dword v18, v[20:21], off
	s_branch .LBB85_5
.LBB85_10:
	v_cvt_f16_f32_e32 v5, v17
	v_cvt_f16_f32_e32 v4, v6
.LBB85_11:
	s_load_dword s0, s[26:27], 0xc
	v_mov_b32_e32 v2, 0
	v_mov_b32_e32 v3, s2
	s_mov_b32 s7, 0
	s_waitcnt lgkmcnt(0)
	s_lshr_b32 s0, s0, 16
	v_mad_u64_u32 v[2:3], s[0:1], s0, v3, v[1:2]
	s_lshl_b64 s[0:1], s[6:7], 5
	v_or_b32_e32 v0, s0, v0
	v_mul_lo_u32 v3, v3, s18
	v_mul_lo_u32 v6, v2, s19
	v_mov_b32_e32 v1, s1
	v_lshlrev_b64 v[0:1], 1, v[0:1]
	s_cmp_eq_u64 s[20:21], 0
	s_cbranch_scc1 .LBB85_13
; %bb.12:
	v_mad_u64_u32 v[7:8], s[0:1], v2, s18, 0
	v_mov_b32_e32 v9, s21
	v_add3_u32 v8, v8, v6, v3
	v_lshlrev_b64 v[7:8], 1, v[7:8]
	v_add_co_u32_e32 v7, vcc, s20, v7
	v_addc_co_u32_e32 v8, vcc, v9, v8, vcc
	v_add_co_u32_e32 v7, vcc, v7, v0
	v_addc_co_u32_e32 v8, vcc, v8, v1, vcc
	global_store_short v[7:8], v5, off
.LBB85_13:
	s_cmp_eq_u64 s[22:23], 0
	s_cbranch_scc1 .LBB85_15
; %bb.14:
	v_mad_u64_u32 v[7:8], s[0:1], v2, s18, 0
	v_mov_b32_e32 v5, s23
	v_add3_u32 v8, v8, v6, v3
	v_lshlrev_b64 v[2:3], 1, v[7:8]
	v_add_co_u32_e32 v2, vcc, s22, v2
	v_addc_co_u32_e32 v3, vcc, v5, v3, vcc
	v_add_co_u32_e32 v0, vcc, v2, v0
	v_addc_co_u32_e32 v1, vcc, v3, v1, vcc
	global_store_short v[0:1], v4, off
.LBB85_15:
	s_endpgm
	.section	.rodata,"a",@progbits
	.p2align	6, 0x0
	.amdhsa_kernel _ZN2at6native12_GLOBAL__N_135GammaBetaBackwardCUDAKernelTemplateIN3c104HalfEfLj32ELj1ELj8ELb1ELb1ELb0EEEvllPKT_S7_PKT0_SA_PS5_SB_
		.amdhsa_group_segment_fixed_size 0
		.amdhsa_private_segment_fixed_size 0
		.amdhsa_kernarg_size 320
		.amdhsa_user_sgpr_count 6
		.amdhsa_user_sgpr_private_segment_buffer 1
		.amdhsa_user_sgpr_dispatch_ptr 0
		.amdhsa_user_sgpr_queue_ptr 0
		.amdhsa_user_sgpr_kernarg_segment_ptr 1
		.amdhsa_user_sgpr_dispatch_id 0
		.amdhsa_user_sgpr_flat_scratch_init 0
		.amdhsa_user_sgpr_private_segment_size 0
		.amdhsa_uses_dynamic_stack 0
		.amdhsa_system_sgpr_private_segment_wavefront_offset 0
		.amdhsa_system_sgpr_workgroup_id_x 1
		.amdhsa_system_sgpr_workgroup_id_y 1
		.amdhsa_system_sgpr_workgroup_id_z 0
		.amdhsa_system_sgpr_workgroup_info 0
		.amdhsa_system_vgpr_workitem_id 1
		.amdhsa_next_free_vgpr 33
		.amdhsa_next_free_sgpr 40
		.amdhsa_reserve_vcc 1
		.amdhsa_reserve_flat_scratch 0
		.amdhsa_float_round_mode_32 0
		.amdhsa_float_round_mode_16_64 0
		.amdhsa_float_denorm_mode_32 3
		.amdhsa_float_denorm_mode_16_64 3
		.amdhsa_dx10_clamp 1
		.amdhsa_ieee_mode 1
		.amdhsa_fp16_overflow 0
		.amdhsa_exception_fp_ieee_invalid_op 0
		.amdhsa_exception_fp_denorm_src 0
		.amdhsa_exception_fp_ieee_div_zero 0
		.amdhsa_exception_fp_ieee_overflow 0
		.amdhsa_exception_fp_ieee_underflow 0
		.amdhsa_exception_fp_ieee_inexact 0
		.amdhsa_exception_int_div_zero 0
	.end_amdhsa_kernel
	.section	.text._ZN2at6native12_GLOBAL__N_135GammaBetaBackwardCUDAKernelTemplateIN3c104HalfEfLj32ELj1ELj8ELb1ELb1ELb0EEEvllPKT_S7_PKT0_SA_PS5_SB_,"axG",@progbits,_ZN2at6native12_GLOBAL__N_135GammaBetaBackwardCUDAKernelTemplateIN3c104HalfEfLj32ELj1ELj8ELb1ELb1ELb0EEEvllPKT_S7_PKT0_SA_PS5_SB_,comdat
.Lfunc_end85:
	.size	_ZN2at6native12_GLOBAL__N_135GammaBetaBackwardCUDAKernelTemplateIN3c104HalfEfLj32ELj1ELj8ELb1ELb1ELb0EEEvllPKT_S7_PKT0_SA_PS5_SB_, .Lfunc_end85-_ZN2at6native12_GLOBAL__N_135GammaBetaBackwardCUDAKernelTemplateIN3c104HalfEfLj32ELj1ELj8ELb1ELb1ELb0EEEvllPKT_S7_PKT0_SA_PS5_SB_
                                        ; -- End function
	.set _ZN2at6native12_GLOBAL__N_135GammaBetaBackwardCUDAKernelTemplateIN3c104HalfEfLj32ELj1ELj8ELb1ELb1ELb0EEEvllPKT_S7_PKT0_SA_PS5_SB_.num_vgpr, 33
	.set _ZN2at6native12_GLOBAL__N_135GammaBetaBackwardCUDAKernelTemplateIN3c104HalfEfLj32ELj1ELj8ELb1ELb1ELb0EEEvllPKT_S7_PKT0_SA_PS5_SB_.num_agpr, 0
	.set _ZN2at6native12_GLOBAL__N_135GammaBetaBackwardCUDAKernelTemplateIN3c104HalfEfLj32ELj1ELj8ELb1ELb1ELb0EEEvllPKT_S7_PKT0_SA_PS5_SB_.numbered_sgpr, 40
	.set _ZN2at6native12_GLOBAL__N_135GammaBetaBackwardCUDAKernelTemplateIN3c104HalfEfLj32ELj1ELj8ELb1ELb1ELb0EEEvllPKT_S7_PKT0_SA_PS5_SB_.num_named_barrier, 0
	.set _ZN2at6native12_GLOBAL__N_135GammaBetaBackwardCUDAKernelTemplateIN3c104HalfEfLj32ELj1ELj8ELb1ELb1ELb0EEEvllPKT_S7_PKT0_SA_PS5_SB_.private_seg_size, 0
	.set _ZN2at6native12_GLOBAL__N_135GammaBetaBackwardCUDAKernelTemplateIN3c104HalfEfLj32ELj1ELj8ELb1ELb1ELb0EEEvllPKT_S7_PKT0_SA_PS5_SB_.uses_vcc, 1
	.set _ZN2at6native12_GLOBAL__N_135GammaBetaBackwardCUDAKernelTemplateIN3c104HalfEfLj32ELj1ELj8ELb1ELb1ELb0EEEvllPKT_S7_PKT0_SA_PS5_SB_.uses_flat_scratch, 0
	.set _ZN2at6native12_GLOBAL__N_135GammaBetaBackwardCUDAKernelTemplateIN3c104HalfEfLj32ELj1ELj8ELb1ELb1ELb0EEEvllPKT_S7_PKT0_SA_PS5_SB_.has_dyn_sized_stack, 0
	.set _ZN2at6native12_GLOBAL__N_135GammaBetaBackwardCUDAKernelTemplateIN3c104HalfEfLj32ELj1ELj8ELb1ELb1ELb0EEEvllPKT_S7_PKT0_SA_PS5_SB_.has_recursion, 0
	.set _ZN2at6native12_GLOBAL__N_135GammaBetaBackwardCUDAKernelTemplateIN3c104HalfEfLj32ELj1ELj8ELb1ELb1ELb0EEEvllPKT_S7_PKT0_SA_PS5_SB_.has_indirect_call, 0
	.section	.AMDGPU.csdata,"",@progbits
; Kernel info:
; codeLenInByte = 1404
; TotalNumSgprs: 44
; NumVgprs: 33
; ScratchSize: 0
; MemoryBound: 0
; FloatMode: 240
; IeeeMode: 1
; LDSByteSize: 0 bytes/workgroup (compile time only)
; SGPRBlocks: 5
; VGPRBlocks: 8
; NumSGPRsForWavesPerEU: 44
; NumVGPRsForWavesPerEU: 33
; Occupancy: 7
; WaveLimiterHint : 0
; COMPUTE_PGM_RSRC2:SCRATCH_EN: 0
; COMPUTE_PGM_RSRC2:USER_SGPR: 6
; COMPUTE_PGM_RSRC2:TRAP_HANDLER: 0
; COMPUTE_PGM_RSRC2:TGID_X_EN: 1
; COMPUTE_PGM_RSRC2:TGID_Y_EN: 1
; COMPUTE_PGM_RSRC2:TGID_Z_EN: 0
; COMPUTE_PGM_RSRC2:TIDIG_COMP_CNT: 1
	.section	.text._ZN2at6native12_GLOBAL__N_135GammaBetaBackwardCUDAKernelTemplateIN3c104HalfEfLj32ELj1ELj8ELb1ELb0ELb0EEEvllPKT_S7_PKT0_SA_PS5_SB_,"axG",@progbits,_ZN2at6native12_GLOBAL__N_135GammaBetaBackwardCUDAKernelTemplateIN3c104HalfEfLj32ELj1ELj8ELb1ELb0ELb0EEEvllPKT_S7_PKT0_SA_PS5_SB_,comdat
	.globl	_ZN2at6native12_GLOBAL__N_135GammaBetaBackwardCUDAKernelTemplateIN3c104HalfEfLj32ELj1ELj8ELb1ELb0ELb0EEEvllPKT_S7_PKT0_SA_PS5_SB_ ; -- Begin function _ZN2at6native12_GLOBAL__N_135GammaBetaBackwardCUDAKernelTemplateIN3c104HalfEfLj32ELj1ELj8ELb1ELb0ELb0EEEvllPKT_S7_PKT0_SA_PS5_SB_
	.p2align	8
	.type	_ZN2at6native12_GLOBAL__N_135GammaBetaBackwardCUDAKernelTemplateIN3c104HalfEfLj32ELj1ELj8ELb1ELb0ELb0EEEvllPKT_S7_PKT0_SA_PS5_SB_,@function
_ZN2at6native12_GLOBAL__N_135GammaBetaBackwardCUDAKernelTemplateIN3c104HalfEfLj32ELj1ELj8ELb1ELb0ELb0EEEvllPKT_S7_PKT0_SA_PS5_SB_: ; @_ZN2at6native12_GLOBAL__N_135GammaBetaBackwardCUDAKernelTemplateIN3c104HalfEfLj32ELj1ELj8ELb1ELb0ELb0EEEvllPKT_S7_PKT0_SA_PS5_SB_
; %bb.0:
	s_mov_b32 s8, s7
	s_load_dwordx8 s[12:19], s[4:5], 0x0
	s_load_dwordx4 s[20:23], s[4:5], 0x20
	s_lshl_b32 s24, s8, 3
	s_lshl_b32 s7, s6, 5
	s_mov_b32 s25, 0
	v_mov_b32_e32 v4, s24
	s_or_b32 s0, s7, 31
	v_mov_b32_e32 v5, s25
	v_mov_b32_e32 v2, s0
	v_mov_b32_e32 v3, 0
	s_waitcnt lgkmcnt(0)
	v_cmp_gt_i64_e64 s[0:1], s[12:13], v[4:5]
	v_cmp_le_i64_e32 vcc, s[14:15], v[2:3]
	v_cndmask_b32_e64 v2, 0, 1, s[0:1]
	v_cmp_ne_u32_e64 s[0:1], 1, v2
	s_cbranch_vccz .LBB86_49
; %bb.1:
	s_and_b64 vcc, exec, s[0:1]
	v_mov_b32_e32 v56, 0
	s_cbranch_vccnz .LBB86_50
; %bb.2:
	v_lshlrev_b32_e32 v23, 3, v1
	v_add_co_u32_e32 v9, vcc, s24, v23
	v_addc_co_u32_e64 v10, s[2:3], 0, 0, vcc
	v_mul_lo_u32 v7, s15, v9
	v_mul_lo_u32 v8, s14, v10
	v_mad_u64_u32 v[5:6], s[2:3], s14, v9, 0
	v_mov_b32_e32 v2, 0
	s_load_dword s9, s[4:5], 0x44
	v_add_u32_e32 v3, s7, v0
	v_mov_b32_e32 v4, v2
	v_add3_u32 v6, v6, v8, v7
	v_cmp_gt_i64_e64 s[2:3], s[14:15], v[3:4]
	v_lshlrev_b64 v[19:20], 1, v[3:4]
	v_lshlrev_b64 v[3:4], 1, v[5:6]
	s_add_u32 s26, s4, 64
	v_mov_b32_e32 v7, s17
	v_add_co_u32_e32 v25, vcc, s16, v3
	s_addc_u32 s27, s5, 0
	s_waitcnt lgkmcnt(0)
	s_lshl_b32 s9, s9, 3
	v_addc_co_u32_e32 v26, vcc, v7, v4, vcc
	s_mul_i32 s10, s15, s9
	s_mul_hi_u32 s11, s14, s9
	v_add_co_u32_e32 v7, vcc, 7, v9
	s_add_i32 s11, s11, s10
	s_mul_i32 s10, s14, s9
	v_addc_co_u32_e32 v8, vcc, 0, v10, vcc
	s_lshl_b64 s[28:29], s[10:11], 1
	v_mul_lo_u32 v12, s15, v7
	v_mul_lo_u32 v13, s14, v8
	v_mad_u64_u32 v[7:8], s[10:11], s14, v7, 0
	v_mov_b32_e32 v11, s19
	v_add_co_u32_e32 v27, vcc, s18, v3
	v_add3_u32 v8, v8, v13, v12
	v_addc_co_u32_e32 v28, vcc, v11, v4, vcc
	v_lshlrev_b64 v[3:4], 1, v[7:8]
	v_mov_b32_e32 v7, s17
	v_add_co_u32_e32 v29, vcc, s16, v3
	v_addc_co_u32_e32 v30, vcc, v7, v4, vcc
	v_add_co_u32_e32 v7, vcc, 6, v9
	v_addc_co_u32_e32 v8, vcc, 0, v10, vcc
	v_mul_lo_u32 v12, s15, v7
	v_mul_lo_u32 v13, s14, v8
	v_mad_u64_u32 v[7:8], s[10:11], s14, v7, 0
	v_add_co_u32_e32 v31, vcc, s18, v3
	v_add3_u32 v8, v8, v13, v12
	v_addc_co_u32_e32 v32, vcc, v11, v4, vcc
	v_lshlrev_b64 v[3:4], 1, v[7:8]
	v_mov_b32_e32 v7, s17
	v_add_co_u32_e32 v33, vcc, s16, v3
	v_addc_co_u32_e32 v34, vcc, v7, v4, vcc
	v_add_co_u32_e32 v7, vcc, 5, v9
	v_addc_co_u32_e32 v8, vcc, 0, v10, vcc
	v_mul_lo_u32 v12, s15, v7
	v_mul_lo_u32 v13, s14, v8
	v_mad_u64_u32 v[7:8], s[10:11], s14, v7, 0
	;; [unrolled: 12-line block ×5, first 2 shown]
	v_add_co_u32_e32 v47, vcc, s18, v3
	v_add3_u32 v8, v8, v10, v9
	v_addc_co_u32_e32 v48, vcc, v11, v4, vcc
	v_lshlrev_b64 v[3:4], 1, v[7:8]
	v_mov_b32_e32 v7, s17
	v_add_co_u32_e32 v49, vcc, s16, v3
	v_addc_co_u32_e32 v50, vcc, v7, v4, vcc
	v_mov_b32_e32 v7, s19
	v_add_co_u32_e32 v51, vcc, s18, v3
	v_addc_co_u32_e32 v52, vcc, v7, v4, vcc
	;; [unrolled: 3-line block ×3, first 2 shown]
	v_lshlrev_b64 v[3:4], 1, v[3:4]
	v_mov_b32_e32 v5, s17
	v_add_co_u32_e32 v53, vcc, s16, v3
	v_addc_co_u32_e32 v54, vcc, v5, v4, vcc
	v_add_co_u32_e32 v55, vcc, s18, v3
	v_mbcnt_lo_u32_b32 v3, -1, 0
	v_mbcnt_hi_u32_b32 v3, -1, v3
	v_mov_b32_e32 v5, s19
	v_lshlrev_b32_e32 v3, 2, v3
	v_mov_b32_e32 v24, v2
	s_mov_b64 s[30:31], 7
	v_addc_co_u32_e32 v57, vcc, v5, v4, vcc
	v_and_b32_e32 v58, 0x100, v3
	v_mov_b32_e32 v56, 0
	v_mov_b32_e32 v59, 0
	s_mov_b64 s[34:35], s[24:25]
.LBB86_3:                               ; =>This Inner Loop Header: Depth=1
	s_add_u32 s10, s24, s30
	v_mov_b32_e32 v3, s12
	s_addc_u32 s11, 0, s31
	v_mov_b32_e32 v4, s13
	v_cmp_ge_i64_e32 vcc, s[10:11], v[3:4]
	v_add_co_u32_e64 v21, s[10:11], s24, v23
	v_addc_co_u32_e64 v22, s[10:11], 0, v24, s[10:11]
	s_mov_b64 s[10:11], -1
	s_and_b64 vcc, exec, vcc
                                        ; implicit-def: $vgpr3_vgpr4_vgpr5_vgpr6_vgpr7_vgpr8_vgpr9_vgpr10
                                        ; implicit-def: $vgpr60
                                        ; implicit-def: $vgpr11_vgpr12_vgpr13_vgpr14_vgpr15_vgpr16_vgpr17_vgpr18
                                        ; implicit-def: $vgpr4
                                        ; implicit-def: $vgpr3
                                        ; implicit-def: $vgpr5
	s_cbranch_vccz .LBB86_25
; %bb.4:                                ;   in Loop: Header=BB86_3 Depth=1
	s_load_dword s10, s[26:27], 0xc
	v_mov_b32_e32 v60, 0
	v_mov_b32_e32 v61, 0
	s_waitcnt lgkmcnt(0)
	s_and_b32 s10, s10, 0xffff
	v_mad_u32_u24 v3, v1, s10, v0
	v_and_b32_e32 v3, 63, v3
	v_cmp_gt_u32_e32 vcc, 8, v3
	s_and_saveexec_b64 s[10:11], vcc
	s_cbranch_execz .LBB86_8
; %bb.5:                                ;   in Loop: Header=BB86_3 Depth=1
	v_add_co_u32_e32 v3, vcc, v21, v3
	v_addc_co_u32_e32 v4, vcc, 0, v22, vcc
	v_cmp_gt_i64_e32 vcc, s[12:13], v[3:4]
	v_mov_b32_e32 v61, 0
	v_mov_b32_e32 v60, 0
	s_and_saveexec_b64 s[36:37], vcc
	s_cbranch_execz .LBB86_7
; %bb.6:                                ;   in Loop: Header=BB86_3 Depth=1
	v_lshlrev_b64 v[3:4], 2, v[3:4]
	v_mov_b32_e32 v6, s23
	v_add_co_u32_e32 v5, vcc, s22, v3
	v_addc_co_u32_e32 v6, vcc, v6, v4, vcc
	v_mov_b32_e32 v7, s21
	v_add_co_u32_e32 v3, vcc, s20, v3
	v_addc_co_u32_e32 v4, vcc, v7, v4, vcc
	global_load_dword v61, v[3:4], off
	global_load_dword v60, v[5:6], off
.LBB86_7:                               ;   in Loop: Header=BB86_3 Depth=1
	s_or_b64 exec, exec, s[36:37]
.LBB86_8:                               ;   in Loop: Header=BB86_3 Depth=1
	s_or_b64 exec, exec, s[10:11]
	v_mov_b32_e32 v9, v2
	v_cmp_gt_i64_e32 vcc, s[12:13], v[21:22]
	v_mov_b32_e32 v3, v2
	v_mov_b32_e32 v4, v2
	;; [unrolled: 1-line block ×15, first 2 shown]
	s_and_b64 s[36:37], s[2:3], vcc
	v_mov_b32_e32 v9, v8
	v_mov_b32_e32 v8, v7
	;; [unrolled: 1-line block ×7, first 2 shown]
	s_and_saveexec_b64 s[10:11], s[36:37]
	s_cbranch_execz .LBB86_10
; %bb.9:                                ;   in Loop: Header=BB86_3 Depth=1
	v_add_co_u32_e32 v3, vcc, v25, v19
	v_addc_co_u32_e32 v4, vcc, v26, v20, vcc
	global_load_ushort v11, v[3:4], off
	v_add_co_u32_e32 v3, vcc, v27, v19
	v_addc_co_u32_e32 v4, vcc, v28, v20, vcc
	global_load_ushort v15, v[3:4], off
	v_mov_b32_e32 v4, v2
	v_mov_b32_e32 v5, v2
	;; [unrolled: 1-line block ×13, first 2 shown]
	s_waitcnt vmcnt(1)
	v_cvt_f32_f16_e32 v3, v11
	s_waitcnt vmcnt(0)
	v_cvt_f32_f16_e32 v11, v15
	v_mov_b32_e32 v15, v2
.LBB86_10:                              ;   in Loop: Header=BB86_3 Depth=1
	s_or_b64 exec, exec, s[10:11]
	v_add_co_u32_e32 v62, vcc, 1, v21
	v_addc_co_u32_e32 v63, vcc, 0, v22, vcc
	v_cmp_gt_i64_e32 vcc, s[12:13], v[62:63]
	s_and_b64 s[36:37], s[2:3], vcc
	s_and_saveexec_b64 s[10:11], s[36:37]
	s_cbranch_execz .LBB86_12
; %bb.11:                               ;   in Loop: Header=BB86_3 Depth=1
	v_add_co_u32_e32 v62, vcc, v53, v19
	v_addc_co_u32_e32 v63, vcc, v54, v20, vcc
	global_load_ushort v4, v[62:63], off
	v_add_co_u32_e32 v62, vcc, v55, v19
	v_addc_co_u32_e32 v63, vcc, v57, v20, vcc
	global_load_ushort v12, v[62:63], off
	s_waitcnt vmcnt(1)
	v_cvt_f32_f16_e32 v4, v4
	s_waitcnt vmcnt(0)
	v_cvt_f32_f16_e32 v12, v12
.LBB86_12:                              ;   in Loop: Header=BB86_3 Depth=1
	s_or_b64 exec, exec, s[10:11]
	v_add_co_u32_e32 v62, vcc, 2, v21
	v_addc_co_u32_e32 v63, vcc, 0, v22, vcc
	v_cmp_gt_i64_e32 vcc, s[12:13], v[62:63]
	s_and_b64 s[36:37], s[2:3], vcc
	s_and_saveexec_b64 s[10:11], s[36:37]
	s_cbranch_execz .LBB86_14
; %bb.13:                               ;   in Loop: Header=BB86_3 Depth=1
	v_add_co_u32_e32 v62, vcc, v49, v19
	v_addc_co_u32_e32 v63, vcc, v50, v20, vcc
	global_load_ushort v5, v[62:63], off
	v_add_co_u32_e32 v62, vcc, v51, v19
	v_addc_co_u32_e32 v63, vcc, v52, v20, vcc
	global_load_ushort v13, v[62:63], off
	s_waitcnt vmcnt(1)
	v_cvt_f32_f16_e32 v5, v5
	s_waitcnt vmcnt(0)
	v_cvt_f32_f16_e32 v13, v13
.LBB86_14:                              ;   in Loop: Header=BB86_3 Depth=1
	s_or_b64 exec, exec, s[10:11]
	v_add_co_u32_e32 v62, vcc, 3, v21
	v_addc_co_u32_e32 v63, vcc, 0, v22, vcc
	v_cmp_gt_i64_e32 vcc, s[12:13], v[62:63]
	s_and_b64 s[36:37], s[2:3], vcc
	s_and_saveexec_b64 s[10:11], s[36:37]
	s_cbranch_execz .LBB86_16
; %bb.15:                               ;   in Loop: Header=BB86_3 Depth=1
	v_add_co_u32_e32 v62, vcc, v45, v19
	v_addc_co_u32_e32 v63, vcc, v46, v20, vcc
	global_load_ushort v6, v[62:63], off
	v_add_co_u32_e32 v62, vcc, v47, v19
	v_addc_co_u32_e32 v63, vcc, v48, v20, vcc
	global_load_ushort v14, v[62:63], off
	s_waitcnt vmcnt(1)
	v_cvt_f32_f16_e32 v6, v6
	s_waitcnt vmcnt(0)
	v_cvt_f32_f16_e32 v14, v14
.LBB86_16:                              ;   in Loop: Header=BB86_3 Depth=1
	s_or_b64 exec, exec, s[10:11]
	v_add_co_u32_e32 v62, vcc, 4, v21
	v_addc_co_u32_e32 v63, vcc, 0, v22, vcc
	v_cmp_gt_i64_e32 vcc, s[12:13], v[62:63]
	s_and_b64 s[36:37], s[2:3], vcc
	s_and_saveexec_b64 s[10:11], s[36:37]
	s_cbranch_execz .LBB86_18
; %bb.17:                               ;   in Loop: Header=BB86_3 Depth=1
	v_add_co_u32_e32 v62, vcc, v41, v19
	v_addc_co_u32_e32 v63, vcc, v42, v20, vcc
	global_load_ushort v7, v[62:63], off
	v_add_co_u32_e32 v62, vcc, v43, v19
	v_addc_co_u32_e32 v63, vcc, v44, v20, vcc
	global_load_ushort v15, v[62:63], off
	s_waitcnt vmcnt(1)
	v_cvt_f32_f16_e32 v7, v7
	s_waitcnt vmcnt(0)
	v_cvt_f32_f16_e32 v15, v15
.LBB86_18:                              ;   in Loop: Header=BB86_3 Depth=1
	s_or_b64 exec, exec, s[10:11]
	v_add_co_u32_e32 v62, vcc, 5, v21
	v_addc_co_u32_e32 v63, vcc, 0, v22, vcc
	v_cmp_gt_i64_e32 vcc, s[12:13], v[62:63]
	s_and_b64 s[36:37], s[2:3], vcc
	s_and_saveexec_b64 s[10:11], s[36:37]
	s_cbranch_execz .LBB86_20
; %bb.19:                               ;   in Loop: Header=BB86_3 Depth=1
	v_add_co_u32_e32 v62, vcc, v37, v19
	v_addc_co_u32_e32 v63, vcc, v38, v20, vcc
	global_load_ushort v8, v[62:63], off
	v_add_co_u32_e32 v62, vcc, v39, v19
	v_addc_co_u32_e32 v63, vcc, v40, v20, vcc
	global_load_ushort v16, v[62:63], off
	s_waitcnt vmcnt(1)
	v_cvt_f32_f16_e32 v8, v8
	s_waitcnt vmcnt(0)
	v_cvt_f32_f16_e32 v16, v16
.LBB86_20:                              ;   in Loop: Header=BB86_3 Depth=1
	s_or_b64 exec, exec, s[10:11]
	v_add_co_u32_e32 v62, vcc, 6, v21
	v_addc_co_u32_e32 v63, vcc, 0, v22, vcc
	v_cmp_gt_i64_e32 vcc, s[12:13], v[62:63]
	s_and_b64 s[36:37], s[2:3], vcc
	s_and_saveexec_b64 s[10:11], s[36:37]
	s_cbranch_execz .LBB86_22
; %bb.21:                               ;   in Loop: Header=BB86_3 Depth=1
	v_add_co_u32_e32 v62, vcc, v33, v19
	v_addc_co_u32_e32 v63, vcc, v34, v20, vcc
	global_load_ushort v9, v[62:63], off
	v_add_co_u32_e32 v62, vcc, v35, v19
	v_addc_co_u32_e32 v63, vcc, v36, v20, vcc
	global_load_ushort v17, v[62:63], off
	s_waitcnt vmcnt(1)
	v_cvt_f32_f16_e32 v9, v9
	s_waitcnt vmcnt(0)
	v_cvt_f32_f16_e32 v17, v17
.LBB86_22:                              ;   in Loop: Header=BB86_3 Depth=1
	s_or_b64 exec, exec, s[10:11]
	v_add_co_u32_e32 v62, vcc, 7, v21
	v_addc_co_u32_e32 v63, vcc, 0, v22, vcc
	v_cmp_gt_i64_e32 vcc, s[12:13], v[62:63]
	s_and_b64 s[36:37], s[2:3], vcc
	s_and_saveexec_b64 s[10:11], s[36:37]
	s_cbranch_execz .LBB86_24
; %bb.23:                               ;   in Loop: Header=BB86_3 Depth=1
	v_add_co_u32_e32 v62, vcc, v29, v19
	v_addc_co_u32_e32 v63, vcc, v30, v20, vcc
	global_load_ushort v10, v[62:63], off
	v_add_co_u32_e32 v62, vcc, v31, v19
	v_addc_co_u32_e32 v63, vcc, v32, v20, vcc
	global_load_ushort v18, v[62:63], off
	s_waitcnt vmcnt(1)
	v_cvt_f32_f16_e32 v10, v10
	s_waitcnt vmcnt(0)
	v_cvt_f32_f16_e32 v18, v18
.LBB86_24:                              ;   in Loop: Header=BB86_3 Depth=1
	s_or_b64 exec, exec, s[10:11]
	s_waitcnt vmcnt(1)
	ds_bpermute_b32 v62, v58, v61
	ds_bpermute_b32 v65, v58, v61 offset:4
	s_waitcnt vmcnt(0)
	ds_bpermute_b32 v63, v58, v60
	ds_bpermute_b32 v66, v58, v60 offset:4
	v_add_f32_e32 v64, v56, v3
	s_waitcnt lgkmcnt(3)
	v_sub_f32_e32 v11, v11, v62
	v_mul_f32_e32 v3, v3, v11
	s_waitcnt lgkmcnt(2)
	v_sub_f32_e32 v11, v12, v65
	ds_bpermute_b32 v12, v58, v61 offset:8
	s_waitcnt lgkmcnt(2)
	v_fma_f32 v3, v3, v63, v59
	v_mul_f32_e32 v11, v4, v11
	s_waitcnt lgkmcnt(1)
	v_fmac_f32_e32 v3, v11, v66
	ds_bpermute_b32 v11, v58, v60 offset:8
	s_waitcnt lgkmcnt(1)
	v_sub_f32_e32 v12, v13, v12
	ds_bpermute_b32 v13, v58, v61 offset:12
	v_mul_f32_e32 v12, v5, v12
	v_add_f32_e32 v4, v4, v64
	s_waitcnt lgkmcnt(1)
	v_fmac_f32_e32 v3, v12, v11
	ds_bpermute_b32 v11, v58, v60 offset:12
	v_add_f32_e32 v4, v5, v4
	s_waitcnt lgkmcnt(1)
	v_sub_f32_e32 v5, v14, v13
	ds_bpermute_b32 v12, v58, v61 offset:16
	v_mul_f32_e32 v5, v6, v5
	s_waitcnt lgkmcnt(1)
	v_fmac_f32_e32 v3, v5, v11
	ds_bpermute_b32 v5, v58, v60 offset:16
	v_add_f32_e32 v4, v6, v4
	s_waitcnt lgkmcnt(1)
	v_sub_f32_e32 v6, v15, v12
	ds_bpermute_b32 v11, v58, v61 offset:20
	v_mul_f32_e32 v6, v7, v6
	;; [unrolled: 8-line block ×3, first 2 shown]
	s_waitcnt lgkmcnt(1)
	v_fmac_f32_e32 v3, v6, v5
	ds_bpermute_b32 v6, v58, v60 offset:24
	v_add_f32_e32 v5, v8, v4
	ds_bpermute_b32 v60, v58, v60 offset:28
	ds_bpermute_b32 v4, v58, v61 offset:28
	s_waitcnt lgkmcnt(3)
	v_sub_f32_e32 v7, v17, v7
	v_mul_f32_e32 v7, v9, v7
	s_waitcnt lgkmcnt(2)
	v_fmac_f32_e32 v3, v7, v6
	v_add_f32_e32 v5, v9, v5
	s_mov_b64 s[10:11], 0
.LBB86_25:                              ;   in Loop: Header=BB86_3 Depth=1
	s_and_b64 vcc, exec, s[10:11]
	s_cbranch_vccz .LBB86_40
; %bb.26:                               ;   in Loop: Header=BB86_3 Depth=1
	s_load_dword s10, s[26:27], 0x0
	s_waitcnt lgkmcnt(0)
	v_mov_b32_e32 v60, 0
	v_mov_b32_e32 v61, 0
	s_cmp_lt_u32 s6, s10
	s_cselect_b32 s10, 12, 18
	s_add_u32 s10, s26, s10
	s_addc_u32 s11, s27, 0
	global_load_ushort v3, v2, s[10:11]
	s_waitcnt vmcnt(0)
	v_mad_u32_u24 v3, v1, v3, v0
	v_and_b32_e32 v3, 63, v3
	v_cmp_gt_u32_e32 vcc, 8, v3
	s_and_saveexec_b64 s[10:11], vcc
	s_cbranch_execz .LBB86_30
; %bb.27:                               ;   in Loop: Header=BB86_3 Depth=1
	v_add_co_u32_e32 v3, vcc, v21, v3
	v_addc_co_u32_e32 v4, vcc, 0, v22, vcc
	v_cmp_gt_i64_e32 vcc, s[12:13], v[3:4]
	v_mov_b32_e32 v61, 0
	v_mov_b32_e32 v60, 0
	s_and_saveexec_b64 s[36:37], vcc
	s_cbranch_execz .LBB86_29
; %bb.28:                               ;   in Loop: Header=BB86_3 Depth=1
	v_lshlrev_b64 v[3:4], 2, v[3:4]
	v_mov_b32_e32 v6, s23
	v_add_co_u32_e32 v5, vcc, s22, v3
	v_addc_co_u32_e32 v6, vcc, v6, v4, vcc
	v_mov_b32_e32 v7, s21
	v_add_co_u32_e32 v3, vcc, s20, v3
	v_addc_co_u32_e32 v4, vcc, v7, v4, vcc
	global_load_dword v61, v[3:4], off
	global_load_dword v60, v[5:6], off
.LBB86_29:                              ;   in Loop: Header=BB86_3 Depth=1
	s_or_b64 exec, exec, s[36:37]
.LBB86_30:                              ;   in Loop: Header=BB86_3 Depth=1
	s_or_b64 exec, exec, s[10:11]
	v_mov_b32_e32 v9, v2
	v_mov_b32_e32 v3, v2
	;; [unrolled: 1-line block ×23, first 2 shown]
	s_and_saveexec_b64 s[10:11], s[2:3]
	s_cbranch_execnz .LBB86_42
; %bb.31:                               ;   in Loop: Header=BB86_3 Depth=1
	s_or_b64 exec, exec, s[10:11]
	s_and_saveexec_b64 s[10:11], s[2:3]
	s_cbranch_execnz .LBB86_43
.LBB86_32:                              ;   in Loop: Header=BB86_3 Depth=1
	s_or_b64 exec, exec, s[10:11]
	s_and_saveexec_b64 s[10:11], s[2:3]
	s_cbranch_execnz .LBB86_44
.LBB86_33:                              ;   in Loop: Header=BB86_3 Depth=1
	s_or_b64 exec, exec, s[10:11]
	s_and_saveexec_b64 s[10:11], s[2:3]
	s_cbranch_execnz .LBB86_45
.LBB86_34:                              ;   in Loop: Header=BB86_3 Depth=1
	s_or_b64 exec, exec, s[10:11]
	s_and_saveexec_b64 s[10:11], s[2:3]
	s_cbranch_execnz .LBB86_46
.LBB86_35:                              ;   in Loop: Header=BB86_3 Depth=1
	s_or_b64 exec, exec, s[10:11]
	s_and_saveexec_b64 s[10:11], s[2:3]
	s_cbranch_execnz .LBB86_47
.LBB86_36:                              ;   in Loop: Header=BB86_3 Depth=1
	s_or_b64 exec, exec, s[10:11]
	s_and_saveexec_b64 s[10:11], s[2:3]
	s_cbranch_execnz .LBB86_48
.LBB86_37:                              ;   in Loop: Header=BB86_3 Depth=1
	s_or_b64 exec, exec, s[10:11]
	s_and_saveexec_b64 s[10:11], s[2:3]
	s_cbranch_execz .LBB86_39
.LBB86_38:                              ;   in Loop: Header=BB86_3 Depth=1
	v_add_co_u32_e32 v21, vcc, v29, v19
	v_addc_co_u32_e32 v22, vcc, v30, v20, vcc
	global_load_ushort v10, v[21:22], off
	v_add_co_u32_e32 v21, vcc, v31, v19
	v_addc_co_u32_e32 v22, vcc, v32, v20, vcc
	global_load_ushort v18, v[21:22], off
	s_waitcnt vmcnt(1)
	v_cvt_f32_f16_e32 v10, v10
	s_waitcnt vmcnt(0)
	v_cvt_f32_f16_e32 v18, v18
.LBB86_39:                              ;   in Loop: Header=BB86_3 Depth=1
	s_or_b64 exec, exec, s[10:11]
	s_waitcnt vmcnt(1)
	ds_bpermute_b32 v21, v58, v61
	s_waitcnt vmcnt(0)
	ds_bpermute_b32 v22, v58, v60
	ds_bpermute_b32 v62, v58, v61 offset:4
	ds_bpermute_b32 v63, v58, v60 offset:4
	v_add_f32_e32 v56, v56, v3
	s_waitcnt lgkmcnt(3)
	v_sub_f32_e32 v11, v11, v21
	v_mul_f32_e32 v3, v3, v11
	s_waitcnt lgkmcnt(2)
	v_fmac_f32_e32 v59, v3, v22
	s_waitcnt lgkmcnt(1)
	v_sub_f32_e32 v3, v12, v62
	ds_bpermute_b32 v11, v58, v61 offset:8
	v_mul_f32_e32 v3, v4, v3
	s_waitcnt lgkmcnt(1)
	v_fmac_f32_e32 v59, v3, v63
	ds_bpermute_b32 v3, v58, v60 offset:8
	ds_bpermute_b32 v12, v58, v61 offset:12
	s_waitcnt lgkmcnt(2)
	v_sub_f32_e32 v11, v13, v11
	v_mul_f32_e32 v11, v5, v11
	v_add_f32_e32 v4, v4, v56
	s_waitcnt lgkmcnt(1)
	v_fmac_f32_e32 v59, v11, v3
	ds_bpermute_b32 v3, v58, v60 offset:12
	v_add_f32_e32 v4, v5, v4
	s_waitcnt lgkmcnt(1)
	v_sub_f32_e32 v5, v14, v12
	ds_bpermute_b32 v11, v58, v61 offset:16
	v_mul_f32_e32 v5, v6, v5
	s_waitcnt lgkmcnt(1)
	v_fmac_f32_e32 v59, v5, v3
	ds_bpermute_b32 v3, v58, v60 offset:16
	v_add_f32_e32 v4, v6, v4
	s_waitcnt lgkmcnt(1)
	v_sub_f32_e32 v5, v15, v11
	ds_bpermute_b32 v6, v58, v61 offset:20
	v_mul_f32_e32 v5, v7, v5
	;; [unrolled: 8-line block ×3, first 2 shown]
	s_waitcnt lgkmcnt(1)
	v_fmac_f32_e32 v59, v5, v3
	ds_bpermute_b32 v5, v58, v60 offset:24
	v_add_f32_e32 v3, v8, v4
	ds_bpermute_b32 v60, v58, v60 offset:28
	ds_bpermute_b32 v4, v58, v61 offset:28
	s_waitcnt lgkmcnt(3)
	v_sub_f32_e32 v6, v17, v6
	v_mul_f32_e32 v6, v9, v6
	s_waitcnt lgkmcnt(2)
	v_fmac_f32_e32 v59, v6, v5
	v_add_f32_e32 v5, v9, v3
	v_mov_b32_e32 v3, v59
.LBB86_40:                              ;   in Loop: Header=BB86_3 Depth=1
	s_waitcnt lgkmcnt(0)
	v_sub_f32_e32 v4, v18, v4
	v_mul_f32_e32 v4, v10, v4
	v_fmac_f32_e32 v3, v4, v60
	v_mov_b32_e32 v4, s29
	v_add_co_u32_e32 v25, vcc, s28, v25
	v_addc_co_u32_e32 v26, vcc, v26, v4, vcc
	v_add_co_u32_e32 v27, vcc, s28, v27
	v_addc_co_u32_e32 v28, vcc, v28, v4, vcc
	v_add_co_u32_e32 v29, vcc, s28, v29
	v_addc_co_u32_e32 v30, vcc, v30, v4, vcc
	v_add_co_u32_e32 v31, vcc, s28, v31
	v_addc_co_u32_e32 v32, vcc, v32, v4, vcc
	v_add_co_u32_e32 v33, vcc, s28, v33
	v_addc_co_u32_e32 v34, vcc, v34, v4, vcc
	v_add_co_u32_e32 v35, vcc, s28, v35
	v_addc_co_u32_e32 v36, vcc, v36, v4, vcc
	v_add_co_u32_e32 v37, vcc, s28, v37
	v_addc_co_u32_e32 v38, vcc, v38, v4, vcc
	v_add_co_u32_e32 v39, vcc, s28, v39
	v_addc_co_u32_e32 v40, vcc, v40, v4, vcc
	v_add_co_u32_e32 v41, vcc, s28, v41
	v_addc_co_u32_e32 v42, vcc, v42, v4, vcc
	v_add_co_u32_e32 v43, vcc, s28, v43
	v_addc_co_u32_e32 v44, vcc, v44, v4, vcc
	v_add_co_u32_e32 v45, vcc, s28, v45
	v_addc_co_u32_e32 v46, vcc, v46, v4, vcc
	v_add_co_u32_e32 v47, vcc, s28, v47
	v_addc_co_u32_e32 v48, vcc, v48, v4, vcc
	v_add_co_u32_e32 v49, vcc, s28, v49
	v_addc_co_u32_e32 v50, vcc, v50, v4, vcc
	v_add_co_u32_e32 v51, vcc, s28, v51
	v_addc_co_u32_e32 v52, vcc, v52, v4, vcc
	v_add_co_u32_e32 v53, vcc, s28, v53
	v_addc_co_u32_e32 v54, vcc, v54, v4, vcc
	v_add_co_u32_e32 v55, vcc, s28, v55
	v_addc_co_u32_e32 v57, vcc, v57, v4, vcc
	v_add_f32_e32 v56, v5, v10
	s_add_u32 s34, s34, s9
	v_add_co_u32_e32 v23, vcc, s9, v23
	v_mov_b32_e32 v4, s12
	s_addc_u32 s35, s35, 0
	v_addc_co_u32_e32 v24, vcc, 0, v24, vcc
	v_mov_b32_e32 v5, s13
	v_cmp_lt_i64_e32 vcc, s[34:35], v[4:5]
	s_add_u32 s30, s30, s9
	s_addc_u32 s31, 0, s31
	s_cbranch_vccz .LBB86_50
; %bb.41:                               ;   in Loop: Header=BB86_3 Depth=1
	v_mov_b32_e32 v59, v3
	s_branch .LBB86_3
.LBB86_42:                              ;   in Loop: Header=BB86_3 Depth=1
	v_add_co_u32_e32 v3, vcc, v25, v19
	v_addc_co_u32_e32 v4, vcc, v26, v20, vcc
	global_load_ushort v11, v[3:4], off
	v_add_co_u32_e32 v3, vcc, v27, v19
	v_addc_co_u32_e32 v4, vcc, v28, v20, vcc
	global_load_ushort v15, v[3:4], off
	v_mov_b32_e32 v4, v2
	v_mov_b32_e32 v5, v2
	;; [unrolled: 1-line block ×13, first 2 shown]
	s_waitcnt vmcnt(1)
	v_cvt_f32_f16_e32 v3, v11
	s_waitcnt vmcnt(0)
	v_cvt_f32_f16_e32 v11, v15
	v_mov_b32_e32 v15, v2
	s_or_b64 exec, exec, s[10:11]
	s_and_saveexec_b64 s[10:11], s[2:3]
	s_cbranch_execz .LBB86_32
.LBB86_43:                              ;   in Loop: Header=BB86_3 Depth=1
	v_add_co_u32_e32 v21, vcc, v53, v19
	v_addc_co_u32_e32 v22, vcc, v54, v20, vcc
	global_load_ushort v4, v[21:22], off
	v_add_co_u32_e32 v21, vcc, v55, v19
	v_addc_co_u32_e32 v22, vcc, v57, v20, vcc
	global_load_ushort v12, v[21:22], off
	s_waitcnt vmcnt(1)
	v_cvt_f32_f16_e32 v4, v4
	s_waitcnt vmcnt(0)
	v_cvt_f32_f16_e32 v12, v12
	s_or_b64 exec, exec, s[10:11]
	s_and_saveexec_b64 s[10:11], s[2:3]
	s_cbranch_execz .LBB86_33
.LBB86_44:                              ;   in Loop: Header=BB86_3 Depth=1
	v_add_co_u32_e32 v21, vcc, v49, v19
	v_addc_co_u32_e32 v22, vcc, v50, v20, vcc
	global_load_ushort v5, v[21:22], off
	v_add_co_u32_e32 v21, vcc, v51, v19
	v_addc_co_u32_e32 v22, vcc, v52, v20, vcc
	global_load_ushort v13, v[21:22], off
	s_waitcnt vmcnt(1)
	v_cvt_f32_f16_e32 v5, v5
	s_waitcnt vmcnt(0)
	v_cvt_f32_f16_e32 v13, v13
	s_or_b64 exec, exec, s[10:11]
	s_and_saveexec_b64 s[10:11], s[2:3]
	s_cbranch_execz .LBB86_34
.LBB86_45:                              ;   in Loop: Header=BB86_3 Depth=1
	v_add_co_u32_e32 v21, vcc, v45, v19
	v_addc_co_u32_e32 v22, vcc, v46, v20, vcc
	global_load_ushort v6, v[21:22], off
	v_add_co_u32_e32 v21, vcc, v47, v19
	v_addc_co_u32_e32 v22, vcc, v48, v20, vcc
	global_load_ushort v14, v[21:22], off
	s_waitcnt vmcnt(1)
	v_cvt_f32_f16_e32 v6, v6
	s_waitcnt vmcnt(0)
	v_cvt_f32_f16_e32 v14, v14
	s_or_b64 exec, exec, s[10:11]
	s_and_saveexec_b64 s[10:11], s[2:3]
	s_cbranch_execz .LBB86_35
.LBB86_46:                              ;   in Loop: Header=BB86_3 Depth=1
	v_add_co_u32_e32 v21, vcc, v41, v19
	v_addc_co_u32_e32 v22, vcc, v42, v20, vcc
	global_load_ushort v7, v[21:22], off
	v_add_co_u32_e32 v21, vcc, v43, v19
	v_addc_co_u32_e32 v22, vcc, v44, v20, vcc
	global_load_ushort v15, v[21:22], off
	s_waitcnt vmcnt(1)
	v_cvt_f32_f16_e32 v7, v7
	s_waitcnt vmcnt(0)
	v_cvt_f32_f16_e32 v15, v15
	s_or_b64 exec, exec, s[10:11]
	s_and_saveexec_b64 s[10:11], s[2:3]
	s_cbranch_execz .LBB86_36
.LBB86_47:                              ;   in Loop: Header=BB86_3 Depth=1
	v_add_co_u32_e32 v21, vcc, v37, v19
	v_addc_co_u32_e32 v22, vcc, v38, v20, vcc
	global_load_ushort v8, v[21:22], off
	v_add_co_u32_e32 v21, vcc, v39, v19
	v_addc_co_u32_e32 v22, vcc, v40, v20, vcc
	global_load_ushort v16, v[21:22], off
	s_waitcnt vmcnt(1)
	v_cvt_f32_f16_e32 v8, v8
	s_waitcnt vmcnt(0)
	v_cvt_f32_f16_e32 v16, v16
	s_or_b64 exec, exec, s[10:11]
	s_and_saveexec_b64 s[10:11], s[2:3]
	s_cbranch_execz .LBB86_37
.LBB86_48:                              ;   in Loop: Header=BB86_3 Depth=1
	v_add_co_u32_e32 v21, vcc, v33, v19
	v_addc_co_u32_e32 v22, vcc, v34, v20, vcc
	global_load_ushort v9, v[21:22], off
	v_add_co_u32_e32 v21, vcc, v35, v19
	v_addc_co_u32_e32 v22, vcc, v36, v20, vcc
	global_load_ushort v17, v[21:22], off
	s_waitcnt vmcnt(1)
	v_cvt_f32_f16_e32 v9, v9
	s_waitcnt vmcnt(0)
	v_cvt_f32_f16_e32 v17, v17
	s_or_b64 exec, exec, s[10:11]
	s_and_saveexec_b64 s[10:11], s[2:3]
	s_cbranch_execnz .LBB86_38
	s_branch .LBB86_39
.LBB86_49:
                                        ; implicit-def: $vgpr3
                                        ; implicit-def: $vgpr56
	s_branch .LBB86_51
.LBB86_50:
	s_cbranch_execnz .LBB86_83
.LBB86_51:
	v_mov_b32_e32 v3, 0
	s_and_b64 vcc, exec, s[0:1]
	v_mov_b32_e32 v56, 0
	s_cbranch_vccnz .LBB86_83
; %bb.52:
	v_lshlrev_b32_e32 v51, 3, v1
	v_add_co_u32_e32 v8, vcc, s24, v51
	v_addc_co_u32_e64 v9, s[0:1], 0, 0, vcc
	v_mul_lo_u32 v4, s15, v8
	v_mul_lo_u32 v5, s14, v9
	v_mad_u64_u32 v[2:3], s[0:1], s14, v8, 0
	v_mov_b32_e32 v6, s17
	s_add_u32 s2, s4, 64
	v_add3_u32 v3, v3, v5, v4
	v_lshlrev_b64 v[4:5], 1, v[2:3]
	s_addc_u32 s3, s5, 0
	v_add_co_u32_e32 v52, vcc, s16, v4
	v_addc_co_u32_e32 v53, vcc, v6, v5, vcc
	v_mov_b32_e32 v6, s19
	v_add_co_u32_e32 v54, vcc, s18, v4
	v_addc_co_u32_e32 v55, vcc, v6, v5, vcc
	v_lshlrev_b32_e32 v4, 4, v1
	s_lshl_b64 s[0:1], s[24:25], 1
	v_mov_b32_e32 v5, s1
	v_add_co_u32_e32 v10, vcc, s0, v4
	v_addc_co_u32_e32 v11, vcc, 0, v5, vcc
	v_add_co_u32_e32 v12, vcc, 2, v10
	v_addc_co_u32_e32 v6, vcc, 0, v11, vcc
	v_mov_b32_e32 v4, s16
	v_mul_lo_u32 v14, s14, v6
	v_mov_b32_e32 v6, s18
	v_mov_b32_e32 v5, s17
	;; [unrolled: 1-line block ×3, first 2 shown]
	v_mad_u64_u32 v[19:20], s[0:1], s14, v12, v[4:5]
	v_mul_lo_u32 v15, s15, v12
	v_mad_u64_u32 v[21:22], s[0:1], s14, v12, v[6:7]
	v_add_co_u32_e32 v12, vcc, 4, v10
	v_addc_co_u32_e32 v16, vcc, 0, v11, vcc
	v_mov_b32_e32 v13, s15
	v_add_co_u32_e32 v2, vcc, s14, v2
	v_addc_co_u32_e32 v3, vcc, v3, v13, vcc
	v_mul_lo_u32 v17, s15, v12
	v_mad_u64_u32 v[23:24], s[0:1], s14, v12, v[4:5]
	v_mad_u64_u32 v[25:26], s[0:1], s14, v12, v[6:7]
	v_add_co_u32_e32 v12, vcc, 6, v10
	v_addc_co_u32_e32 v13, vcc, 0, v11, vcc
	v_add3_u32 v20, v15, v20, v14
	v_add3_u32 v22, v15, v22, v14
	v_mul_lo_u32 v13, s14, v13
	v_mul_lo_u32 v14, s15, v12
	v_mad_u64_u32 v[27:28], s[0:1], s14, v12, v[4:5]
	v_mad_u64_u32 v[29:30], s[0:1], s14, v12, v[6:7]
	v_add_co_u32_e32 v12, vcc, 8, v10
	v_mul_lo_u32 v16, s14, v16
	v_addc_co_u32_e32 v15, vcc, 0, v11, vcc
	v_mul_lo_u32 v18, s15, v12
	v_mad_u64_u32 v[31:32], s[0:1], s14, v12, v[4:5]
	v_mad_u64_u32 v[33:34], s[0:1], s14, v12, v[6:7]
	v_add_co_u32_e32 v12, vcc, 10, v10
	v_add3_u32 v28, v14, v28, v13
	v_add3_u32 v30, v14, v30, v13
	v_addc_co_u32_e32 v13, vcc, 0, v11, vcc
	v_mul_lo_u32 v14, s15, v12
	v_mad_u64_u32 v[35:36], s[0:1], s14, v12, v[4:5]
	v_mad_u64_u32 v[37:38], s[0:1], s14, v12, v[6:7]
	v_add_co_u32_e32 v12, vcc, 12, v10
	v_add3_u32 v24, v17, v24, v16
	v_add3_u32 v26, v17, v26, v16
	v_addc_co_u32_e32 v16, vcc, 0, v11, vcc
	v_add_co_u32_e32 v10, vcc, 14, v10
	v_addc_co_u32_e32 v11, vcc, 0, v11, vcc
	v_mad_u64_u32 v[39:40], s[0:1], s14, v12, v[4:5]
	v_mad_u64_u32 v[43:44], s[0:1], s14, v10, v[4:5]
	v_add_co_u32_e32 v4, vcc, 7, v8
	v_addc_co_u32_e32 v5, vcc, 0, v9, vcc
	v_mad_u64_u32 v[41:42], s[0:1], s14, v12, v[6:7]
	v_mad_u64_u32 v[45:46], s[0:1], s14, v10, v[6:7]
	v_mul_lo_u32 v6, s15, v10
	v_mul_lo_u32 v7, s14, v5
	v_mul_lo_u32 v10, s15, v4
	v_mad_u64_u32 v[4:5], s[0:1], s14, v4, 0
	v_mul_lo_u32 v11, s14, v11
	v_mul_lo_u32 v17, s15, v12
	v_add3_u32 v5, v5, v7, v10
	v_lshlrev_b64 v[4:5], 1, v[4:5]
	v_add3_u32 v44, v6, v44, v11
	v_add3_u32 v46, v6, v46, v11
	v_mov_b32_e32 v6, s17
	v_add_co_u32_e32 v57, vcc, s16, v4
	v_addc_co_u32_e32 v58, vcc, v6, v5, vcc
	v_add_co_u32_e32 v6, vcc, 6, v8
	v_addc_co_u32_e32 v7, vcc, 0, v9, vcc
	v_mul_lo_u32 v11, s14, v7
	v_mul_lo_u32 v12, s15, v6
	v_mad_u64_u32 v[6:7], s[0:1], s14, v6, 0
	v_mov_b32_e32 v10, s19
	v_add_co_u32_e32 v59, vcc, s18, v4
	v_add3_u32 v7, v7, v11, v12
	v_addc_co_u32_e32 v60, vcc, v10, v5, vcc
	v_lshlrev_b64 v[4:5], 1, v[6:7]
	v_mov_b32_e32 v6, s17
	v_add_co_u32_e32 v61, vcc, s16, v4
	v_addc_co_u32_e32 v62, vcc, v6, v5, vcc
	v_add_co_u32_e32 v6, vcc, 5, v8
	v_addc_co_u32_e32 v7, vcc, 0, v9, vcc
	v_mul_lo_u32 v11, s14, v7
	v_mul_lo_u32 v12, s15, v6
	v_mad_u64_u32 v[6:7], s[0:1], s14, v6, 0
	v_add_co_u32_e32 v63, vcc, s18, v4
	v_add3_u32 v7, v7, v11, v12
	v_addc_co_u32_e32 v64, vcc, v10, v5, vcc
	v_lshlrev_b64 v[4:5], 1, v[6:7]
	v_mov_b32_e32 v6, s17
	v_add_co_u32_e32 v65, vcc, s16, v4
	v_addc_co_u32_e32 v66, vcc, v6, v5, vcc
	v_add_co_u32_e32 v6, vcc, 4, v8
	v_addc_co_u32_e32 v7, vcc, 0, v9, vcc
	v_mul_lo_u32 v11, s14, v7
	v_mul_lo_u32 v12, s15, v6
	v_mad_u64_u32 v[6:7], s[0:1], s14, v6, 0
	;; [unrolled: 12-line block ×4, first 2 shown]
	v_add_co_u32_e32 v75, vcc, s18, v4
	v_add3_u32 v7, v7, v8, v9
	v_addc_co_u32_e32 v76, vcc, v10, v5, vcc
	v_lshlrev_b64 v[4:5], 1, v[6:7]
	v_mov_b32_e32 v6, s17
	v_add_co_u32_e32 v77, vcc, s16, v4
	v_addc_co_u32_e32 v78, vcc, v6, v5, vcc
	v_mov_b32_e32 v6, s19
	v_add_co_u32_e32 v79, vcc, s18, v4
	v_lshlrev_b64 v[2:3], 1, v[2:3]
	v_addc_co_u32_e32 v80, vcc, v6, v5, vcc
	s_load_dword s0, s[4:5], 0x44
	v_mov_b32_e32 v4, s17
	v_add_co_u32_e32 v81, vcc, s16, v2
	v_addc_co_u32_e32 v82, vcc, v4, v3, vcc
	v_mov_b32_e32 v4, s19
	v_add_co_u32_e32 v83, vcc, s18, v2
	v_mov_b32_e32 v2, 0
	v_mul_lo_u32 v15, s14, v15
	v_mul_lo_u32 v13, s14, v13
	;; [unrolled: 1-line block ×3, first 2 shown]
	v_addc_co_u32_e32 v84, vcc, v4, v3, vcc
	v_add_u32_e32 v3, s7, v0
	v_mov_b32_e32 v4, v2
	s_waitcnt lgkmcnt(0)
	s_lshl_b32 s7, s0, 3
	v_lshlrev_b64 v[47:48], 1, v[3:4]
	v_mbcnt_lo_u32_b32 v3, -1, 0
	s_mul_i32 s0, s15, s7
	s_mul_hi_u32 s1, s14, s7
	v_mbcnt_hi_u32_b32 v3, -1, v3
	s_add_i32 s1, s1, s0
	s_mul_i32 s0, s14, s7
	v_lshlrev_b32_e32 v3, 2, v3
	v_add3_u32 v32, v18, v32, v15
	v_add3_u32 v34, v18, v34, v15
	;; [unrolled: 1-line block ×6, first 2 shown]
	s_lshl_b64 s[10:11], s[0:1], 1
	s_mov_b64 s[16:17], 7
	v_and_b32_e32 v85, 0x100, v3
	s_mov_b64 s[18:19], s[24:25]
	v_mov_b32_e32 v86, v2
	v_mov_b32_e32 v88, 0
	;; [unrolled: 1-line block ×3, first 2 shown]
.LBB86_53:                              ; =>This Inner Loop Header: Depth=1
	s_add_u32 s0, s24, s16
	v_mov_b32_e32 v3, s12
	s_addc_u32 s1, 0, s17
	v_mov_b32_e32 v4, s13
	v_cmp_ge_i64_e32 vcc, s[0:1], v[3:4]
	v_add_co_u32_e64 v49, s[0:1], s24, v51
	v_addc_co_u32_e64 v50, s[0:1], 0, v86, s[0:1]
	s_mov_b64 s[0:1], -1
                                        ; implicit-def: $vgpr56
                                        ; implicit-def: $vgpr3
	s_cbranch_vccz .LBB86_75
; %bb.54:                               ;   in Loop: Header=BB86_53 Depth=1
	s_load_dword s0, s[2:3], 0xc
	v_mov_b32_e32 v56, 0
	v_mov_b32_e32 v89, 0
	s_waitcnt lgkmcnt(0)
	s_and_b32 s0, s0, 0xffff
	v_mad_u32_u24 v3, v1, s0, v0
	v_and_b32_e32 v3, 63, v3
	v_cmp_gt_u32_e32 vcc, 8, v3
	s_and_saveexec_b64 s[0:1], vcc
	s_cbranch_execz .LBB86_58
; %bb.55:                               ;   in Loop: Header=BB86_53 Depth=1
	v_add_co_u32_e32 v3, vcc, v49, v3
	v_addc_co_u32_e32 v4, vcc, 0, v50, vcc
	v_cmp_gt_i64_e32 vcc, s[12:13], v[3:4]
	v_mov_b32_e32 v89, 0
	v_mov_b32_e32 v56, 0
	s_and_saveexec_b64 s[26:27], vcc
	s_cbranch_execz .LBB86_57
; %bb.56:                               ;   in Loop: Header=BB86_53 Depth=1
	v_lshlrev_b64 v[3:4], 2, v[3:4]
	v_mov_b32_e32 v6, s23
	v_add_co_u32_e32 v5, vcc, s22, v3
	v_addc_co_u32_e32 v6, vcc, v6, v4, vcc
	v_mov_b32_e32 v7, s21
	v_add_co_u32_e32 v3, vcc, s20, v3
	v_addc_co_u32_e32 v4, vcc, v7, v4, vcc
	global_load_dword v89, v[3:4], off
	global_load_dword v56, v[5:6], off
.LBB86_57:                              ;   in Loop: Header=BB86_53 Depth=1
	s_or_b64 exec, exec, s[26:27]
.LBB86_58:                              ;   in Loop: Header=BB86_53 Depth=1
	s_or_b64 exec, exec, s[0:1]
	v_mov_b32_e32 v9, v2
	v_mov_b32_e32 v3, v2
	;; [unrolled: 1-line block ×8, first 2 shown]
	v_cmp_gt_i64_e32 vcc, s[12:13], v[49:50]
	v_mov_b32_e32 v17, v8
	v_mov_b32_e32 v16, v7
	;; [unrolled: 1-line block ×15, first 2 shown]
	s_and_saveexec_b64 s[0:1], vcc
	s_cbranch_execz .LBB86_60
; %bb.59:                               ;   in Loop: Header=BB86_53 Depth=1
	v_add_co_u32_e32 v3, vcc, v52, v47
	v_addc_co_u32_e32 v4, vcc, v53, v48, vcc
	global_load_ushort v11, v[3:4], off
	v_add_co_u32_e32 v3, vcc, v54, v47
	v_addc_co_u32_e32 v4, vcc, v55, v48, vcc
	global_load_ushort v15, v[3:4], off
	v_mov_b32_e32 v4, v2
	v_mov_b32_e32 v5, v2
	;; [unrolled: 1-line block ×13, first 2 shown]
	s_waitcnt vmcnt(1)
	v_cvt_f32_f16_e32 v3, v11
	s_waitcnt vmcnt(0)
	v_cvt_f32_f16_e32 v11, v15
	v_mov_b32_e32 v15, v2
.LBB86_60:                              ;   in Loop: Header=BB86_53 Depth=1
	s_or_b64 exec, exec, s[0:1]
	v_add_co_u32_e32 v90, vcc, 1, v49
	v_addc_co_u32_e32 v91, vcc, 0, v50, vcc
	v_cmp_gt_i64_e32 vcc, s[12:13], v[90:91]
	s_and_saveexec_b64 s[0:1], vcc
	s_cbranch_execz .LBB86_62
; %bb.61:                               ;   in Loop: Header=BB86_53 Depth=1
	v_add_co_u32_e32 v90, vcc, v81, v47
	v_addc_co_u32_e32 v91, vcc, v82, v48, vcc
	global_load_ushort v4, v[90:91], off
	v_add_co_u32_e32 v90, vcc, v83, v47
	v_addc_co_u32_e32 v91, vcc, v84, v48, vcc
	global_load_ushort v12, v[90:91], off
	s_waitcnt vmcnt(1)
	v_cvt_f32_f16_e32 v4, v4
	s_waitcnt vmcnt(0)
	v_cvt_f32_f16_e32 v12, v12
.LBB86_62:                              ;   in Loop: Header=BB86_53 Depth=1
	s_or_b64 exec, exec, s[0:1]
	v_add_co_u32_e32 v90, vcc, 2, v49
	v_addc_co_u32_e32 v91, vcc, 0, v50, vcc
	v_cmp_gt_i64_e32 vcc, s[12:13], v[90:91]
	s_and_saveexec_b64 s[0:1], vcc
	s_cbranch_execz .LBB86_64
; %bb.63:                               ;   in Loop: Header=BB86_53 Depth=1
	v_add_co_u32_e32 v90, vcc, v77, v47
	v_addc_co_u32_e32 v91, vcc, v78, v48, vcc
	global_load_ushort v5, v[90:91], off
	v_add_co_u32_e32 v90, vcc, v79, v47
	v_addc_co_u32_e32 v91, vcc, v80, v48, vcc
	global_load_ushort v13, v[90:91], off
	s_waitcnt vmcnt(1)
	v_cvt_f32_f16_e32 v5, v5
	s_waitcnt vmcnt(0)
	v_cvt_f32_f16_e32 v13, v13
.LBB86_64:                              ;   in Loop: Header=BB86_53 Depth=1
	;; [unrolled: 18-line block ×7, first 2 shown]
	s_or_b64 exec, exec, s[0:1]
	s_waitcnt vmcnt(1)
	ds_bpermute_b32 v90, v85, v89
	ds_bpermute_b32 v93, v85, v89 offset:4
	s_waitcnt vmcnt(0)
	ds_bpermute_b32 v91, v85, v56
	ds_bpermute_b32 v94, v85, v56 offset:4
	v_add_f32_e32 v92, v88, v3
	s_waitcnt lgkmcnt(3)
	v_sub_f32_e32 v11, v11, v90
	v_mul_f32_e32 v3, v3, v11
	s_waitcnt lgkmcnt(2)
	v_sub_f32_e32 v11, v12, v93
	ds_bpermute_b32 v12, v85, v89 offset:8
	s_waitcnt lgkmcnt(2)
	v_fma_f32 v3, v3, v91, v87
	v_mul_f32_e32 v11, v4, v11
	s_waitcnt lgkmcnt(1)
	v_fmac_f32_e32 v3, v11, v94
	ds_bpermute_b32 v11, v85, v56 offset:8
	s_waitcnt lgkmcnt(1)
	v_sub_f32_e32 v12, v13, v12
	ds_bpermute_b32 v13, v85, v89 offset:12
	v_mul_f32_e32 v12, v5, v12
	v_add_f32_e32 v4, v4, v92
	s_waitcnt lgkmcnt(1)
	v_fmac_f32_e32 v3, v12, v11
	ds_bpermute_b32 v11, v85, v56 offset:12
	v_add_f32_e32 v4, v5, v4
	s_waitcnt lgkmcnt(1)
	v_sub_f32_e32 v5, v14, v13
	ds_bpermute_b32 v12, v85, v89 offset:16
	v_mul_f32_e32 v5, v6, v5
	s_waitcnt lgkmcnt(1)
	v_fmac_f32_e32 v3, v5, v11
	ds_bpermute_b32 v5, v85, v56 offset:16
	v_add_f32_e32 v4, v6, v4
	s_waitcnt lgkmcnt(1)
	v_sub_f32_e32 v6, v15, v12
	ds_bpermute_b32 v11, v85, v89 offset:20
	v_mul_f32_e32 v6, v7, v6
	s_waitcnt lgkmcnt(1)
	v_fmac_f32_e32 v3, v6, v5
	ds_bpermute_b32 v5, v85, v56 offset:20
	v_add_f32_e32 v4, v7, v4
	ds_bpermute_b32 v7, v85, v89 offset:24
	s_waitcnt lgkmcnt(2)
	v_sub_f32_e32 v6, v16, v11
	v_mul_f32_e32 v6, v8, v6
	s_waitcnt lgkmcnt(1)
	v_fmac_f32_e32 v3, v6, v5
	ds_bpermute_b32 v5, v85, v56 offset:24
	s_waitcnt lgkmcnt(1)
	v_sub_f32_e32 v6, v17, v7
	ds_bpermute_b32 v7, v85, v89 offset:28
	v_add_f32_e32 v4, v8, v4
	ds_bpermute_b32 v8, v85, v56 offset:28
	v_mul_f32_e32 v6, v9, v6
	s_waitcnt lgkmcnt(2)
	v_fmac_f32_e32 v3, v6, v5
	s_waitcnt lgkmcnt(1)
	v_sub_f32_e32 v5, v18, v7
	v_add_f32_e32 v4, v9, v4
	v_mul_f32_e32 v5, v10, v5
	s_waitcnt lgkmcnt(0)
	v_fmac_f32_e32 v3, v5, v8
	v_add_f32_e32 v56, v10, v4
	s_mov_b64 s[0:1], 0
.LBB86_75:                              ;   in Loop: Header=BB86_53 Depth=1
	s_and_b64 vcc, exec, s[0:1]
	s_cbranch_vccz .LBB86_81
; %bb.76:                               ;   in Loop: Header=BB86_53 Depth=1
	s_load_dword s0, s[2:3], 0x0
	v_mov_b32_e32 v5, 0
	v_mov_b32_e32 v6, 0
	s_waitcnt lgkmcnt(0)
	s_cmp_lt_u32 s6, s0
	s_cselect_b32 s0, 12, 18
	s_add_u32 s0, s2, s0
	s_addc_u32 s1, s3, 0
	global_load_ushort v3, v2, s[0:1]
	s_waitcnt vmcnt(0)
	v_mad_u32_u24 v3, v1, v3, v0
	v_and_b32_e32 v3, 63, v3
	v_cmp_gt_u32_e32 vcc, 8, v3
	s_and_saveexec_b64 s[0:1], vcc
	s_cbranch_execz .LBB86_80
; %bb.77:                               ;   in Loop: Header=BB86_53 Depth=1
	v_add_co_u32_e32 v3, vcc, v49, v3
	v_addc_co_u32_e32 v4, vcc, 0, v50, vcc
	v_cmp_gt_i64_e32 vcc, s[12:13], v[3:4]
	v_mov_b32_e32 v6, 0
	v_mov_b32_e32 v5, 0
	s_and_saveexec_b64 s[26:27], vcc
	s_cbranch_execz .LBB86_79
; %bb.78:                               ;   in Loop: Header=BB86_53 Depth=1
	v_lshlrev_b64 v[3:4], 2, v[3:4]
	v_mov_b32_e32 v5, s23
	v_add_co_u32_e32 v7, vcc, s22, v3
	v_addc_co_u32_e32 v8, vcc, v5, v4, vcc
	v_mov_b32_e32 v5, s21
	v_add_co_u32_e32 v3, vcc, s20, v3
	v_addc_co_u32_e32 v4, vcc, v5, v4, vcc
	global_load_dword v6, v[3:4], off
	global_load_dword v5, v[7:8], off
.LBB86_79:                              ;   in Loop: Header=BB86_53 Depth=1
	s_or_b64 exec, exec, s[26:27]
.LBB86_80:                              ;   in Loop: Header=BB86_53 Depth=1
	s_or_b64 exec, exec, s[0:1]
	v_add_co_u32_e32 v3, vcc, v52, v47
	v_addc_co_u32_e32 v4, vcc, v53, v48, vcc
	global_load_ushort v7, v[3:4], off
	v_add_co_u32_e32 v3, vcc, v54, v47
	v_addc_co_u32_e32 v4, vcc, v55, v48, vcc
	global_load_ushort v8, v[3:4], off
	;; [unrolled: 3-line block ×16, first 2 shown]
	s_waitcnt vmcnt(16)
	ds_bpermute_b32 v89, v85, v5
	s_waitcnt vmcnt(15)
	v_cvt_f32_f16_e32 v4, v7
	s_waitcnt vmcnt(14)
	v_cvt_f32_f16_e32 v7, v8
	;; [unrolled: 2-line block ×13, first 2 shown]
	ds_bpermute_b32 v49, v85, v6
	s_waitcnt vmcnt(2)
	v_cvt_f32_f16_e32 v50, v50
	s_waitcnt lgkmcnt(0)
	v_sub_f32_e32 v7, v7, v49
	ds_bpermute_b32 v49, v85, v6 offset:4
	v_mul_f32_e32 v7, v7, v4
	v_fmac_f32_e32 v87, v7, v89
	ds_bpermute_b32 v7, v85, v5 offset:4
	v_add_f32_e32 v4, v88, v4
	s_waitcnt lgkmcnt(1)
	v_sub_f32_e32 v9, v9, v49
	ds_bpermute_b32 v49, v85, v6 offset:8
	v_mul_f32_e32 v9, v9, v8
	s_waitcnt lgkmcnt(1)
	v_fmac_f32_e32 v87, v9, v7
	ds_bpermute_b32 v7, v85, v5 offset:8
	v_add_f32_e32 v4, v4, v8
	s_waitcnt lgkmcnt(1)
	v_sub_f32_e32 v8, v11, v49
	ds_bpermute_b32 v9, v85, v6 offset:12
	v_mul_f32_e32 v8, v8, v10
	s_waitcnt lgkmcnt(1)
	v_fmac_f32_e32 v87, v8, v7
	ds_bpermute_b32 v7, v85, v5 offset:12
	s_waitcnt vmcnt(0)
	v_cvt_f32_f16_e32 v3, v3
	s_waitcnt lgkmcnt(1)
	v_sub_f32_e32 v8, v13, v9
	ds_bpermute_b32 v9, v85, v6 offset:16
	v_mul_f32_e32 v8, v8, v12
	s_waitcnt lgkmcnt(1)
	v_fmac_f32_e32 v87, v8, v7
	ds_bpermute_b32 v7, v85, v5 offset:16
	v_cvt_f32_f16_e32 v56, v56
	s_waitcnt lgkmcnt(1)
	v_sub_f32_e32 v8, v15, v9
	ds_bpermute_b32 v9, v85, v6 offset:20
	v_mul_f32_e32 v8, v8, v14
	s_waitcnt lgkmcnt(1)
	v_fmac_f32_e32 v87, v8, v7
	ds_bpermute_b32 v7, v85, v5 offset:20
	v_add_f32_e32 v4, v4, v10
	s_waitcnt lgkmcnt(1)
	v_sub_f32_e32 v8, v17, v9
	ds_bpermute_b32 v9, v85, v6 offset:24
	v_mul_f32_e32 v8, v8, v16
	ds_bpermute_b32 v6, v85, v6 offset:28
	s_waitcnt lgkmcnt(2)
	v_fmac_f32_e32 v87, v8, v7
	ds_bpermute_b32 v7, v85, v5 offset:24
	ds_bpermute_b32 v5, v85, v5 offset:28
	v_add_f32_e32 v4, v4, v12
	s_waitcnt lgkmcnt(3)
	v_sub_f32_e32 v8, v50, v9
	v_add_f32_e32 v4, v4, v14
	v_mul_f32_e32 v8, v8, v18
	s_waitcnt lgkmcnt(2)
	v_sub_f32_e32 v3, v3, v6
	v_add_f32_e32 v4, v4, v16
	s_waitcnt lgkmcnt(1)
	v_fmac_f32_e32 v87, v8, v7
	v_mul_f32_e32 v3, v3, v56
	v_add_f32_e32 v4, v4, v18
	s_waitcnt lgkmcnt(0)
	v_fmac_f32_e32 v87, v3, v5
	v_add_f32_e32 v56, v4, v56
	v_mov_b32_e32 v3, v87
.LBB86_81:                              ;   in Loop: Header=BB86_53 Depth=1
	v_mov_b32_e32 v4, s11
	v_add_co_u32_e32 v52, vcc, s10, v52
	v_addc_co_u32_e32 v53, vcc, v53, v4, vcc
	v_add_co_u32_e32 v54, vcc, s10, v54
	v_addc_co_u32_e32 v55, vcc, v55, v4, vcc
	;; [unrolled: 2-line block ×30, first 2 shown]
	v_add_co_u32_e32 v83, vcc, s10, v83
	s_add_u32 s18, s18, s7
	v_addc_co_u32_e32 v84, vcc, v84, v4, vcc
	v_mov_b32_e32 v4, s12
	s_addc_u32 s19, s19, 0
	v_mov_b32_e32 v5, s13
	v_cmp_ge_i64_e32 vcc, s[18:19], v[4:5]
	s_add_u32 s16, s16, s7
	s_addc_u32 s17, 0, s17
	s_cbranch_vccnz .LBB86_83
; %bb.82:                               ;   in Loop: Header=BB86_53 Depth=1
	v_mov_b32_e32 v88, v56
	v_mov_b32_e32 v87, v3
	s_branch .LBB86_53
.LBB86_83:
	s_mov_b32 s7, 0
	s_lshl_b64 s[0:1], s[6:7], 5
	v_or_b32_e32 v6, s0, v0
	v_mov_b32_e32 v7, s1
	v_cmp_gt_i64_e32 vcc, s[14:15], v[6:7]
	s_and_saveexec_b64 s[0:1], vcc
	s_cbranch_execz .LBB86_88
; %bb.84:
	s_load_dword s0, s[4:5], 0x4c
	v_mov_b32_e32 v2, 0
	v_mov_b32_e32 v0, s8
	s_waitcnt lgkmcnt(0)
	s_lshr_b32 s0, s0, 16
	v_mad_u64_u32 v[4:5], s[0:1], s0, v0, v[1:2]
	s_load_dwordx4 s[0:3], s[4:5], 0x30
	v_lshlrev_b64 v[0:1], 1, v[6:7]
	v_mul_lo_u32 v2, v5, s14
	v_mul_lo_u32 v5, v4, s15
	s_waitcnt lgkmcnt(0)
	s_cmp_eq_u64 s[0:1], 0
	s_cbranch_scc1 .LBB86_86
; %bb.85:
	v_mad_u64_u32 v[6:7], s[4:5], v4, s14, 0
	v_cvt_f16_f32_e32 v3, v3
	v_mov_b32_e32 v8, s1
	v_add3_u32 v7, v7, v5, v2
	v_lshlrev_b64 v[6:7], 1, v[6:7]
	v_add_co_u32_e32 v6, vcc, s0, v6
	v_addc_co_u32_e32 v7, vcc, v8, v7, vcc
	v_add_co_u32_e32 v6, vcc, v6, v0
	v_addc_co_u32_e32 v7, vcc, v7, v1, vcc
	global_store_short v[6:7], v3, off
.LBB86_86:
	s_cmp_eq_u64 s[2:3], 0
	s_cbranch_scc1 .LBB86_88
; %bb.87:
	v_mad_u64_u32 v[3:4], s[0:1], v4, s14, 0
	v_cvt_f16_f32_e32 v6, v56
	v_mov_b32_e32 v7, s3
	v_add3_u32 v4, v4, v5, v2
	v_lshlrev_b64 v[2:3], 1, v[3:4]
	v_add_co_u32_e32 v2, vcc, s2, v2
	v_addc_co_u32_e32 v3, vcc, v7, v3, vcc
	v_add_co_u32_e32 v0, vcc, v2, v0
	v_addc_co_u32_e32 v1, vcc, v3, v1, vcc
	global_store_short v[0:1], v6, off
.LBB86_88:
	s_endpgm
	.section	.rodata,"a",@progbits
	.p2align	6, 0x0
	.amdhsa_kernel _ZN2at6native12_GLOBAL__N_135GammaBetaBackwardCUDAKernelTemplateIN3c104HalfEfLj32ELj1ELj8ELb1ELb0ELb0EEEvllPKT_S7_PKT0_SA_PS5_SB_
		.amdhsa_group_segment_fixed_size 0
		.amdhsa_private_segment_fixed_size 0
		.amdhsa_kernarg_size 320
		.amdhsa_user_sgpr_count 6
		.amdhsa_user_sgpr_private_segment_buffer 1
		.amdhsa_user_sgpr_dispatch_ptr 0
		.amdhsa_user_sgpr_queue_ptr 0
		.amdhsa_user_sgpr_kernarg_segment_ptr 1
		.amdhsa_user_sgpr_dispatch_id 0
		.amdhsa_user_sgpr_flat_scratch_init 0
		.amdhsa_user_sgpr_private_segment_size 0
		.amdhsa_uses_dynamic_stack 0
		.amdhsa_system_sgpr_private_segment_wavefront_offset 0
		.amdhsa_system_sgpr_workgroup_id_x 1
		.amdhsa_system_sgpr_workgroup_id_y 1
		.amdhsa_system_sgpr_workgroup_id_z 0
		.amdhsa_system_sgpr_workgroup_info 0
		.amdhsa_system_vgpr_workitem_id 1
		.amdhsa_next_free_vgpr 95
		.amdhsa_next_free_sgpr 38
		.amdhsa_reserve_vcc 1
		.amdhsa_reserve_flat_scratch 0
		.amdhsa_float_round_mode_32 0
		.amdhsa_float_round_mode_16_64 0
		.amdhsa_float_denorm_mode_32 3
		.amdhsa_float_denorm_mode_16_64 3
		.amdhsa_dx10_clamp 1
		.amdhsa_ieee_mode 1
		.amdhsa_fp16_overflow 0
		.amdhsa_exception_fp_ieee_invalid_op 0
		.amdhsa_exception_fp_denorm_src 0
		.amdhsa_exception_fp_ieee_div_zero 0
		.amdhsa_exception_fp_ieee_overflow 0
		.amdhsa_exception_fp_ieee_underflow 0
		.amdhsa_exception_fp_ieee_inexact 0
		.amdhsa_exception_int_div_zero 0
	.end_amdhsa_kernel
	.section	.text._ZN2at6native12_GLOBAL__N_135GammaBetaBackwardCUDAKernelTemplateIN3c104HalfEfLj32ELj1ELj8ELb1ELb0ELb0EEEvllPKT_S7_PKT0_SA_PS5_SB_,"axG",@progbits,_ZN2at6native12_GLOBAL__N_135GammaBetaBackwardCUDAKernelTemplateIN3c104HalfEfLj32ELj1ELj8ELb1ELb0ELb0EEEvllPKT_S7_PKT0_SA_PS5_SB_,comdat
.Lfunc_end86:
	.size	_ZN2at6native12_GLOBAL__N_135GammaBetaBackwardCUDAKernelTemplateIN3c104HalfEfLj32ELj1ELj8ELb1ELb0ELb0EEEvllPKT_S7_PKT0_SA_PS5_SB_, .Lfunc_end86-_ZN2at6native12_GLOBAL__N_135GammaBetaBackwardCUDAKernelTemplateIN3c104HalfEfLj32ELj1ELj8ELb1ELb0ELb0EEEvllPKT_S7_PKT0_SA_PS5_SB_
                                        ; -- End function
	.set _ZN2at6native12_GLOBAL__N_135GammaBetaBackwardCUDAKernelTemplateIN3c104HalfEfLj32ELj1ELj8ELb1ELb0ELb0EEEvllPKT_S7_PKT0_SA_PS5_SB_.num_vgpr, 95
	.set _ZN2at6native12_GLOBAL__N_135GammaBetaBackwardCUDAKernelTemplateIN3c104HalfEfLj32ELj1ELj8ELb1ELb0ELb0EEEvllPKT_S7_PKT0_SA_PS5_SB_.num_agpr, 0
	.set _ZN2at6native12_GLOBAL__N_135GammaBetaBackwardCUDAKernelTemplateIN3c104HalfEfLj32ELj1ELj8ELb1ELb0ELb0EEEvllPKT_S7_PKT0_SA_PS5_SB_.numbered_sgpr, 38
	.set _ZN2at6native12_GLOBAL__N_135GammaBetaBackwardCUDAKernelTemplateIN3c104HalfEfLj32ELj1ELj8ELb1ELb0ELb0EEEvllPKT_S7_PKT0_SA_PS5_SB_.num_named_barrier, 0
	.set _ZN2at6native12_GLOBAL__N_135GammaBetaBackwardCUDAKernelTemplateIN3c104HalfEfLj32ELj1ELj8ELb1ELb0ELb0EEEvllPKT_S7_PKT0_SA_PS5_SB_.private_seg_size, 0
	.set _ZN2at6native12_GLOBAL__N_135GammaBetaBackwardCUDAKernelTemplateIN3c104HalfEfLj32ELj1ELj8ELb1ELb0ELb0EEEvllPKT_S7_PKT0_SA_PS5_SB_.uses_vcc, 1
	.set _ZN2at6native12_GLOBAL__N_135GammaBetaBackwardCUDAKernelTemplateIN3c104HalfEfLj32ELj1ELj8ELb1ELb0ELb0EEEvllPKT_S7_PKT0_SA_PS5_SB_.uses_flat_scratch, 0
	.set _ZN2at6native12_GLOBAL__N_135GammaBetaBackwardCUDAKernelTemplateIN3c104HalfEfLj32ELj1ELj8ELb1ELb0ELb0EEEvllPKT_S7_PKT0_SA_PS5_SB_.has_dyn_sized_stack, 0
	.set _ZN2at6native12_GLOBAL__N_135GammaBetaBackwardCUDAKernelTemplateIN3c104HalfEfLj32ELj1ELj8ELb1ELb0ELb0EEEvllPKT_S7_PKT0_SA_PS5_SB_.has_recursion, 0
	.set _ZN2at6native12_GLOBAL__N_135GammaBetaBackwardCUDAKernelTemplateIN3c104HalfEfLj32ELj1ELj8ELb1ELb0ELb0EEEvllPKT_S7_PKT0_SA_PS5_SB_.has_indirect_call, 0
	.section	.AMDGPU.csdata,"",@progbits
; Kernel info:
; codeLenInByte = 7116
; TotalNumSgprs: 42
; NumVgprs: 95
; ScratchSize: 0
; MemoryBound: 0
; FloatMode: 240
; IeeeMode: 1
; LDSByteSize: 0 bytes/workgroup (compile time only)
; SGPRBlocks: 5
; VGPRBlocks: 23
; NumSGPRsForWavesPerEU: 42
; NumVGPRsForWavesPerEU: 95
; Occupancy: 2
; WaveLimiterHint : 0
; COMPUTE_PGM_RSRC2:SCRATCH_EN: 0
; COMPUTE_PGM_RSRC2:USER_SGPR: 6
; COMPUTE_PGM_RSRC2:TRAP_HANDLER: 0
; COMPUTE_PGM_RSRC2:TGID_X_EN: 1
; COMPUTE_PGM_RSRC2:TGID_Y_EN: 1
; COMPUTE_PGM_RSRC2:TGID_Z_EN: 0
; COMPUTE_PGM_RSRC2:TIDIG_COMP_CNT: 1
	.section	.text._ZN2at6native12_GLOBAL__N_135GammaBetaBackwardCUDAKernelTemplateIN3c104HalfEfLj32ELj8ELj64ELb0ELb1ELb0EEEvllPKT_S7_PKT0_SA_PS5_SB_,"axG",@progbits,_ZN2at6native12_GLOBAL__N_135GammaBetaBackwardCUDAKernelTemplateIN3c104HalfEfLj32ELj8ELj64ELb0ELb1ELb0EEEvllPKT_S7_PKT0_SA_PS5_SB_,comdat
	.globl	_ZN2at6native12_GLOBAL__N_135GammaBetaBackwardCUDAKernelTemplateIN3c104HalfEfLj32ELj8ELj64ELb0ELb1ELb0EEEvllPKT_S7_PKT0_SA_PS5_SB_ ; -- Begin function _ZN2at6native12_GLOBAL__N_135GammaBetaBackwardCUDAKernelTemplateIN3c104HalfEfLj32ELj8ELj64ELb0ELb1ELb0EEEvllPKT_S7_PKT0_SA_PS5_SB_
	.p2align	8
	.type	_ZN2at6native12_GLOBAL__N_135GammaBetaBackwardCUDAKernelTemplateIN3c104HalfEfLj32ELj8ELj64ELb0ELb1ELb0EEEvllPKT_S7_PKT0_SA_PS5_SB_,@function
_ZN2at6native12_GLOBAL__N_135GammaBetaBackwardCUDAKernelTemplateIN3c104HalfEfLj32ELj8ELj64ELb0ELb1ELb0EEEvllPKT_S7_PKT0_SA_PS5_SB_: ; @_ZN2at6native12_GLOBAL__N_135GammaBetaBackwardCUDAKernelTemplateIN3c104HalfEfLj32ELj8ELj64ELb0ELb1ELb0EEEvllPKT_S7_PKT0_SA_PS5_SB_
; %bb.0:
	s_load_dwordx4 s[20:23], s[4:5], 0x0
	s_lshl_b32 s24, s7, 6
	s_mov_b32 s25, 0
	v_mov_b32_e32 v2, s24
	v_mov_b32_e32 v3, s25
	s_waitcnt lgkmcnt(0)
	v_cmp_gt_i64_e32 vcc, s[20:21], v[2:3]
	s_cbranch_vccnz .LBB87_2
; %bb.1:
	s_mov_b64 s[0:1], 0
	s_branch .LBB87_3
.LBB87_2:
	s_mov_b64 s[0:1], -1
.LBB87_3:
	s_load_dwordx4 s[16:19], s[4:5], 0x30
	v_mov_b32_e32 v16, 0
	s_andn2_b64 vcc, exec, s[0:1]
	v_mbcnt_lo_u32_b32 v7, -1, 0
	v_mov_b32_e32 v6, 0
	s_cbranch_vccnz .LBB87_10
; %bb.4:
	s_load_dword s0, s[4:5], 0x4c
	s_load_dword s2, s[4:5], 0x44
	s_load_dwordx8 s[8:15], s[4:5], 0x10
	v_lshlrev_b32_e32 v2, 3, v1
	v_mbcnt_hi_u32_b32 v4, -1, v7
	v_lshlrev_b32_e32 v4, 2, v4
	v_add_co_u32_e32 v2, vcc, s24, v2
	v_and_b32_e32 v8, 0x100, v4
	s_waitcnt lgkmcnt(0)
	s_lshl_b32 s4, s2, 6
	v_addc_co_u32_e64 v4, s[2:3], 0, 0, vcc
	v_mul_lo_u32 v18, s23, v2
	v_mul_lo_u32 v19, s22, v4
	v_mad_u64_u32 v[16:17], s[2:3], s22, v2, 0
	s_and_b32 s0, s0, 0xffff
	v_mad_u32_u24 v3, v1, s0, v0
	v_and_b32_e32 v3, 63, v3
	v_mov_b32_e32 v6, 0
	v_lshl_add_u32 v5, s6, 5, v0
	v_add_co_u32_e32 v2, vcc, v2, v3
	v_add3_u32 v17, v17, v19, v18
	v_cmp_gt_u32_e64 s[0:1], 8, v3
	v_addc_co_u32_e32 v3, vcc, 0, v4, vcc
	v_lshlrev_b64 v[17:18], 1, v[16:17]
	v_lshlrev_b64 v[4:5], 1, v[5:6]
	s_mul_i32 s2, s23, s4
	v_add_co_u32_e32 v17, vcc, v17, v4
	s_mul_hi_u32 s3, s22, s4
	s_mov_b32 s5, 0
	v_addc_co_u32_e32 v18, vcc, v18, v5, vcc
	v_lshlrev_b64 v[4:5], 2, v[2:3]
	s_add_i32 s3, s3, s2
	s_mul_i32 s2, s22, s4
	v_or_b32_e32 v9, 4, v8
	v_or_b32_e32 v10, 8, v8
	;; [unrolled: 1-line block ×7, first 2 shown]
	s_lshl_b64 s[26:27], s[4:5], 2
	s_lshl_b64 s[28:29], s[2:3], 1
	;; [unrolled: 1-line block ×3, first 2 shown]
	v_mov_b32_e32 v16, v6
	s_branch .LBB87_7
.LBB87_5:                               ;   in Loop: Header=BB87_7 Depth=1
	s_or_b64 exec, exec, s[30:31]
.LBB87_6:                               ;   in Loop: Header=BB87_7 Depth=1
	s_or_b64 exec, exec, s[2:3]
	v_mov_b32_e32 v22, s11
	v_add_co_u32_e32 v21, vcc, s10, v17
	v_addc_co_u32_e32 v22, vcc, v22, v18, vcc
	v_mov_b32_e32 v27, s23
	v_add_co_u32_e32 v23, vcc, s22, v21
	v_addc_co_u32_e32 v24, vcc, v22, v27, vcc
	global_load_ushort v28, v[21:22], off
	v_mov_b32_e32 v22, s9
	v_add_co_u32_e32 v21, vcc, s8, v17
	v_addc_co_u32_e32 v22, vcc, v22, v18, vcc
	v_add_co_u32_e32 v25, vcc, s22, v21
	global_load_ushort v21, v[21:22], off
	v_addc_co_u32_e32 v26, vcc, v22, v27, vcc
	s_add_u32 s24, s24, s4
	s_addc_u32 s25, s25, 0
	v_add_co_u32_e64 v17, s[2:3], s28, v17
	s_waitcnt vmcnt(1)
	v_cvt_f32_f16_e32 v22, v28
	ds_bpermute_b32 v28, v8, v20
	s_waitcnt lgkmcnt(0)
	v_sub_f32_e32 v22, v22, v28
	global_load_ushort v28, v[23:24], off
	s_waitcnt vmcnt(1)
	v_cvt_f32_f16_e32 v21, v21
	v_add_f32_e32 v6, v6, v21
	v_mul_f32_e32 v21, v22, v21
	ds_bpermute_b32 v22, v8, v19
	s_waitcnt lgkmcnt(0)
	v_fmac_f32_e32 v16, v21, v22
	v_add_co_u32_e32 v21, vcc, s22, v23
	v_addc_co_u32_e32 v22, vcc, v24, v27, vcc
	global_load_ushort v29, v[21:22], off
	v_add_co_u32_e32 v23, vcc, s22, v25
	global_load_ushort v25, v[25:26], off
	v_addc_co_u32_e32 v24, vcc, v26, v27, vcc
	s_waitcnt vmcnt(2)
	v_cvt_f32_f16_e32 v26, v28
	ds_bpermute_b32 v28, v9, v20
	s_waitcnt lgkmcnt(0)
	v_sub_f32_e32 v26, v26, v28
	s_waitcnt vmcnt(0)
	v_cvt_f32_f16_e32 v28, v25
	v_mul_f32_e32 v25, v26, v28
	ds_bpermute_b32 v26, v9, v19
	v_add_f32_e32 v6, v6, v28
	s_waitcnt lgkmcnt(0)
	v_fmac_f32_e32 v16, v25, v26
	v_add_co_u32_e32 v25, vcc, s22, v21
	v_addc_co_u32_e32 v26, vcc, v22, v27, vcc
	v_add_co_u32_e32 v21, vcc, s22, v23
	global_load_ushort v23, v[23:24], off
	v_addc_co_u32_e32 v22, vcc, v24, v27, vcc
	v_cvt_f32_f16_e32 v24, v29
	ds_bpermute_b32 v29, v10, v20
	global_load_ushort v30, v[25:26], off
	s_waitcnt lgkmcnt(0)
	v_sub_f32_e32 v24, v24, v29
	s_waitcnt vmcnt(1)
	v_cvt_f32_f16_e32 v29, v23
	v_mul_f32_e32 v23, v24, v29
	ds_bpermute_b32 v24, v10, v19
	v_add_f32_e32 v6, v6, v29
	s_waitcnt lgkmcnt(0)
	v_fmac_f32_e32 v16, v23, v24
	v_add_co_u32_e32 v23, vcc, s22, v25
	v_addc_co_u32_e32 v24, vcc, v26, v27, vcc
	global_load_ushort v31, v[23:24], off
	v_add_co_u32_e32 v25, vcc, s22, v21
	global_load_ushort v21, v[21:22], off
	v_addc_co_u32_e32 v26, vcc, v22, v27, vcc
	s_waitcnt vmcnt(2)
	v_cvt_f32_f16_e32 v22, v30
	ds_bpermute_b32 v30, v11, v20
	s_waitcnt lgkmcnt(0)
	v_sub_f32_e32 v22, v22, v30
	s_waitcnt vmcnt(0)
	v_cvt_f32_f16_e32 v30, v21
	v_mul_f32_e32 v21, v22, v30
	ds_bpermute_b32 v22, v11, v19
	v_add_f32_e32 v6, v6, v30
	s_waitcnt lgkmcnt(0)
	v_fmac_f32_e32 v16, v21, v22
	v_add_co_u32_e32 v21, vcc, s22, v23
	v_addc_co_u32_e32 v22, vcc, v24, v27, vcc
	global_load_ushort v32, v[21:22], off
	v_add_co_u32_e32 v23, vcc, s22, v25
	global_load_ushort v25, v[25:26], off
	v_addc_co_u32_e32 v24, vcc, v26, v27, vcc
	v_cvt_f32_f16_e32 v26, v31
	ds_bpermute_b32 v31, v12, v20
	s_waitcnt lgkmcnt(0)
	v_sub_f32_e32 v26, v26, v31
	s_waitcnt vmcnt(0)
	v_cvt_f32_f16_e32 v31, v25
	v_mul_f32_e32 v25, v26, v31
	ds_bpermute_b32 v26, v12, v19
	v_add_f32_e32 v6, v6, v31
	s_waitcnt lgkmcnt(0)
	v_fmac_f32_e32 v16, v25, v26
	v_add_co_u32_e32 v25, vcc, s22, v21
	v_addc_co_u32_e32 v26, vcc, v22, v27, vcc
	v_add_co_u32_e32 v21, vcc, s22, v23
	global_load_ushort v23, v[23:24], off
	v_addc_co_u32_e32 v22, vcc, v24, v27, vcc
	v_cvt_f32_f16_e32 v24, v32
	ds_bpermute_b32 v32, v13, v20
	global_load_ushort v33, v[25:26], off
	s_waitcnt lgkmcnt(0)
	v_sub_f32_e32 v24, v24, v32
	s_waitcnt vmcnt(1)
	v_cvt_f32_f16_e32 v32, v23
	v_mul_f32_e32 v23, v24, v32
	ds_bpermute_b32 v24, v13, v19
	v_add_f32_e32 v6, v6, v32
	s_waitcnt lgkmcnt(0)
	v_fmac_f32_e32 v16, v23, v24
	v_add_co_u32_e32 v23, vcc, s22, v25
	v_addc_co_u32_e32 v24, vcc, v26, v27, vcc
	v_add_co_u32_e32 v25, vcc, s22, v21
	global_load_ushort v21, v[21:22], off
	v_addc_co_u32_e32 v26, vcc, v22, v27, vcc
	ds_bpermute_b32 v27, v14, v20
	s_waitcnt vmcnt(1)
	v_cvt_f32_f16_e32 v22, v33
	ds_bpermute_b32 v20, v15, v20
	v_add_co_u32_e32 v4, vcc, s26, v4
	s_waitcnt lgkmcnt(1)
	v_sub_f32_e32 v22, v22, v27
	ds_bpermute_b32 v27, v14, v19
	ds_bpermute_b32 v19, v15, v19
	s_waitcnt vmcnt(0)
	v_cvt_f32_f16_e32 v21, v21
	v_mul_f32_e32 v22, v22, v21
	s_waitcnt lgkmcnt(1)
	v_fmac_f32_e32 v16, v22, v27
	global_load_ushort v22, v[25:26], off
	global_load_ushort v27, v[23:24], off
	v_add_f32_e32 v6, v6, v21
	v_mov_b32_e32 v21, s29
	v_addc_co_u32_e64 v18, s[2:3], v18, v21, s[2:3]
	s_waitcnt vmcnt(1)
	v_cvt_f32_f16_e32 v22, v22
	s_waitcnt vmcnt(0)
	v_cvt_f32_f16_e32 v23, v27
	v_add_f32_e32 v6, v6, v22
	v_sub_f32_e32 v20, v23, v20
	v_mul_f32_e32 v20, v20, v22
	s_waitcnt lgkmcnt(0)
	v_fmac_f32_e32 v16, v20, v19
	v_mov_b32_e32 v19, s27
	v_addc_co_u32_e32 v5, vcc, v5, v19, vcc
	v_add_co_u32_e32 v2, vcc, s4, v2
	v_mov_b32_e32 v19, s20
	v_addc_co_u32_e32 v3, vcc, 0, v3, vcc
	v_mov_b32_e32 v20, s21
	v_cmp_lt_i64_e32 vcc, s[24:25], v[19:20]
	s_cbranch_vccz .LBB87_10
.LBB87_7:                               ; =>This Inner Loop Header: Depth=1
	v_mov_b32_e32 v19, 0
	v_mov_b32_e32 v20, 0
	s_and_saveexec_b64 s[2:3], s[0:1]
	s_cbranch_execz .LBB87_6
; %bb.8:                                ;   in Loop: Header=BB87_7 Depth=1
	v_cmp_gt_i64_e32 vcc, s[20:21], v[2:3]
	v_mov_b32_e32 v20, 0
	v_mov_b32_e32 v19, 0
	s_and_saveexec_b64 s[30:31], vcc
	s_cbranch_execz .LBB87_5
; %bb.9:                                ;   in Loop: Header=BB87_7 Depth=1
	v_mov_b32_e32 v19, s15
	v_add_co_u32_e32 v21, vcc, s14, v4
	v_addc_co_u32_e32 v22, vcc, v19, v5, vcc
	v_mov_b32_e32 v19, s13
	v_add_co_u32_e32 v23, vcc, s12, v4
	v_addc_co_u32_e32 v24, vcc, v19, v5, vcc
	global_load_dword v20, v[23:24], off
	global_load_dword v19, v[21:22], off
	s_branch .LBB87_5
.LBB87_10:
	v_mad_u32_u24 v2, v1, 33, v0
	v_sub_u32_e32 v4, v2, v1
	s_movk_i32 s0, 0x800
	v_lshl_add_u32 v3, v2, 2, 0
	v_cmp_gt_u32_e32 vcc, s0, v4
	ds_write_b32 v3, v16
	ds_write_b32 v3, v6 offset:1056
	s_waitcnt lgkmcnt(0)
	s_barrier
	s_and_saveexec_b64 s[0:1], vcc
	s_cbranch_execz .LBB87_74
; %bb.11:
	v_and_b32_e32 v1, 63, v4
	v_lshrrev_b32_e32 v2, 6, v4
	v_cmp_gt_u32_e64 s[0:1], 8, v1
	v_mul_u32_u24_e32 v3, 33, v1
                                        ; implicit-def: $vgpr1
                                        ; implicit-def: $vgpr6
	s_and_saveexec_b64 s[2:3], s[0:1]
	s_cbranch_execz .LBB87_13
; %bb.12:
	v_add_u32_e32 v1, v2, v3
	v_lshl_add_u32 v1, v1, 2, 0
	ds_read_b32 v6, v1
	ds_read_b32 v1, v1 offset:1056
.LBB87_13:
	s_or_b64 exec, exec, s[2:3]
	v_mbcnt_hi_u32_b32 v7, -1, v7
	v_and_b32_e32 v5, 64, v7
	v_add_u32_e32 v8, 64, v5
	v_xor_b32_e32 v5, 4, v7
	v_cmp_lt_i32_e32 vcc, v5, v8
	v_cndmask_b32_e32 v5, v7, v5, vcc
	v_lshlrev_b32_e32 v5, 2, v5
	s_waitcnt lgkmcnt(1)
	ds_bpermute_b32 v9, v5, v6
	s_waitcnt lgkmcnt(1)
	ds_bpermute_b32 v10, v5, v1
	v_cmp_eq_u32_e64 s[2:3], 0, v0
	s_mov_b32 s7, 0
	s_lshl_b64 s[4:5], s[6:7], 5
	s_waitcnt lgkmcnt(1)
	v_add_f32_e32 v9, v6, v9
	v_xor_b32_e32 v6, 2, v7
	v_cmp_lt_i32_e32 vcc, v6, v8
	v_cndmask_b32_e32 v6, v7, v6, vcc
	v_lshlrev_b32_e32 v6, 2, v6
	s_waitcnt lgkmcnt(0)
	v_add_f32_e32 v1, v1, v10
	ds_bpermute_b32 v10, v6, v9
	ds_bpermute_b32 v11, v6, v1
	s_cmp_lg_u64 s[16:17], 0
	s_cselect_b64 s[8:9], -1, 0
	s_cmp_lg_u64 s[18:19], 0
	s_waitcnt lgkmcnt(1)
	v_add_f32_e32 v0, v9, v10
	v_xor_b32_e32 v9, 1, v7
	v_cmp_lt_i32_e32 vcc, v9, v8
	v_cndmask_b32_e32 v7, v7, v9, vcc
	s_waitcnt lgkmcnt(0)
	v_add_f32_e32 v1, v1, v11
	v_lshlrev_b32_e32 v7, 2, v7
	ds_bpermute_b32 v8, v7, v0
	ds_bpermute_b32 v9, v7, v1
	s_cselect_b64 s[6:7], -1, 0
	s_waitcnt lgkmcnt(1)
	v_add_f32_e32 v8, v0, v8
	s_waitcnt lgkmcnt(0)
	v_add_f32_e32 v9, v1, v9
	s_and_saveexec_b64 s[10:11], s[2:3]
	s_cbranch_execz .LBB87_18
; %bb.14:
	v_mov_b32_e32 v1, s5
	v_or_b32_e32 v0, s4, v2
	v_lshlrev_b64 v[0:1], 1, v[0:1]
	s_andn2_b64 vcc, exec, s[8:9]
	s_cbranch_vccnz .LBB87_16
; %bb.15:
	v_cvt_f16_f32_e32 v12, v8
	v_mov_b32_e32 v11, s17
	v_add_co_u32_e32 v10, vcc, s16, v0
	v_addc_co_u32_e32 v11, vcc, v11, v1, vcc
	global_store_short v[10:11], v12, off
.LBB87_16:
	s_andn2_b64 vcc, exec, s[6:7]
	s_cbranch_vccnz .LBB87_18
; %bb.17:
	v_cvt_f16_f32_e32 v11, v9
	v_mov_b32_e32 v10, s19
	v_add_co_u32_e32 v0, vcc, s18, v0
	v_addc_co_u32_e32 v1, vcc, v10, v1, vcc
	global_store_short v[0:1], v11, off
.LBB87_18:
	s_or_b64 exec, exec, s[10:11]
	s_movk_i32 s10, 0x700
	v_cmp_gt_u32_e32 vcc, s10, v4
	s_and_b64 exec, exec, vcc
	s_cbranch_execz .LBB87_74
; %bb.19:
	s_and_saveexec_b64 s[10:11], s[0:1]
	s_cbranch_execz .LBB87_21
; %bb.20:
	v_add_u32_e32 v0, v2, v3
	v_lshl_add_u32 v0, v0, 2, 0
	ds_read_b32 v8, v0 offset:16
	ds_read_b32 v9, v0 offset:1072
.LBB87_21:
	s_or_b64 exec, exec, s[10:11]
	s_waitcnt lgkmcnt(1)
	ds_bpermute_b32 v0, v5, v8
	s_waitcnt lgkmcnt(1)
	ds_bpermute_b32 v1, v5, v9
	s_waitcnt lgkmcnt(1)
	v_add_f32_e32 v0, v8, v0
	s_waitcnt lgkmcnt(0)
	v_add_f32_e32 v1, v9, v1
	ds_bpermute_b32 v8, v6, v0
	ds_bpermute_b32 v9, v6, v1
	s_waitcnt lgkmcnt(1)
	v_add_f32_e32 v0, v0, v8
	s_waitcnt lgkmcnt(0)
	v_add_f32_e32 v1, v1, v9
	ds_bpermute_b32 v8, v7, v0
	ds_bpermute_b32 v9, v7, v1
	s_waitcnt lgkmcnt(1)
	v_add_f32_e32 v0, v0, v8
	s_waitcnt lgkmcnt(0)
	v_add_f32_e32 v1, v1, v9
	s_and_saveexec_b64 s[10:11], s[2:3]
	s_cbranch_execz .LBB87_26
; %bb.22:
	s_andn2_b64 vcc, exec, s[8:9]
	s_cbranch_vccnz .LBB87_24
; %bb.23:
	v_mov_b32_e32 v9, s5
	v_add_co_u32_e32 v8, vcc, s4, v2
	v_addc_co_u32_e32 v9, vcc, 0, v9, vcc
	v_lshlrev_b64 v[8:9], 1, v[8:9]
	v_cvt_f16_f32_e32 v11, v0
	v_mov_b32_e32 v10, s17
	v_add_co_u32_e32 v8, vcc, s16, v8
	v_addc_co_u32_e32 v9, vcc, v10, v9, vcc
	global_store_short v[8:9], v11, off offset:8
.LBB87_24:
	s_andn2_b64 vcc, exec, s[6:7]
	s_cbranch_vccnz .LBB87_26
; %bb.25:
	v_mov_b32_e32 v9, s5
	v_add_co_u32_e32 v8, vcc, s4, v2
	v_addc_co_u32_e32 v9, vcc, 0, v9, vcc
	v_lshlrev_b64 v[8:9], 1, v[8:9]
	v_cvt_f16_f32_e32 v11, v1
	v_mov_b32_e32 v10, s19
	v_add_co_u32_e32 v8, vcc, s18, v8
	v_addc_co_u32_e32 v9, vcc, v10, v9, vcc
	global_store_short v[8:9], v11, off offset:8
.LBB87_26:
	s_or_b64 exec, exec, s[10:11]
	s_movk_i32 s10, 0x600
	v_cmp_gt_u32_e32 vcc, s10, v4
	s_and_b64 exec, exec, vcc
	s_cbranch_execz .LBB87_74
; %bb.27:
	s_and_saveexec_b64 s[10:11], s[0:1]
	s_cbranch_execz .LBB87_29
; %bb.28:
	v_add_u32_e32 v0, v2, v3
	v_lshl_add_u32 v1, v0, 2, 0
	ds_read_b32 v0, v1 offset:32
	ds_read_b32 v1, v1 offset:1088
.LBB87_29:
	s_or_b64 exec, exec, s[10:11]
	s_waitcnt lgkmcnt(1)
	ds_bpermute_b32 v8, v5, v0
	s_waitcnt lgkmcnt(1)
	ds_bpermute_b32 v9, v5, v1
	s_waitcnt lgkmcnt(1)
	v_add_f32_e32 v0, v0, v8
	s_waitcnt lgkmcnt(0)
	v_add_f32_e32 v1, v1, v9
	ds_bpermute_b32 v8, v6, v0
	ds_bpermute_b32 v9, v6, v1
	s_waitcnt lgkmcnt(1)
	v_add_f32_e32 v0, v0, v8
	s_waitcnt lgkmcnt(0)
	v_add_f32_e32 v1, v1, v9
	ds_bpermute_b32 v8, v7, v0
	ds_bpermute_b32 v9, v7, v1
	s_waitcnt lgkmcnt(1)
	v_add_f32_e32 v0, v0, v8
	s_waitcnt lgkmcnt(0)
	v_add_f32_e32 v1, v1, v9
	s_and_saveexec_b64 s[10:11], s[2:3]
	s_cbranch_execz .LBB87_34
; %bb.30:
	s_andn2_b64 vcc, exec, s[8:9]
	s_cbranch_vccnz .LBB87_32
; %bb.31:
	v_mov_b32_e32 v9, s5
	v_add_co_u32_e32 v8, vcc, s4, v2
	v_addc_co_u32_e32 v9, vcc, 0, v9, vcc
	v_lshlrev_b64 v[8:9], 1, v[8:9]
	v_cvt_f16_f32_e32 v11, v0
	v_mov_b32_e32 v10, s17
	v_add_co_u32_e32 v8, vcc, s16, v8
	v_addc_co_u32_e32 v9, vcc, v10, v9, vcc
	global_store_short v[8:9], v11, off offset:16
.LBB87_32:
	s_andn2_b64 vcc, exec, s[6:7]
	s_cbranch_vccnz .LBB87_34
; %bb.33:
	v_mov_b32_e32 v9, s5
	v_add_co_u32_e32 v8, vcc, s4, v2
	v_addc_co_u32_e32 v9, vcc, 0, v9, vcc
	v_lshlrev_b64 v[8:9], 1, v[8:9]
	v_cvt_f16_f32_e32 v11, v1
	v_mov_b32_e32 v10, s19
	v_add_co_u32_e32 v8, vcc, s18, v8
	v_addc_co_u32_e32 v9, vcc, v10, v9, vcc
	global_store_short v[8:9], v11, off offset:16
.LBB87_34:
	;; [unrolled: 64-line block ×6, first 2 shown]
	s_or_b64 exec, exec, s[10:11]
	s_movk_i32 s10, 0x100
	v_cmp_gt_u32_e32 vcc, s10, v4
	s_and_b64 exec, exec, vcc
	s_cbranch_execz .LBB87_74
; %bb.67:
	s_and_saveexec_b64 s[10:11], s[0:1]
	s_cbranch_execz .LBB87_69
; %bb.68:
	v_add_u32_e32 v0, v2, v3
	v_lshl_add_u32 v1, v0, 2, 0
	ds_read_b32 v0, v1 offset:112
	ds_read_b32 v1, v1 offset:1168
.LBB87_69:
	s_or_b64 exec, exec, s[10:11]
	s_waitcnt lgkmcnt(1)
	ds_bpermute_b32 v3, v5, v0
	s_waitcnt lgkmcnt(1)
	ds_bpermute_b32 v4, v5, v1
	s_waitcnt lgkmcnt(1)
	v_add_f32_e32 v0, v0, v3
	s_waitcnt lgkmcnt(0)
	v_add_f32_e32 v1, v1, v4
	ds_bpermute_b32 v3, v6, v0
	ds_bpermute_b32 v4, v6, v1
	s_waitcnt lgkmcnt(1)
	v_add_f32_e32 v3, v0, v3
	s_waitcnt lgkmcnt(0)
	v_add_f32_e32 v0, v1, v4
	ds_bpermute_b32 v4, v7, v3
	ds_bpermute_b32 v1, v7, v0
	s_and_b64 exec, exec, s[2:3]
	s_cbranch_execz .LBB87_74
; %bb.70:
	s_andn2_b64 vcc, exec, s[8:9]
	s_cbranch_vccnz .LBB87_72
; %bb.71:
	s_waitcnt lgkmcnt(1)
	v_add_f32_e32 v5, v3, v4
	v_mov_b32_e32 v4, s5
	v_add_co_u32_e32 v3, vcc, s4, v2
	v_addc_co_u32_e32 v4, vcc, 0, v4, vcc
	v_lshlrev_b64 v[3:4], 1, v[3:4]
	v_cvt_f16_f32_e32 v5, v5
	v_mov_b32_e32 v6, s17
	v_add_co_u32_e32 v3, vcc, s16, v3
	v_addc_co_u32_e32 v4, vcc, v6, v4, vcc
	global_store_short v[3:4], v5, off offset:56
.LBB87_72:
	s_andn2_b64 vcc, exec, s[6:7]
	s_cbranch_vccnz .LBB87_74
; %bb.73:
	s_waitcnt lgkmcnt(0)
	v_add_f32_e32 v3, v0, v1
	v_mov_b32_e32 v1, s5
	v_add_co_u32_e32 v0, vcc, s4, v2
	v_addc_co_u32_e32 v1, vcc, 0, v1, vcc
	v_lshlrev_b64 v[0:1], 1, v[0:1]
	v_cvt_f16_f32_e32 v3, v3
	v_mov_b32_e32 v2, s19
	v_add_co_u32_e32 v0, vcc, s18, v0
	v_addc_co_u32_e32 v1, vcc, v2, v1, vcc
	global_store_short v[0:1], v3, off offset:56
.LBB87_74:
	s_endpgm
	.section	.rodata,"a",@progbits
	.p2align	6, 0x0
	.amdhsa_kernel _ZN2at6native12_GLOBAL__N_135GammaBetaBackwardCUDAKernelTemplateIN3c104HalfEfLj32ELj8ELj64ELb0ELb1ELb0EEEvllPKT_S7_PKT0_SA_PS5_SB_
		.amdhsa_group_segment_fixed_size 0
		.amdhsa_private_segment_fixed_size 0
		.amdhsa_kernarg_size 320
		.amdhsa_user_sgpr_count 6
		.amdhsa_user_sgpr_private_segment_buffer 1
		.amdhsa_user_sgpr_dispatch_ptr 0
		.amdhsa_user_sgpr_queue_ptr 0
		.amdhsa_user_sgpr_kernarg_segment_ptr 1
		.amdhsa_user_sgpr_dispatch_id 0
		.amdhsa_user_sgpr_flat_scratch_init 0
		.amdhsa_user_sgpr_private_segment_size 0
		.amdhsa_uses_dynamic_stack 0
		.amdhsa_system_sgpr_private_segment_wavefront_offset 0
		.amdhsa_system_sgpr_workgroup_id_x 1
		.amdhsa_system_sgpr_workgroup_id_y 1
		.amdhsa_system_sgpr_workgroup_id_z 0
		.amdhsa_system_sgpr_workgroup_info 0
		.amdhsa_system_vgpr_workitem_id 1
		.amdhsa_next_free_vgpr 34
		.amdhsa_next_free_sgpr 32
		.amdhsa_reserve_vcc 1
		.amdhsa_reserve_flat_scratch 0
		.amdhsa_float_round_mode_32 0
		.amdhsa_float_round_mode_16_64 0
		.amdhsa_float_denorm_mode_32 3
		.amdhsa_float_denorm_mode_16_64 3
		.amdhsa_dx10_clamp 1
		.amdhsa_ieee_mode 1
		.amdhsa_fp16_overflow 0
		.amdhsa_exception_fp_ieee_invalid_op 0
		.amdhsa_exception_fp_denorm_src 0
		.amdhsa_exception_fp_ieee_div_zero 0
		.amdhsa_exception_fp_ieee_overflow 0
		.amdhsa_exception_fp_ieee_underflow 0
		.amdhsa_exception_fp_ieee_inexact 0
		.amdhsa_exception_int_div_zero 0
	.end_amdhsa_kernel
	.section	.text._ZN2at6native12_GLOBAL__N_135GammaBetaBackwardCUDAKernelTemplateIN3c104HalfEfLj32ELj8ELj64ELb0ELb1ELb0EEEvllPKT_S7_PKT0_SA_PS5_SB_,"axG",@progbits,_ZN2at6native12_GLOBAL__N_135GammaBetaBackwardCUDAKernelTemplateIN3c104HalfEfLj32ELj8ELj64ELb0ELb1ELb0EEEvllPKT_S7_PKT0_SA_PS5_SB_,comdat
.Lfunc_end87:
	.size	_ZN2at6native12_GLOBAL__N_135GammaBetaBackwardCUDAKernelTemplateIN3c104HalfEfLj32ELj8ELj64ELb0ELb1ELb0EEEvllPKT_S7_PKT0_SA_PS5_SB_, .Lfunc_end87-_ZN2at6native12_GLOBAL__N_135GammaBetaBackwardCUDAKernelTemplateIN3c104HalfEfLj32ELj8ELj64ELb0ELb1ELb0EEEvllPKT_S7_PKT0_SA_PS5_SB_
                                        ; -- End function
	.set _ZN2at6native12_GLOBAL__N_135GammaBetaBackwardCUDAKernelTemplateIN3c104HalfEfLj32ELj8ELj64ELb0ELb1ELb0EEEvllPKT_S7_PKT0_SA_PS5_SB_.num_vgpr, 34
	.set _ZN2at6native12_GLOBAL__N_135GammaBetaBackwardCUDAKernelTemplateIN3c104HalfEfLj32ELj8ELj64ELb0ELb1ELb0EEEvllPKT_S7_PKT0_SA_PS5_SB_.num_agpr, 0
	.set _ZN2at6native12_GLOBAL__N_135GammaBetaBackwardCUDAKernelTemplateIN3c104HalfEfLj32ELj8ELj64ELb0ELb1ELb0EEEvllPKT_S7_PKT0_SA_PS5_SB_.numbered_sgpr, 32
	.set _ZN2at6native12_GLOBAL__N_135GammaBetaBackwardCUDAKernelTemplateIN3c104HalfEfLj32ELj8ELj64ELb0ELb1ELb0EEEvllPKT_S7_PKT0_SA_PS5_SB_.num_named_barrier, 0
	.set _ZN2at6native12_GLOBAL__N_135GammaBetaBackwardCUDAKernelTemplateIN3c104HalfEfLj32ELj8ELj64ELb0ELb1ELb0EEEvllPKT_S7_PKT0_SA_PS5_SB_.private_seg_size, 0
	.set _ZN2at6native12_GLOBAL__N_135GammaBetaBackwardCUDAKernelTemplateIN3c104HalfEfLj32ELj8ELj64ELb0ELb1ELb0EEEvllPKT_S7_PKT0_SA_PS5_SB_.uses_vcc, 1
	.set _ZN2at6native12_GLOBAL__N_135GammaBetaBackwardCUDAKernelTemplateIN3c104HalfEfLj32ELj8ELj64ELb0ELb1ELb0EEEvllPKT_S7_PKT0_SA_PS5_SB_.uses_flat_scratch, 0
	.set _ZN2at6native12_GLOBAL__N_135GammaBetaBackwardCUDAKernelTemplateIN3c104HalfEfLj32ELj8ELj64ELb0ELb1ELb0EEEvllPKT_S7_PKT0_SA_PS5_SB_.has_dyn_sized_stack, 0
	.set _ZN2at6native12_GLOBAL__N_135GammaBetaBackwardCUDAKernelTemplateIN3c104HalfEfLj32ELj8ELj64ELb0ELb1ELb0EEEvllPKT_S7_PKT0_SA_PS5_SB_.has_recursion, 0
	.set _ZN2at6native12_GLOBAL__N_135GammaBetaBackwardCUDAKernelTemplateIN3c104HalfEfLj32ELj8ELj64ELb0ELb1ELb0EEEvllPKT_S7_PKT0_SA_PS5_SB_.has_indirect_call, 0
	.section	.AMDGPU.csdata,"",@progbits
; Kernel info:
; codeLenInByte = 3524
; TotalNumSgprs: 36
; NumVgprs: 34
; ScratchSize: 0
; MemoryBound: 0
; FloatMode: 240
; IeeeMode: 1
; LDSByteSize: 0 bytes/workgroup (compile time only)
; SGPRBlocks: 4
; VGPRBlocks: 8
; NumSGPRsForWavesPerEU: 36
; NumVGPRsForWavesPerEU: 34
; Occupancy: 7
; WaveLimiterHint : 0
; COMPUTE_PGM_RSRC2:SCRATCH_EN: 0
; COMPUTE_PGM_RSRC2:USER_SGPR: 6
; COMPUTE_PGM_RSRC2:TRAP_HANDLER: 0
; COMPUTE_PGM_RSRC2:TGID_X_EN: 1
; COMPUTE_PGM_RSRC2:TGID_Y_EN: 1
; COMPUTE_PGM_RSRC2:TGID_Z_EN: 0
; COMPUTE_PGM_RSRC2:TIDIG_COMP_CNT: 1
	.section	.text._ZN2at6native12_GLOBAL__N_135GammaBetaBackwardCUDAKernelTemplateIN3c104HalfEfLj32ELj8ELj64ELb0ELb0ELb0EEEvllPKT_S7_PKT0_SA_PS5_SB_,"axG",@progbits,_ZN2at6native12_GLOBAL__N_135GammaBetaBackwardCUDAKernelTemplateIN3c104HalfEfLj32ELj8ELj64ELb0ELb0ELb0EEEvllPKT_S7_PKT0_SA_PS5_SB_,comdat
	.globl	_ZN2at6native12_GLOBAL__N_135GammaBetaBackwardCUDAKernelTemplateIN3c104HalfEfLj32ELj8ELj64ELb0ELb0ELb0EEEvllPKT_S7_PKT0_SA_PS5_SB_ ; -- Begin function _ZN2at6native12_GLOBAL__N_135GammaBetaBackwardCUDAKernelTemplateIN3c104HalfEfLj32ELj8ELj64ELb0ELb0ELb0EEEvllPKT_S7_PKT0_SA_PS5_SB_
	.p2align	8
	.type	_ZN2at6native12_GLOBAL__N_135GammaBetaBackwardCUDAKernelTemplateIN3c104HalfEfLj32ELj8ELj64ELb0ELb0ELb0EEEvllPKT_S7_PKT0_SA_PS5_SB_,@function
_ZN2at6native12_GLOBAL__N_135GammaBetaBackwardCUDAKernelTemplateIN3c104HalfEfLj32ELj8ELj64ELb0ELb0ELb0EEEvllPKT_S7_PKT0_SA_PS5_SB_: ; @_ZN2at6native12_GLOBAL__N_135GammaBetaBackwardCUDAKernelTemplateIN3c104HalfEfLj32ELj8ELj64ELb0ELb0ELb0EEEvllPKT_S7_PKT0_SA_PS5_SB_
; %bb.0:
	s_load_dwordx8 s[12:19], s[4:5], 0x0
	s_load_dwordx4 s[20:23], s[4:5], 0x20
	s_lshl_b32 s10, s7, 6
	s_lshl_b32 s33, s6, 5
	s_mov_b32 s11, 0
	v_mov_b32_e32 v4, s10
	s_or_b32 s0, s33, 31
	v_mov_b32_e32 v5, s11
	v_mov_b32_e32 v2, s0
	;; [unrolled: 1-line block ×3, first 2 shown]
	s_waitcnt lgkmcnt(0)
	v_cmp_gt_i64_e64 s[0:1], s[12:13], v[4:5]
	v_cmp_le_i64_e32 vcc, s[14:15], v[2:3]
	v_cndmask_b32_e64 v2, 0, 1, s[0:1]
	v_cmp_ne_u32_e64 s[0:1], 1, v2
	s_cbranch_vccz .LBB88_49
; %bb.1:
	s_and_b64 vcc, exec, s[0:1]
	v_mov_b32_e32 v54, 0
	s_cbranch_vccnz .LBB88_50
; %bb.2:
	v_lshlrev_b32_e32 v21, 3, v1
	v_add_co_u32_e32 v9, vcc, s10, v21
	v_addc_co_u32_e64 v10, s[2:3], 0, 0, vcc
	v_mul_lo_u32 v7, s15, v9
	v_mul_lo_u32 v8, s14, v10
	v_mad_u64_u32 v[5:6], s[2:3], s14, v9, 0
	v_mov_b32_e32 v2, 0
	s_load_dword s7, s[4:5], 0x44
	v_add_u32_e32 v3, s33, v0
	v_mov_b32_e32 v4, v2
	v_add3_u32 v6, v6, v8, v7
	v_cmp_gt_i64_e64 s[2:3], s[14:15], v[3:4]
	v_lshlrev_b64 v[19:20], 1, v[3:4]
	v_lshlrev_b64 v[3:4], 1, v[5:6]
	s_add_u32 s24, s4, 64
	v_mov_b32_e32 v7, s17
	v_add_co_u32_e32 v22, vcc, s16, v3
	s_addc_u32 s25, s5, 0
	s_waitcnt lgkmcnt(0)
	s_lshl_b32 s7, s7, 6
	v_addc_co_u32_e32 v23, vcc, v7, v4, vcc
	s_mul_i32 s8, s15, s7
	s_mul_hi_u32 s9, s14, s7
	v_add_co_u32_e32 v7, vcc, 7, v9
	s_add_i32 s9, s9, s8
	s_mul_i32 s8, s14, s7
	v_addc_co_u32_e32 v8, vcc, 0, v10, vcc
	s_lshl_b64 s[26:27], s[8:9], 1
	v_mul_lo_u32 v12, s15, v7
	v_mul_lo_u32 v13, s14, v8
	v_mad_u64_u32 v[7:8], s[8:9], s14, v7, 0
	v_mov_b32_e32 v11, s19
	v_add_co_u32_e32 v24, vcc, s18, v3
	v_add3_u32 v8, v8, v13, v12
	v_addc_co_u32_e32 v25, vcc, v11, v4, vcc
	v_lshlrev_b64 v[3:4], 1, v[7:8]
	v_mov_b32_e32 v7, s17
	v_add_co_u32_e32 v26, vcc, s16, v3
	v_addc_co_u32_e32 v27, vcc, v7, v4, vcc
	v_add_co_u32_e32 v7, vcc, 6, v9
	v_addc_co_u32_e32 v8, vcc, 0, v10, vcc
	v_mul_lo_u32 v12, s15, v7
	v_mul_lo_u32 v13, s14, v8
	v_mad_u64_u32 v[7:8], s[8:9], s14, v7, 0
	v_add_co_u32_e32 v28, vcc, s18, v3
	v_add3_u32 v8, v8, v13, v12
	v_addc_co_u32_e32 v29, vcc, v11, v4, vcc
	v_lshlrev_b64 v[3:4], 1, v[7:8]
	v_mov_b32_e32 v7, s17
	v_add_co_u32_e32 v30, vcc, s16, v3
	v_addc_co_u32_e32 v31, vcc, v7, v4, vcc
	v_add_co_u32_e32 v7, vcc, 5, v9
	v_addc_co_u32_e32 v8, vcc, 0, v10, vcc
	v_mul_lo_u32 v12, s15, v7
	v_mul_lo_u32 v13, s14, v8
	v_mad_u64_u32 v[7:8], s[8:9], s14, v7, 0
	;; [unrolled: 12-line block ×5, first 2 shown]
	v_add_co_u32_e32 v44, vcc, s18, v3
	v_add3_u32 v8, v8, v10, v9
	v_addc_co_u32_e32 v45, vcc, v11, v4, vcc
	v_lshlrev_b64 v[3:4], 1, v[7:8]
	v_mov_b32_e32 v7, s17
	v_add_co_u32_e32 v46, vcc, s16, v3
	v_addc_co_u32_e32 v47, vcc, v7, v4, vcc
	v_mov_b32_e32 v7, s19
	v_add_co_u32_e32 v48, vcc, s18, v3
	v_addc_co_u32_e32 v49, vcc, v7, v4, vcc
	;; [unrolled: 3-line block ×3, first 2 shown]
	v_lshlrev_b64 v[3:4], 1, v[3:4]
	v_mov_b32_e32 v5, s17
	v_add_co_u32_e32 v50, vcc, s16, v3
	v_addc_co_u32_e32 v51, vcc, v5, v4, vcc
	v_add_co_u32_e32 v52, vcc, s18, v3
	v_mbcnt_lo_u32_b32 v3, -1, 0
	v_mbcnt_hi_u32_b32 v3, -1, v3
	v_mov_b32_e32 v5, s19
	s_add_u32 s28, s10, 63
	v_lshlrev_b32_e32 v3, 2, v3
	v_addc_co_u32_e32 v53, vcc, v5, v4, vcc
	s_addc_u32 s29, 0, 0
	v_and_b32_e32 v55, 0x100, v3
	v_mov_b32_e32 v54, 0
	v_mov_b32_e32 v56, 0
	s_mov_b64 s[30:31], s[10:11]
.LBB88_3:                               ; =>This Inner Loop Header: Depth=1
	v_mov_b32_e32 v3, s12
	v_mov_b32_e32 v4, s13
	v_cmp_ge_i64_e32 vcc, s[28:29], v[3:4]
	v_mov_b32_e32 v3, s29
	v_add_co_u32_e64 v57, s[8:9], s28, v21
	v_addc_co_u32_e64 v58, s[8:9], 0, v3, s[8:9]
	s_mov_b64 s[8:9], -1
	s_and_b64 vcc, exec, vcc
                                        ; implicit-def: $vgpr3_vgpr4_vgpr5_vgpr6_vgpr7_vgpr8_vgpr9_vgpr10
                                        ; implicit-def: $vgpr59
                                        ; implicit-def: $vgpr11_vgpr12_vgpr13_vgpr14_vgpr15_vgpr16_vgpr17_vgpr18
                                        ; implicit-def: $vgpr4
                                        ; implicit-def: $vgpr3
                                        ; implicit-def: $vgpr5
	s_cbranch_vccz .LBB88_25
; %bb.4:                                ;   in Loop: Header=BB88_3 Depth=1
	s_load_dword s8, s[24:25], 0xc
	v_mov_b32_e32 v59, 0
	v_mov_b32_e32 v60, 0
	s_waitcnt lgkmcnt(0)
	s_and_b32 s8, s8, 0xffff
	v_mad_u32_u24 v3, v1, s8, v0
	v_and_b32_e32 v3, 63, v3
	v_cmp_gt_u32_e32 vcc, 8, v3
	s_and_saveexec_b64 s[8:9], vcc
	s_cbranch_execz .LBB88_8
; %bb.5:                                ;   in Loop: Header=BB88_3 Depth=1
	v_add_co_u32_e32 v3, vcc, v57, v3
	v_addc_co_u32_e32 v4, vcc, 0, v58, vcc
	v_add_co_u32_e32 v3, vcc, 0xffffffc1, v3
	v_addc_co_u32_e32 v4, vcc, -1, v4, vcc
	v_cmp_gt_i64_e32 vcc, s[12:13], v[3:4]
	v_mov_b32_e32 v60, 0
	v_mov_b32_e32 v59, 0
	s_and_saveexec_b64 s[34:35], vcc
	s_cbranch_execz .LBB88_7
; %bb.6:                                ;   in Loop: Header=BB88_3 Depth=1
	v_lshlrev_b64 v[3:4], 2, v[3:4]
	v_mov_b32_e32 v6, s23
	v_add_co_u32_e32 v5, vcc, s22, v3
	v_addc_co_u32_e32 v6, vcc, v6, v4, vcc
	v_mov_b32_e32 v7, s21
	v_add_co_u32_e32 v3, vcc, s20, v3
	v_addc_co_u32_e32 v4, vcc, v7, v4, vcc
	global_load_dword v60, v[3:4], off
	global_load_dword v59, v[5:6], off
.LBB88_7:                               ;   in Loop: Header=BB88_3 Depth=1
	s_or_b64 exec, exec, s[34:35]
.LBB88_8:                               ;   in Loop: Header=BB88_3 Depth=1
	s_or_b64 exec, exec, s[8:9]
	v_add_co_u32_e32 v3, vcc, 0xffffffc1, v57
	v_addc_co_u32_e32 v4, vcc, -1, v58, vcc
	v_mov_b32_e32 v9, v2
	v_cmp_gt_i64_e32 vcc, s[12:13], v[3:4]
	v_mov_b32_e32 v3, v2
	v_mov_b32_e32 v4, v2
	;; [unrolled: 1-line block ×15, first 2 shown]
	s_and_b64 s[34:35], s[2:3], vcc
	v_mov_b32_e32 v9, v8
	v_mov_b32_e32 v8, v7
	;; [unrolled: 1-line block ×7, first 2 shown]
	s_and_saveexec_b64 s[8:9], s[34:35]
	s_cbranch_execz .LBB88_10
; %bb.9:                                ;   in Loop: Header=BB88_3 Depth=1
	v_add_co_u32_e32 v3, vcc, v22, v19
	v_addc_co_u32_e32 v4, vcc, v23, v20, vcc
	global_load_ushort v11, v[3:4], off
	v_add_co_u32_e32 v3, vcc, v24, v19
	v_addc_co_u32_e32 v4, vcc, v25, v20, vcc
	global_load_ushort v15, v[3:4], off
	v_mov_b32_e32 v4, v2
	v_mov_b32_e32 v5, v2
	;; [unrolled: 1-line block ×13, first 2 shown]
	s_waitcnt vmcnt(1)
	v_cvt_f32_f16_e32 v3, v11
	s_waitcnt vmcnt(0)
	v_cvt_f32_f16_e32 v11, v15
	v_mov_b32_e32 v15, v2
.LBB88_10:                              ;   in Loop: Header=BB88_3 Depth=1
	s_or_b64 exec, exec, s[8:9]
	v_add_co_u32_e32 v61, vcc, 0xffffffc2, v57
	v_addc_co_u32_e32 v62, vcc, -1, v58, vcc
	v_cmp_gt_i64_e32 vcc, s[12:13], v[61:62]
	s_and_b64 s[34:35], s[2:3], vcc
	s_and_saveexec_b64 s[8:9], s[34:35]
	s_cbranch_execz .LBB88_12
; %bb.11:                               ;   in Loop: Header=BB88_3 Depth=1
	v_add_co_u32_e32 v61, vcc, v50, v19
	v_addc_co_u32_e32 v62, vcc, v51, v20, vcc
	global_load_ushort v4, v[61:62], off
	v_add_co_u32_e32 v61, vcc, v52, v19
	v_addc_co_u32_e32 v62, vcc, v53, v20, vcc
	global_load_ushort v12, v[61:62], off
	s_waitcnt vmcnt(1)
	v_cvt_f32_f16_e32 v4, v4
	s_waitcnt vmcnt(0)
	v_cvt_f32_f16_e32 v12, v12
.LBB88_12:                              ;   in Loop: Header=BB88_3 Depth=1
	s_or_b64 exec, exec, s[8:9]
	v_add_co_u32_e32 v61, vcc, 0xffffffc3, v57
	v_addc_co_u32_e32 v62, vcc, -1, v58, vcc
	v_cmp_gt_i64_e32 vcc, s[12:13], v[61:62]
	s_and_b64 s[34:35], s[2:3], vcc
	s_and_saveexec_b64 s[8:9], s[34:35]
	s_cbranch_execz .LBB88_14
; %bb.13:                               ;   in Loop: Header=BB88_3 Depth=1
	v_add_co_u32_e32 v61, vcc, v46, v19
	v_addc_co_u32_e32 v62, vcc, v47, v20, vcc
	global_load_ushort v5, v[61:62], off
	v_add_co_u32_e32 v61, vcc, v48, v19
	v_addc_co_u32_e32 v62, vcc, v49, v20, vcc
	global_load_ushort v13, v[61:62], off
	s_waitcnt vmcnt(1)
	v_cvt_f32_f16_e32 v5, v5
	s_waitcnt vmcnt(0)
	v_cvt_f32_f16_e32 v13, v13
.LBB88_14:                              ;   in Loop: Header=BB88_3 Depth=1
	;; [unrolled: 19-line block ×7, first 2 shown]
	s_or_b64 exec, exec, s[8:9]
	s_waitcnt vmcnt(1)
	ds_bpermute_b32 v61, v55, v60
	ds_bpermute_b32 v64, v55, v60 offset:4
	s_waitcnt vmcnt(0)
	ds_bpermute_b32 v62, v55, v59
	ds_bpermute_b32 v65, v55, v59 offset:4
	v_add_f32_e32 v63, v54, v3
	s_waitcnt lgkmcnt(3)
	v_sub_f32_e32 v11, v11, v61
	v_mul_f32_e32 v3, v3, v11
	s_waitcnt lgkmcnt(2)
	v_sub_f32_e32 v11, v12, v64
	ds_bpermute_b32 v12, v55, v60 offset:8
	s_waitcnt lgkmcnt(2)
	v_fma_f32 v3, v3, v62, v56
	v_mul_f32_e32 v11, v4, v11
	s_waitcnt lgkmcnt(1)
	v_fmac_f32_e32 v3, v11, v65
	ds_bpermute_b32 v11, v55, v59 offset:8
	s_waitcnt lgkmcnt(1)
	v_sub_f32_e32 v12, v13, v12
	ds_bpermute_b32 v13, v55, v60 offset:12
	v_mul_f32_e32 v12, v5, v12
	v_add_f32_e32 v4, v4, v63
	s_waitcnt lgkmcnt(1)
	v_fmac_f32_e32 v3, v12, v11
	ds_bpermute_b32 v11, v55, v59 offset:12
	v_add_f32_e32 v4, v5, v4
	s_waitcnt lgkmcnt(1)
	v_sub_f32_e32 v5, v14, v13
	ds_bpermute_b32 v12, v55, v60 offset:16
	v_mul_f32_e32 v5, v6, v5
	s_waitcnt lgkmcnt(1)
	v_fmac_f32_e32 v3, v5, v11
	ds_bpermute_b32 v5, v55, v59 offset:16
	v_add_f32_e32 v4, v6, v4
	s_waitcnt lgkmcnt(1)
	v_sub_f32_e32 v6, v15, v12
	ds_bpermute_b32 v11, v55, v60 offset:20
	v_mul_f32_e32 v6, v7, v6
	;; [unrolled: 8-line block ×3, first 2 shown]
	s_waitcnt lgkmcnt(1)
	v_fmac_f32_e32 v3, v6, v5
	ds_bpermute_b32 v6, v55, v59 offset:24
	v_add_f32_e32 v5, v8, v4
	ds_bpermute_b32 v59, v55, v59 offset:28
	ds_bpermute_b32 v4, v55, v60 offset:28
	s_waitcnt lgkmcnt(3)
	v_sub_f32_e32 v7, v17, v7
	v_mul_f32_e32 v7, v9, v7
	s_waitcnt lgkmcnt(2)
	v_fmac_f32_e32 v3, v7, v6
	v_add_f32_e32 v5, v9, v5
	s_mov_b64 s[8:9], 0
.LBB88_25:                              ;   in Loop: Header=BB88_3 Depth=1
	s_and_b64 vcc, exec, s[8:9]
	s_cbranch_vccz .LBB88_40
; %bb.26:                               ;   in Loop: Header=BB88_3 Depth=1
	s_load_dword s8, s[24:25], 0x0
	s_waitcnt lgkmcnt(0)
	v_mov_b32_e32 v59, 0
	v_mov_b32_e32 v60, 0
	s_cmp_lt_u32 s6, s8
	s_cselect_b32 s8, 12, 18
	s_add_u32 s8, s24, s8
	s_addc_u32 s9, s25, 0
	global_load_ushort v3, v2, s[8:9]
	s_waitcnt vmcnt(0)
	v_mad_u32_u24 v3, v1, v3, v0
	v_and_b32_e32 v3, 63, v3
	v_cmp_gt_u32_e32 vcc, 8, v3
	s_and_saveexec_b64 s[8:9], vcc
	s_cbranch_execz .LBB88_30
; %bb.27:                               ;   in Loop: Header=BB88_3 Depth=1
	v_add_co_u32_e32 v3, vcc, v57, v3
	v_addc_co_u32_e32 v4, vcc, 0, v58, vcc
	v_add_co_u32_e32 v3, vcc, 0xffffffc1, v3
	v_addc_co_u32_e32 v4, vcc, -1, v4, vcc
	v_cmp_gt_i64_e32 vcc, s[12:13], v[3:4]
	v_mov_b32_e32 v60, 0
	v_mov_b32_e32 v59, 0
	s_and_saveexec_b64 s[34:35], vcc
	s_cbranch_execz .LBB88_29
; %bb.28:                               ;   in Loop: Header=BB88_3 Depth=1
	v_lshlrev_b64 v[3:4], 2, v[3:4]
	v_mov_b32_e32 v6, s23
	v_add_co_u32_e32 v5, vcc, s22, v3
	v_addc_co_u32_e32 v6, vcc, v6, v4, vcc
	v_mov_b32_e32 v7, s21
	v_add_co_u32_e32 v3, vcc, s20, v3
	v_addc_co_u32_e32 v4, vcc, v7, v4, vcc
	global_load_dword v60, v[3:4], off
	global_load_dword v59, v[5:6], off
.LBB88_29:                              ;   in Loop: Header=BB88_3 Depth=1
	s_or_b64 exec, exec, s[34:35]
.LBB88_30:                              ;   in Loop: Header=BB88_3 Depth=1
	s_or_b64 exec, exec, s[8:9]
	v_mov_b32_e32 v9, v2
	v_mov_b32_e32 v3, v2
	;; [unrolled: 1-line block ×23, first 2 shown]
	s_and_saveexec_b64 s[8:9], s[2:3]
	s_cbranch_execnz .LBB88_42
; %bb.31:                               ;   in Loop: Header=BB88_3 Depth=1
	s_or_b64 exec, exec, s[8:9]
	s_and_saveexec_b64 s[8:9], s[2:3]
	s_cbranch_execnz .LBB88_43
.LBB88_32:                              ;   in Loop: Header=BB88_3 Depth=1
	s_or_b64 exec, exec, s[8:9]
	s_and_saveexec_b64 s[8:9], s[2:3]
	s_cbranch_execnz .LBB88_44
.LBB88_33:                              ;   in Loop: Header=BB88_3 Depth=1
	s_or_b64 exec, exec, s[8:9]
	s_and_saveexec_b64 s[8:9], s[2:3]
	s_cbranch_execnz .LBB88_45
.LBB88_34:                              ;   in Loop: Header=BB88_3 Depth=1
	s_or_b64 exec, exec, s[8:9]
	s_and_saveexec_b64 s[8:9], s[2:3]
	s_cbranch_execnz .LBB88_46
.LBB88_35:                              ;   in Loop: Header=BB88_3 Depth=1
	s_or_b64 exec, exec, s[8:9]
	s_and_saveexec_b64 s[8:9], s[2:3]
	s_cbranch_execnz .LBB88_47
.LBB88_36:                              ;   in Loop: Header=BB88_3 Depth=1
	s_or_b64 exec, exec, s[8:9]
	s_and_saveexec_b64 s[8:9], s[2:3]
	s_cbranch_execnz .LBB88_48
.LBB88_37:                              ;   in Loop: Header=BB88_3 Depth=1
	s_or_b64 exec, exec, s[8:9]
	s_and_saveexec_b64 s[8:9], s[2:3]
	s_cbranch_execz .LBB88_39
.LBB88_38:                              ;   in Loop: Header=BB88_3 Depth=1
	v_add_co_u32_e32 v57, vcc, v26, v19
	v_addc_co_u32_e32 v58, vcc, v27, v20, vcc
	global_load_ushort v10, v[57:58], off
	v_add_co_u32_e32 v57, vcc, v28, v19
	v_addc_co_u32_e32 v58, vcc, v29, v20, vcc
	global_load_ushort v18, v[57:58], off
	s_waitcnt vmcnt(1)
	v_cvt_f32_f16_e32 v10, v10
	s_waitcnt vmcnt(0)
	v_cvt_f32_f16_e32 v18, v18
.LBB88_39:                              ;   in Loop: Header=BB88_3 Depth=1
	s_or_b64 exec, exec, s[8:9]
	s_waitcnt vmcnt(1)
	ds_bpermute_b32 v57, v55, v60
	s_waitcnt vmcnt(0)
	ds_bpermute_b32 v58, v55, v59
	ds_bpermute_b32 v61, v55, v60 offset:4
	ds_bpermute_b32 v62, v55, v59 offset:4
	v_add_f32_e32 v54, v54, v3
	s_waitcnt lgkmcnt(3)
	v_sub_f32_e32 v11, v11, v57
	v_mul_f32_e32 v3, v3, v11
	s_waitcnt lgkmcnt(2)
	v_fmac_f32_e32 v56, v3, v58
	s_waitcnt lgkmcnt(1)
	v_sub_f32_e32 v3, v12, v61
	ds_bpermute_b32 v11, v55, v60 offset:8
	v_mul_f32_e32 v3, v4, v3
	s_waitcnt lgkmcnt(1)
	v_fmac_f32_e32 v56, v3, v62
	ds_bpermute_b32 v3, v55, v59 offset:8
	ds_bpermute_b32 v12, v55, v60 offset:12
	s_waitcnt lgkmcnt(2)
	v_sub_f32_e32 v11, v13, v11
	v_mul_f32_e32 v11, v5, v11
	v_add_f32_e32 v4, v4, v54
	s_waitcnt lgkmcnt(1)
	v_fmac_f32_e32 v56, v11, v3
	ds_bpermute_b32 v3, v55, v59 offset:12
	v_add_f32_e32 v4, v5, v4
	s_waitcnt lgkmcnt(1)
	v_sub_f32_e32 v5, v14, v12
	ds_bpermute_b32 v11, v55, v60 offset:16
	v_mul_f32_e32 v5, v6, v5
	s_waitcnt lgkmcnt(1)
	v_fmac_f32_e32 v56, v5, v3
	ds_bpermute_b32 v3, v55, v59 offset:16
	v_add_f32_e32 v4, v6, v4
	s_waitcnt lgkmcnt(1)
	v_sub_f32_e32 v5, v15, v11
	ds_bpermute_b32 v6, v55, v60 offset:20
	v_mul_f32_e32 v5, v7, v5
	;; [unrolled: 8-line block ×3, first 2 shown]
	s_waitcnt lgkmcnt(1)
	v_fmac_f32_e32 v56, v5, v3
	ds_bpermute_b32 v5, v55, v59 offset:24
	v_add_f32_e32 v3, v8, v4
	ds_bpermute_b32 v59, v55, v59 offset:28
	ds_bpermute_b32 v4, v55, v60 offset:28
	s_waitcnt lgkmcnt(3)
	v_sub_f32_e32 v6, v17, v6
	v_mul_f32_e32 v6, v9, v6
	s_waitcnt lgkmcnt(2)
	v_fmac_f32_e32 v56, v6, v5
	v_add_f32_e32 v5, v9, v3
	v_mov_b32_e32 v3, v56
.LBB88_40:                              ;   in Loop: Header=BB88_3 Depth=1
	s_waitcnt lgkmcnt(0)
	v_sub_f32_e32 v4, v18, v4
	v_mul_f32_e32 v4, v10, v4
	v_fmac_f32_e32 v3, v4, v59
	v_mov_b32_e32 v4, s27
	v_add_co_u32_e32 v22, vcc, s26, v22
	v_addc_co_u32_e32 v23, vcc, v23, v4, vcc
	v_add_co_u32_e32 v24, vcc, s26, v24
	v_addc_co_u32_e32 v25, vcc, v25, v4, vcc
	;; [unrolled: 2-line block ×15, first 2 shown]
	v_add_co_u32_e32 v52, vcc, s26, v52
	v_add_f32_e32 v54, v5, v10
	s_add_u32 s30, s30, s7
	v_addc_co_u32_e32 v53, vcc, v53, v4, vcc
	v_mov_b32_e32 v4, s12
	s_addc_u32 s31, s31, 0
	v_mov_b32_e32 v5, s13
	v_cmp_lt_i64_e32 vcc, s[30:31], v[4:5]
	s_add_u32 s28, s28, s7
	s_addc_u32 s29, s29, 0
	s_cbranch_vccz .LBB88_50
; %bb.41:                               ;   in Loop: Header=BB88_3 Depth=1
	v_mov_b32_e32 v56, v3
	s_branch .LBB88_3
.LBB88_42:                              ;   in Loop: Header=BB88_3 Depth=1
	v_add_co_u32_e32 v3, vcc, v22, v19
	v_addc_co_u32_e32 v4, vcc, v23, v20, vcc
	global_load_ushort v11, v[3:4], off
	v_add_co_u32_e32 v3, vcc, v24, v19
	v_addc_co_u32_e32 v4, vcc, v25, v20, vcc
	global_load_ushort v15, v[3:4], off
	v_mov_b32_e32 v4, v2
	v_mov_b32_e32 v5, v2
	;; [unrolled: 1-line block ×13, first 2 shown]
	s_waitcnt vmcnt(1)
	v_cvt_f32_f16_e32 v3, v11
	s_waitcnt vmcnt(0)
	v_cvt_f32_f16_e32 v11, v15
	v_mov_b32_e32 v15, v2
	s_or_b64 exec, exec, s[8:9]
	s_and_saveexec_b64 s[8:9], s[2:3]
	s_cbranch_execz .LBB88_32
.LBB88_43:                              ;   in Loop: Header=BB88_3 Depth=1
	v_add_co_u32_e32 v57, vcc, v50, v19
	v_addc_co_u32_e32 v58, vcc, v51, v20, vcc
	global_load_ushort v4, v[57:58], off
	v_add_co_u32_e32 v57, vcc, v52, v19
	v_addc_co_u32_e32 v58, vcc, v53, v20, vcc
	global_load_ushort v12, v[57:58], off
	s_waitcnt vmcnt(1)
	v_cvt_f32_f16_e32 v4, v4
	s_waitcnt vmcnt(0)
	v_cvt_f32_f16_e32 v12, v12
	s_or_b64 exec, exec, s[8:9]
	s_and_saveexec_b64 s[8:9], s[2:3]
	s_cbranch_execz .LBB88_33
.LBB88_44:                              ;   in Loop: Header=BB88_3 Depth=1
	v_add_co_u32_e32 v57, vcc, v46, v19
	v_addc_co_u32_e32 v58, vcc, v47, v20, vcc
	global_load_ushort v5, v[57:58], off
	v_add_co_u32_e32 v57, vcc, v48, v19
	v_addc_co_u32_e32 v58, vcc, v49, v20, vcc
	global_load_ushort v13, v[57:58], off
	s_waitcnt vmcnt(1)
	v_cvt_f32_f16_e32 v5, v5
	s_waitcnt vmcnt(0)
	v_cvt_f32_f16_e32 v13, v13
	s_or_b64 exec, exec, s[8:9]
	s_and_saveexec_b64 s[8:9], s[2:3]
	s_cbranch_execz .LBB88_34
.LBB88_45:                              ;   in Loop: Header=BB88_3 Depth=1
	v_add_co_u32_e32 v57, vcc, v42, v19
	v_addc_co_u32_e32 v58, vcc, v43, v20, vcc
	global_load_ushort v6, v[57:58], off
	v_add_co_u32_e32 v57, vcc, v44, v19
	v_addc_co_u32_e32 v58, vcc, v45, v20, vcc
	global_load_ushort v14, v[57:58], off
	s_waitcnt vmcnt(1)
	v_cvt_f32_f16_e32 v6, v6
	s_waitcnt vmcnt(0)
	v_cvt_f32_f16_e32 v14, v14
	s_or_b64 exec, exec, s[8:9]
	s_and_saveexec_b64 s[8:9], s[2:3]
	s_cbranch_execz .LBB88_35
.LBB88_46:                              ;   in Loop: Header=BB88_3 Depth=1
	v_add_co_u32_e32 v57, vcc, v38, v19
	v_addc_co_u32_e32 v58, vcc, v39, v20, vcc
	global_load_ushort v7, v[57:58], off
	v_add_co_u32_e32 v57, vcc, v40, v19
	v_addc_co_u32_e32 v58, vcc, v41, v20, vcc
	global_load_ushort v15, v[57:58], off
	s_waitcnt vmcnt(1)
	v_cvt_f32_f16_e32 v7, v7
	s_waitcnt vmcnt(0)
	v_cvt_f32_f16_e32 v15, v15
	s_or_b64 exec, exec, s[8:9]
	s_and_saveexec_b64 s[8:9], s[2:3]
	s_cbranch_execz .LBB88_36
.LBB88_47:                              ;   in Loop: Header=BB88_3 Depth=1
	v_add_co_u32_e32 v57, vcc, v34, v19
	v_addc_co_u32_e32 v58, vcc, v35, v20, vcc
	global_load_ushort v8, v[57:58], off
	v_add_co_u32_e32 v57, vcc, v36, v19
	v_addc_co_u32_e32 v58, vcc, v37, v20, vcc
	global_load_ushort v16, v[57:58], off
	s_waitcnt vmcnt(1)
	v_cvt_f32_f16_e32 v8, v8
	s_waitcnt vmcnt(0)
	v_cvt_f32_f16_e32 v16, v16
	s_or_b64 exec, exec, s[8:9]
	s_and_saveexec_b64 s[8:9], s[2:3]
	s_cbranch_execz .LBB88_37
.LBB88_48:                              ;   in Loop: Header=BB88_3 Depth=1
	v_add_co_u32_e32 v57, vcc, v30, v19
	v_addc_co_u32_e32 v58, vcc, v31, v20, vcc
	global_load_ushort v9, v[57:58], off
	v_add_co_u32_e32 v57, vcc, v32, v19
	v_addc_co_u32_e32 v58, vcc, v33, v20, vcc
	global_load_ushort v17, v[57:58], off
	s_waitcnt vmcnt(1)
	v_cvt_f32_f16_e32 v9, v9
	s_waitcnt vmcnt(0)
	v_cvt_f32_f16_e32 v17, v17
	s_or_b64 exec, exec, s[8:9]
	s_and_saveexec_b64 s[8:9], s[2:3]
	s_cbranch_execnz .LBB88_38
	s_branch .LBB88_39
.LBB88_49:
                                        ; implicit-def: $vgpr3
                                        ; implicit-def: $vgpr54
	s_branch .LBB88_51
.LBB88_50:
	s_cbranch_execnz .LBB88_83
.LBB88_51:
	v_mov_b32_e32 v3, 0
	s_and_b64 vcc, exec, s[0:1]
	v_mov_b32_e32 v54, 0
	s_cbranch_vccnz .LBB88_83
; %bb.52:
	v_lshlrev_b32_e32 v49, 3, v1
	v_add_co_u32_e32 v8, vcc, s10, v49
	v_addc_co_u32_e64 v9, s[0:1], 0, 0, vcc
	s_load_dword s7, s[4:5], 0x44
	v_mul_lo_u32 v4, s15, v8
	v_mul_lo_u32 v5, s14, v9
	v_mad_u64_u32 v[2:3], s[0:1], s14, v8, 0
	s_add_u32 s2, s4, 64
	s_addc_u32 s3, s5, 0
	v_add3_u32 v3, v3, v5, v4
	s_waitcnt lgkmcnt(0)
	s_lshl_b32 s7, s7, 6
	v_lshlrev_b64 v[4:5], 1, v[2:3]
	s_mul_i32 s0, s15, s7
	s_mul_hi_u32 s1, s14, s7
	v_mov_b32_e32 v6, s17
	v_add_co_u32_e32 v50, vcc, s16, v4
	s_add_i32 s1, s1, s0
	s_mul_i32 s0, s14, s7
	v_addc_co_u32_e32 v51, vcc, v6, v5, vcc
	s_lshl_b64 s[8:9], s[0:1], 1
	v_mov_b32_e32 v6, s19
	v_add_co_u32_e32 v52, vcc, s18, v4
	s_add_u32 s24, s10, 63
	v_addc_co_u32_e32 v53, vcc, v6, v5, vcc
	s_addc_u32 s25, 0, 0
	v_lshlrev_b32_e32 v4, 4, v1
	s_lshl_b64 s[0:1], s[10:11], 1
	v_mov_b32_e32 v5, s1
	v_add_co_u32_e32 v10, vcc, s0, v4
	v_addc_co_u32_e32 v11, vcc, 0, v5, vcc
	v_add_co_u32_e32 v12, vcc, 2, v10
	v_addc_co_u32_e32 v6, vcc, 0, v11, vcc
	v_mov_b32_e32 v4, s16
	v_mul_lo_u32 v14, s14, v6
	v_mov_b32_e32 v6, s18
	v_mov_b32_e32 v5, s17
	;; [unrolled: 1-line block ×3, first 2 shown]
	v_mad_u64_u32 v[19:20], s[0:1], s14, v12, v[4:5]
	v_mul_lo_u32 v15, s15, v12
	v_mad_u64_u32 v[21:22], s[0:1], s14, v12, v[6:7]
	v_add_co_u32_e32 v12, vcc, 4, v10
	v_addc_co_u32_e32 v16, vcc, 0, v11, vcc
	v_mov_b32_e32 v13, s15
	v_add_co_u32_e32 v2, vcc, s14, v2
	v_addc_co_u32_e32 v3, vcc, v3, v13, vcc
	v_mul_lo_u32 v17, s15, v12
	v_mad_u64_u32 v[23:24], s[0:1], s14, v12, v[4:5]
	v_mad_u64_u32 v[25:26], s[0:1], s14, v12, v[6:7]
	v_add_co_u32_e32 v12, vcc, 6, v10
	v_addc_co_u32_e32 v13, vcc, 0, v11, vcc
	v_add3_u32 v20, v15, v20, v14
	v_add3_u32 v22, v15, v22, v14
	v_mul_lo_u32 v13, s14, v13
	v_mul_lo_u32 v14, s15, v12
	v_mad_u64_u32 v[27:28], s[0:1], s14, v12, v[4:5]
	v_mad_u64_u32 v[29:30], s[0:1], s14, v12, v[6:7]
	v_add_co_u32_e32 v12, vcc, 8, v10
	v_mul_lo_u32 v16, s14, v16
	v_addc_co_u32_e32 v15, vcc, 0, v11, vcc
	v_mul_lo_u32 v18, s15, v12
	v_mad_u64_u32 v[31:32], s[0:1], s14, v12, v[4:5]
	v_mad_u64_u32 v[33:34], s[0:1], s14, v12, v[6:7]
	v_add_co_u32_e32 v12, vcc, 10, v10
	v_add3_u32 v28, v14, v28, v13
	v_add3_u32 v30, v14, v30, v13
	v_addc_co_u32_e32 v13, vcc, 0, v11, vcc
	v_mul_lo_u32 v14, s15, v12
	v_mad_u64_u32 v[35:36], s[0:1], s14, v12, v[4:5]
	v_mad_u64_u32 v[37:38], s[0:1], s14, v12, v[6:7]
	v_add_co_u32_e32 v12, vcc, 12, v10
	v_add3_u32 v24, v17, v24, v16
	v_add3_u32 v26, v17, v26, v16
	v_addc_co_u32_e32 v16, vcc, 0, v11, vcc
	v_add_co_u32_e32 v10, vcc, 14, v10
	v_addc_co_u32_e32 v11, vcc, 0, v11, vcc
	v_mad_u64_u32 v[39:40], s[0:1], s14, v12, v[4:5]
	v_mad_u64_u32 v[43:44], s[0:1], s14, v10, v[4:5]
	v_add_co_u32_e32 v4, vcc, 7, v8
	v_addc_co_u32_e32 v5, vcc, 0, v9, vcc
	v_mad_u64_u32 v[41:42], s[0:1], s14, v12, v[6:7]
	v_mad_u64_u32 v[45:46], s[0:1], s14, v10, v[6:7]
	v_mul_lo_u32 v6, s15, v10
	v_mul_lo_u32 v7, s14, v5
	;; [unrolled: 1-line block ×3, first 2 shown]
	v_mad_u64_u32 v[4:5], s[0:1], s14, v4, 0
	v_mul_lo_u32 v11, s14, v11
	v_mul_lo_u32 v17, s15, v12
	v_add3_u32 v5, v5, v7, v10
	v_lshlrev_b64 v[4:5], 1, v[4:5]
	v_add3_u32 v44, v6, v44, v11
	v_add3_u32 v46, v6, v46, v11
	v_mov_b32_e32 v6, s17
	v_add_co_u32_e32 v55, vcc, s16, v4
	v_addc_co_u32_e32 v56, vcc, v6, v5, vcc
	v_add_co_u32_e32 v6, vcc, 6, v8
	v_addc_co_u32_e32 v7, vcc, 0, v9, vcc
	v_mul_lo_u32 v11, s14, v7
	v_mul_lo_u32 v12, s15, v6
	v_mad_u64_u32 v[6:7], s[0:1], s14, v6, 0
	v_mov_b32_e32 v10, s19
	v_add_co_u32_e32 v57, vcc, s18, v4
	v_add3_u32 v7, v7, v11, v12
	v_addc_co_u32_e32 v58, vcc, v10, v5, vcc
	v_lshlrev_b64 v[4:5], 1, v[6:7]
	v_mov_b32_e32 v6, s17
	v_add_co_u32_e32 v59, vcc, s16, v4
	v_addc_co_u32_e32 v60, vcc, v6, v5, vcc
	v_add_co_u32_e32 v6, vcc, 5, v8
	v_addc_co_u32_e32 v7, vcc, 0, v9, vcc
	v_mul_lo_u32 v11, s14, v7
	v_mul_lo_u32 v12, s15, v6
	v_mad_u64_u32 v[6:7], s[0:1], s14, v6, 0
	v_add_co_u32_e32 v61, vcc, s18, v4
	v_add3_u32 v7, v7, v11, v12
	v_addc_co_u32_e32 v62, vcc, v10, v5, vcc
	v_lshlrev_b64 v[4:5], 1, v[6:7]
	v_mov_b32_e32 v6, s17
	v_add_co_u32_e32 v63, vcc, s16, v4
	v_addc_co_u32_e32 v64, vcc, v6, v5, vcc
	v_add_co_u32_e32 v6, vcc, 4, v8
	v_addc_co_u32_e32 v7, vcc, 0, v9, vcc
	v_mul_lo_u32 v11, s14, v7
	v_mul_lo_u32 v12, s15, v6
	v_mad_u64_u32 v[6:7], s[0:1], s14, v6, 0
	;; [unrolled: 12-line block ×4, first 2 shown]
	v_add_co_u32_e32 v73, vcc, s18, v4
	v_add3_u32 v7, v7, v8, v9
	v_addc_co_u32_e32 v74, vcc, v10, v5, vcc
	v_lshlrev_b64 v[4:5], 1, v[6:7]
	v_mov_b32_e32 v6, s17
	v_add_co_u32_e32 v75, vcc, s16, v4
	v_addc_co_u32_e32 v76, vcc, v6, v5, vcc
	v_mov_b32_e32 v6, s19
	v_add_co_u32_e32 v77, vcc, s18, v4
	v_lshlrev_b64 v[2:3], 1, v[2:3]
	v_addc_co_u32_e32 v78, vcc, v6, v5, vcc
	v_mov_b32_e32 v4, s17
	v_add_co_u32_e32 v79, vcc, s16, v2
	v_addc_co_u32_e32 v80, vcc, v4, v3, vcc
	v_mov_b32_e32 v4, s19
	v_add_co_u32_e32 v81, vcc, s18, v2
	v_mov_b32_e32 v2, 0
	v_mul_lo_u32 v15, s14, v15
	v_mul_lo_u32 v13, s14, v13
	;; [unrolled: 1-line block ×3, first 2 shown]
	v_addc_co_u32_e32 v82, vcc, v4, v3, vcc
	v_add_u32_e32 v3, s33, v0
	v_mov_b32_e32 v4, v2
	v_lshlrev_b64 v[47:48], 1, v[3:4]
	v_mbcnt_lo_u32_b32 v3, -1, 0
	v_mbcnt_hi_u32_b32 v3, -1, v3
	v_lshlrev_b32_e32 v3, 2, v3
	v_add3_u32 v32, v18, v32, v15
	v_add3_u32 v34, v18, v34, v15
	;; [unrolled: 1-line block ×6, first 2 shown]
	v_and_b32_e32 v83, 0x100, v3
	v_mov_b32_e32 v85, 0
	v_mov_b32_e32 v84, 0
.LBB88_53:                              ; =>This Inner Loop Header: Depth=1
	v_mov_b32_e32 v3, s12
	v_mov_b32_e32 v4, s13
	v_cmp_ge_i64_e32 vcc, s[24:25], v[3:4]
	v_mov_b32_e32 v3, s25
	v_add_co_u32_e64 v86, s[0:1], s24, v49
	v_addc_co_u32_e64 v87, s[0:1], 0, v3, s[0:1]
	s_mov_b64 s[0:1], -1
                                        ; implicit-def: $vgpr54
                                        ; implicit-def: $vgpr3
	s_cbranch_vccz .LBB88_75
; %bb.54:                               ;   in Loop: Header=BB88_53 Depth=1
	s_load_dword s0, s[2:3], 0xc
	v_mov_b32_e32 v54, 0
	v_mov_b32_e32 v88, 0
	s_waitcnt lgkmcnt(0)
	s_and_b32 s0, s0, 0xffff
	v_mad_u32_u24 v3, v1, s0, v0
	v_and_b32_e32 v3, 63, v3
	v_cmp_gt_u32_e32 vcc, 8, v3
	s_and_saveexec_b64 s[0:1], vcc
	s_cbranch_execz .LBB88_58
; %bb.55:                               ;   in Loop: Header=BB88_53 Depth=1
	v_add_co_u32_e32 v3, vcc, v86, v3
	v_addc_co_u32_e32 v4, vcc, 0, v87, vcc
	v_add_co_u32_e32 v3, vcc, 0xffffffc1, v3
	v_addc_co_u32_e32 v4, vcc, -1, v4, vcc
	v_cmp_gt_i64_e32 vcc, s[12:13], v[3:4]
	v_mov_b32_e32 v88, 0
	v_mov_b32_e32 v54, 0
	s_and_saveexec_b64 s[16:17], vcc
	s_cbranch_execz .LBB88_57
; %bb.56:                               ;   in Loop: Header=BB88_53 Depth=1
	v_lshlrev_b64 v[3:4], 2, v[3:4]
	v_mov_b32_e32 v6, s23
	v_add_co_u32_e32 v5, vcc, s22, v3
	v_addc_co_u32_e32 v6, vcc, v6, v4, vcc
	v_mov_b32_e32 v7, s21
	v_add_co_u32_e32 v3, vcc, s20, v3
	v_addc_co_u32_e32 v4, vcc, v7, v4, vcc
	global_load_dword v88, v[3:4], off
	global_load_dword v54, v[5:6], off
.LBB88_57:                              ;   in Loop: Header=BB88_53 Depth=1
	s_or_b64 exec, exec, s[16:17]
.LBB88_58:                              ;   in Loop: Header=BB88_53 Depth=1
	s_or_b64 exec, exec, s[0:1]
	v_add_co_u32_e32 v3, vcc, 0xffffffc1, v86
	v_addc_co_u32_e32 v4, vcc, -1, v87, vcc
	v_mov_b32_e32 v9, v2
	v_cmp_gt_i64_e32 vcc, s[12:13], v[3:4]
	v_mov_b32_e32 v3, v2
	v_mov_b32_e32 v4, v2
	;; [unrolled: 1-line block ×22, first 2 shown]
	s_and_saveexec_b64 s[0:1], vcc
	s_cbranch_execz .LBB88_60
; %bb.59:                               ;   in Loop: Header=BB88_53 Depth=1
	v_add_co_u32_e32 v3, vcc, v50, v47
	v_addc_co_u32_e32 v4, vcc, v51, v48, vcc
	global_load_ushort v11, v[3:4], off
	v_add_co_u32_e32 v3, vcc, v52, v47
	v_addc_co_u32_e32 v4, vcc, v53, v48, vcc
	global_load_ushort v15, v[3:4], off
	v_mov_b32_e32 v4, v2
	v_mov_b32_e32 v5, v2
	;; [unrolled: 1-line block ×13, first 2 shown]
	s_waitcnt vmcnt(1)
	v_cvt_f32_f16_e32 v3, v11
	s_waitcnt vmcnt(0)
	v_cvt_f32_f16_e32 v11, v15
	v_mov_b32_e32 v15, v2
.LBB88_60:                              ;   in Loop: Header=BB88_53 Depth=1
	s_or_b64 exec, exec, s[0:1]
	v_add_co_u32_e32 v89, vcc, 0xffffffc2, v86
	v_addc_co_u32_e32 v90, vcc, -1, v87, vcc
	v_cmp_gt_i64_e32 vcc, s[12:13], v[89:90]
	s_and_saveexec_b64 s[0:1], vcc
	s_cbranch_execz .LBB88_62
; %bb.61:                               ;   in Loop: Header=BB88_53 Depth=1
	v_add_co_u32_e32 v89, vcc, v79, v47
	v_addc_co_u32_e32 v90, vcc, v80, v48, vcc
	global_load_ushort v4, v[89:90], off
	v_add_co_u32_e32 v89, vcc, v81, v47
	v_addc_co_u32_e32 v90, vcc, v82, v48, vcc
	global_load_ushort v12, v[89:90], off
	s_waitcnt vmcnt(1)
	v_cvt_f32_f16_e32 v4, v4
	s_waitcnt vmcnt(0)
	v_cvt_f32_f16_e32 v12, v12
.LBB88_62:                              ;   in Loop: Header=BB88_53 Depth=1
	s_or_b64 exec, exec, s[0:1]
	v_add_co_u32_e32 v89, vcc, 0xffffffc3, v86
	v_addc_co_u32_e32 v90, vcc, -1, v87, vcc
	v_cmp_gt_i64_e32 vcc, s[12:13], v[89:90]
	s_and_saveexec_b64 s[0:1], vcc
	s_cbranch_execz .LBB88_64
; %bb.63:                               ;   in Loop: Header=BB88_53 Depth=1
	v_add_co_u32_e32 v89, vcc, v75, v47
	v_addc_co_u32_e32 v90, vcc, v76, v48, vcc
	global_load_ushort v5, v[89:90], off
	v_add_co_u32_e32 v89, vcc, v77, v47
	v_addc_co_u32_e32 v90, vcc, v78, v48, vcc
	global_load_ushort v13, v[89:90], off
	s_waitcnt vmcnt(1)
	v_cvt_f32_f16_e32 v5, v5
	s_waitcnt vmcnt(0)
	v_cvt_f32_f16_e32 v13, v13
.LBB88_64:                              ;   in Loop: Header=BB88_53 Depth=1
	;; [unrolled: 18-line block ×7, first 2 shown]
	s_or_b64 exec, exec, s[0:1]
	s_waitcnt vmcnt(1)
	ds_bpermute_b32 v89, v83, v88
	ds_bpermute_b32 v92, v83, v88 offset:4
	s_waitcnt vmcnt(0)
	ds_bpermute_b32 v90, v83, v54
	ds_bpermute_b32 v93, v83, v54 offset:4
	v_add_f32_e32 v91, v85, v3
	s_waitcnt lgkmcnt(3)
	v_sub_f32_e32 v11, v11, v89
	v_mul_f32_e32 v3, v3, v11
	s_waitcnt lgkmcnt(2)
	v_sub_f32_e32 v11, v12, v92
	ds_bpermute_b32 v12, v83, v88 offset:8
	s_waitcnt lgkmcnt(2)
	v_fma_f32 v3, v3, v90, v84
	v_mul_f32_e32 v11, v4, v11
	s_waitcnt lgkmcnt(1)
	v_fmac_f32_e32 v3, v11, v93
	ds_bpermute_b32 v11, v83, v54 offset:8
	s_waitcnt lgkmcnt(1)
	v_sub_f32_e32 v12, v13, v12
	ds_bpermute_b32 v13, v83, v88 offset:12
	v_mul_f32_e32 v12, v5, v12
	v_add_f32_e32 v4, v4, v91
	s_waitcnt lgkmcnt(1)
	v_fmac_f32_e32 v3, v12, v11
	ds_bpermute_b32 v11, v83, v54 offset:12
	v_add_f32_e32 v4, v5, v4
	s_waitcnt lgkmcnt(1)
	v_sub_f32_e32 v5, v14, v13
	ds_bpermute_b32 v12, v83, v88 offset:16
	v_mul_f32_e32 v5, v6, v5
	s_waitcnt lgkmcnt(1)
	v_fmac_f32_e32 v3, v5, v11
	ds_bpermute_b32 v5, v83, v54 offset:16
	v_add_f32_e32 v4, v6, v4
	s_waitcnt lgkmcnt(1)
	v_sub_f32_e32 v6, v15, v12
	ds_bpermute_b32 v11, v83, v88 offset:20
	v_mul_f32_e32 v6, v7, v6
	s_waitcnt lgkmcnt(1)
	v_fmac_f32_e32 v3, v6, v5
	ds_bpermute_b32 v5, v83, v54 offset:20
	v_add_f32_e32 v4, v7, v4
	ds_bpermute_b32 v7, v83, v88 offset:24
	s_waitcnt lgkmcnt(2)
	v_sub_f32_e32 v6, v16, v11
	v_mul_f32_e32 v6, v8, v6
	s_waitcnt lgkmcnt(1)
	v_fmac_f32_e32 v3, v6, v5
	ds_bpermute_b32 v5, v83, v54 offset:24
	s_waitcnt lgkmcnt(1)
	v_sub_f32_e32 v6, v17, v7
	ds_bpermute_b32 v7, v83, v88 offset:28
	v_add_f32_e32 v4, v8, v4
	ds_bpermute_b32 v8, v83, v54 offset:28
	v_mul_f32_e32 v6, v9, v6
	s_waitcnt lgkmcnt(2)
	v_fmac_f32_e32 v3, v6, v5
	s_waitcnt lgkmcnt(1)
	v_sub_f32_e32 v5, v18, v7
	v_add_f32_e32 v4, v9, v4
	v_mul_f32_e32 v5, v10, v5
	s_waitcnt lgkmcnt(0)
	v_fmac_f32_e32 v3, v5, v8
	v_add_f32_e32 v54, v10, v4
	s_mov_b64 s[0:1], 0
.LBB88_75:                              ;   in Loop: Header=BB88_53 Depth=1
	s_and_b64 vcc, exec, s[0:1]
	s_cbranch_vccz .LBB88_81
; %bb.76:                               ;   in Loop: Header=BB88_53 Depth=1
	s_load_dword s0, s[2:3], 0x0
	v_mov_b32_e32 v5, 0
	v_mov_b32_e32 v6, 0
	s_waitcnt lgkmcnt(0)
	s_cmp_lt_u32 s6, s0
	s_cselect_b32 s0, 12, 18
	s_add_u32 s0, s2, s0
	s_addc_u32 s1, s3, 0
	global_load_ushort v3, v2, s[0:1]
	s_waitcnt vmcnt(0)
	v_mad_u32_u24 v3, v1, v3, v0
	v_and_b32_e32 v3, 63, v3
	v_cmp_gt_u32_e32 vcc, 8, v3
	s_and_saveexec_b64 s[0:1], vcc
	s_cbranch_execz .LBB88_80
; %bb.77:                               ;   in Loop: Header=BB88_53 Depth=1
	v_add_co_u32_e32 v3, vcc, v86, v3
	v_addc_co_u32_e32 v4, vcc, 0, v87, vcc
	v_add_co_u32_e32 v3, vcc, 0xffffffc1, v3
	v_addc_co_u32_e32 v4, vcc, -1, v4, vcc
	v_cmp_gt_i64_e32 vcc, s[12:13], v[3:4]
	v_mov_b32_e32 v6, 0
	v_mov_b32_e32 v5, 0
	s_and_saveexec_b64 s[16:17], vcc
	s_cbranch_execz .LBB88_79
; %bb.78:                               ;   in Loop: Header=BB88_53 Depth=1
	v_lshlrev_b64 v[3:4], 2, v[3:4]
	v_mov_b32_e32 v5, s23
	v_add_co_u32_e32 v7, vcc, s22, v3
	v_addc_co_u32_e32 v8, vcc, v5, v4, vcc
	v_mov_b32_e32 v5, s21
	v_add_co_u32_e32 v3, vcc, s20, v3
	v_addc_co_u32_e32 v4, vcc, v5, v4, vcc
	global_load_dword v6, v[3:4], off
	global_load_dword v5, v[7:8], off
.LBB88_79:                              ;   in Loop: Header=BB88_53 Depth=1
	s_or_b64 exec, exec, s[16:17]
.LBB88_80:                              ;   in Loop: Header=BB88_53 Depth=1
	s_or_b64 exec, exec, s[0:1]
	v_add_co_u32_e32 v3, vcc, v50, v47
	v_addc_co_u32_e32 v4, vcc, v51, v48, vcc
	global_load_ushort v7, v[3:4], off
	v_add_co_u32_e32 v3, vcc, v52, v47
	v_addc_co_u32_e32 v4, vcc, v53, v48, vcc
	global_load_ushort v8, v[3:4], off
	;; [unrolled: 3-line block ×16, first 2 shown]
	s_waitcnt vmcnt(16)
	ds_bpermute_b32 v88, v83, v5
	s_waitcnt vmcnt(15)
	v_cvt_f32_f16_e32 v4, v7
	s_waitcnt vmcnt(14)
	v_cvt_f32_f16_e32 v7, v8
	;; [unrolled: 2-line block ×13, first 2 shown]
	ds_bpermute_b32 v54, v83, v6
	s_waitcnt vmcnt(2)
	v_cvt_f32_f16_e32 v86, v86
	s_waitcnt lgkmcnt(0)
	v_sub_f32_e32 v7, v7, v54
	ds_bpermute_b32 v54, v83, v6 offset:4
	v_mul_f32_e32 v7, v7, v4
	v_fmac_f32_e32 v84, v7, v88
	ds_bpermute_b32 v7, v83, v5 offset:4
	v_add_f32_e32 v4, v85, v4
	s_waitcnt lgkmcnt(1)
	v_sub_f32_e32 v9, v9, v54
	ds_bpermute_b32 v54, v83, v6 offset:8
	v_mul_f32_e32 v9, v9, v8
	s_waitcnt lgkmcnt(1)
	v_fmac_f32_e32 v84, v9, v7
	ds_bpermute_b32 v7, v83, v5 offset:8
	v_add_f32_e32 v4, v4, v8
	s_waitcnt lgkmcnt(1)
	v_sub_f32_e32 v8, v11, v54
	ds_bpermute_b32 v9, v83, v6 offset:12
	v_mul_f32_e32 v8, v8, v10
	s_waitcnt lgkmcnt(1)
	v_fmac_f32_e32 v84, v8, v7
	ds_bpermute_b32 v7, v83, v5 offset:12
	s_waitcnt vmcnt(0)
	v_cvt_f32_f16_e32 v3, v3
	s_waitcnt lgkmcnt(1)
	v_sub_f32_e32 v8, v13, v9
	ds_bpermute_b32 v9, v83, v6 offset:16
	v_mul_f32_e32 v8, v8, v12
	s_waitcnt lgkmcnt(1)
	v_fmac_f32_e32 v84, v8, v7
	ds_bpermute_b32 v7, v83, v5 offset:16
	v_cvt_f32_f16_e32 v87, v87
	s_waitcnt lgkmcnt(1)
	v_sub_f32_e32 v8, v15, v9
	ds_bpermute_b32 v9, v83, v6 offset:20
	v_mul_f32_e32 v8, v8, v14
	s_waitcnt lgkmcnt(1)
	v_fmac_f32_e32 v84, v8, v7
	ds_bpermute_b32 v7, v83, v5 offset:20
	v_add_f32_e32 v4, v4, v10
	s_waitcnt lgkmcnt(1)
	v_sub_f32_e32 v8, v17, v9
	ds_bpermute_b32 v9, v83, v6 offset:24
	v_mul_f32_e32 v8, v8, v16
	ds_bpermute_b32 v6, v83, v6 offset:28
	s_waitcnt lgkmcnt(2)
	v_fmac_f32_e32 v84, v8, v7
	ds_bpermute_b32 v7, v83, v5 offset:24
	ds_bpermute_b32 v5, v83, v5 offset:28
	v_add_f32_e32 v4, v4, v12
	s_waitcnt lgkmcnt(3)
	v_sub_f32_e32 v8, v86, v9
	v_add_f32_e32 v4, v4, v14
	v_mul_f32_e32 v8, v8, v18
	s_waitcnt lgkmcnt(2)
	v_sub_f32_e32 v3, v3, v6
	v_add_f32_e32 v4, v4, v16
	s_waitcnt lgkmcnt(1)
	v_fmac_f32_e32 v84, v8, v7
	v_mul_f32_e32 v3, v3, v87
	v_add_f32_e32 v4, v4, v18
	s_waitcnt lgkmcnt(0)
	v_fmac_f32_e32 v84, v3, v5
	v_add_f32_e32 v54, v4, v87
	v_mov_b32_e32 v3, v84
.LBB88_81:                              ;   in Loop: Header=BB88_53 Depth=1
	v_mov_b32_e32 v6, s9
	v_add_co_u32_e32 v50, vcc, s8, v50
	v_addc_co_u32_e32 v51, vcc, v51, v6, vcc
	v_add_co_u32_e32 v52, vcc, s8, v52
	v_addc_co_u32_e32 v53, vcc, v53, v6, vcc
	;; [unrolled: 2-line block ×28, first 2 shown]
	s_add_u32 s10, s10, s7
	v_add_co_u32_e32 v79, vcc, s8, v79
	v_mov_b32_e32 v4, s12
	s_addc_u32 s11, s11, 0
	v_addc_co_u32_e32 v80, vcc, v80, v6, vcc
	v_mov_b32_e32 v5, s13
	v_cmp_ge_i64_e32 vcc, s[10:11], v[4:5]
	s_add_u32 s24, s24, s7
	v_add_co_u32_e64 v81, s[0:1], s8, v81
	s_addc_u32 s25, s25, 0
	v_addc_co_u32_e64 v82, s[0:1], v82, v6, s[0:1]
	s_cbranch_vccnz .LBB88_83
; %bb.82:                               ;   in Loop: Header=BB88_53 Depth=1
	v_mov_b32_e32 v85, v54
	v_mov_b32_e32 v84, v3
	s_branch .LBB88_53
.LBB88_83:
	v_mad_u32_u24 v2, v1, 33, v0
	v_lshl_add_u32 v4, v2, 2, 0
	ds_write_b32 v4, v3
	ds_write_b32 v4, v54 offset:1056
	v_sub_u32_e32 v3, v2, v1
	s_movk_i32 s0, 0x800
	v_cmp_gt_u32_e32 vcc, s0, v3
	s_waitcnt lgkmcnt(0)
	s_barrier
	s_and_saveexec_b64 s[0:1], vcc
	s_cbranch_execz .LBB88_147
; %bb.84:
	s_load_dwordx4 s[8:11], s[4:5], 0x30
	v_and_b32_e32 v1, 63, v3
	v_lshrrev_b32_e32 v2, 6, v3
	v_cmp_gt_u32_e64 s[0:1], 8, v1
	v_mul_u32_u24_e32 v4, 33, v1
                                        ; implicit-def: $vgpr1
                                        ; implicit-def: $vgpr6
	s_and_saveexec_b64 s[2:3], s[0:1]
	s_cbranch_execz .LBB88_86
; %bb.85:
	v_add_u32_e32 v1, v2, v4
	v_lshl_add_u32 v1, v1, 2, 0
	ds_read_b32 v6, v1
	ds_read_b32 v1, v1 offset:1056
.LBB88_86:
	s_or_b64 exec, exec, s[2:3]
	v_mbcnt_lo_u32_b32 v5, -1, 0
	v_mbcnt_hi_u32_b32 v7, -1, v5
	v_and_b32_e32 v5, 64, v7
	v_add_u32_e32 v8, 64, v5
	v_xor_b32_e32 v5, 4, v7
	v_cmp_lt_i32_e32 vcc, v5, v8
	v_cndmask_b32_e32 v5, v7, v5, vcc
	v_lshlrev_b32_e32 v5, 2, v5
	s_waitcnt lgkmcnt(0)
	ds_bpermute_b32 v9, v5, v6
	ds_bpermute_b32 v10, v5, v1
	v_cmp_eq_u32_e64 s[2:3], 0, v0
	s_mov_b32 s7, 0
	s_lshl_b64 s[4:5], s[6:7], 5
	s_waitcnt lgkmcnt(1)
	v_add_f32_e32 v9, v6, v9
	v_xor_b32_e32 v6, 2, v7
	v_cmp_lt_i32_e32 vcc, v6, v8
	v_cndmask_b32_e32 v6, v7, v6, vcc
	v_lshlrev_b32_e32 v6, 2, v6
	ds_bpermute_b32 v11, v6, v9
	s_waitcnt lgkmcnt(1)
	v_add_f32_e32 v0, v1, v10
	v_xor_b32_e32 v10, 1, v7
	v_cmp_lt_i32_e32 vcc, v10, v8
	v_cndmask_b32_e32 v7, v7, v10, vcc
	s_waitcnt lgkmcnt(0)
	v_add_f32_e32 v1, v9, v11
	ds_bpermute_b32 v9, v6, v0
	v_lshlrev_b32_e32 v7, 2, v7
	ds_bpermute_b32 v8, v7, v1
	s_cmp_lg_u64 s[8:9], 0
	s_cselect_b64 s[12:13], -1, 0
	s_waitcnt lgkmcnt(1)
	v_add_f32_e32 v9, v0, v9
	ds_bpermute_b32 v10, v7, v9
	s_waitcnt lgkmcnt(1)
	v_add_f32_e32 v8, v1, v8
	v_or_b32_e32 v0, s4, v2
	v_mov_b32_e32 v1, s5
	v_cmp_gt_i64_e32 vcc, s[14:15], v[0:1]
	s_cmp_lg_u64 s[10:11], 0
	s_cselect_b64 s[6:7], -1, 0
	s_waitcnt lgkmcnt(0)
	v_add_f32_e32 v9, v9, v10
	s_and_b64 s[18:19], s[2:3], vcc
	s_and_saveexec_b64 s[16:17], s[18:19]
	s_cbranch_execz .LBB88_91
; %bb.87:
	v_lshlrev_b64 v[0:1], 1, v[0:1]
	s_andn2_b64 vcc, exec, s[12:13]
	s_cbranch_vccnz .LBB88_89
; %bb.88:
	v_cvt_f16_f32_e32 v12, v8
	v_mov_b32_e32 v11, s9
	v_add_co_u32_e32 v10, vcc, s8, v0
	v_addc_co_u32_e32 v11, vcc, v11, v1, vcc
	global_store_short v[10:11], v12, off
.LBB88_89:
	s_andn2_b64 vcc, exec, s[6:7]
	s_cbranch_vccnz .LBB88_91
; %bb.90:
	v_cvt_f16_f32_e32 v11, v9
	v_mov_b32_e32 v10, s11
	v_add_co_u32_e32 v0, vcc, s10, v0
	v_addc_co_u32_e32 v1, vcc, v10, v1, vcc
	global_store_short v[0:1], v11, off
.LBB88_91:
	s_or_b64 exec, exec, s[16:17]
	s_movk_i32 s16, 0x700
	v_cmp_gt_u32_e32 vcc, s16, v3
	s_and_b64 exec, exec, vcc
	s_cbranch_execz .LBB88_147
; %bb.92:
	s_and_saveexec_b64 s[16:17], s[0:1]
	s_cbranch_execz .LBB88_94
; %bb.93:
	v_add_u32_e32 v0, v2, v4
	v_lshl_add_u32 v0, v0, 2, 0
	ds_read_b32 v8, v0 offset:16
	ds_read_b32 v9, v0 offset:1072
.LBB88_94:
	s_or_b64 exec, exec, s[16:17]
	s_waitcnt lgkmcnt(1)
	ds_bpermute_b32 v0, v5, v8
	s_waitcnt lgkmcnt(1)
	ds_bpermute_b32 v1, v5, v9
	v_add_u32_e32 v10, 4, v2
	v_mov_b32_e32 v11, s5
	s_waitcnt lgkmcnt(1)
	v_add_f32_e32 v0, v8, v0
	s_waitcnt lgkmcnt(0)
	v_add_f32_e32 v1, v9, v1
	ds_bpermute_b32 v8, v6, v0
	ds_bpermute_b32 v9, v6, v1
	s_waitcnt lgkmcnt(1)
	v_add_f32_e32 v8, v0, v8
	s_waitcnt lgkmcnt(0)
	v_add_f32_e32 v9, v1, v9
	ds_bpermute_b32 v12, v7, v8
	ds_bpermute_b32 v13, v7, v9
	v_add_co_u32_e32 v0, vcc, s4, v10
	v_addc_co_u32_e32 v1, vcc, 0, v11, vcc
	v_cmp_gt_i64_e32 vcc, s[14:15], v[0:1]
	s_waitcnt lgkmcnt(1)
	v_add_f32_e32 v0, v8, v12
	s_waitcnt lgkmcnt(0)
	v_add_f32_e32 v1, v9, v13
	s_and_b64 s[18:19], s[2:3], vcc
	s_and_saveexec_b64 s[16:17], s[18:19]
	s_cbranch_execz .LBB88_99
; %bb.95:
	s_andn2_b64 vcc, exec, s[12:13]
	s_cbranch_vccnz .LBB88_97
; %bb.96:
	v_mov_b32_e32 v9, s5
	v_add_co_u32_e32 v8, vcc, s4, v2
	v_addc_co_u32_e32 v9, vcc, 0, v9, vcc
	v_lshlrev_b64 v[8:9], 1, v[8:9]
	v_cvt_f16_f32_e32 v11, v0
	v_mov_b32_e32 v10, s9
	v_add_co_u32_e32 v8, vcc, s8, v8
	v_addc_co_u32_e32 v9, vcc, v10, v9, vcc
	global_store_short v[8:9], v11, off offset:8
.LBB88_97:
	s_andn2_b64 vcc, exec, s[6:7]
	s_cbranch_vccnz .LBB88_99
; %bb.98:
	v_mov_b32_e32 v9, s5
	v_add_co_u32_e32 v8, vcc, s4, v2
	v_addc_co_u32_e32 v9, vcc, 0, v9, vcc
	v_lshlrev_b64 v[8:9], 1, v[8:9]
	v_cvt_f16_f32_e32 v11, v1
	v_mov_b32_e32 v10, s11
	v_add_co_u32_e32 v8, vcc, s10, v8
	v_addc_co_u32_e32 v9, vcc, v10, v9, vcc
	global_store_short v[8:9], v11, off offset:8
.LBB88_99:
	s_or_b64 exec, exec, s[16:17]
	s_movk_i32 s16, 0x600
	v_cmp_gt_u32_e32 vcc, s16, v3
	s_and_b64 exec, exec, vcc
	s_cbranch_execz .LBB88_147
; %bb.100:
	s_and_saveexec_b64 s[16:17], s[0:1]
	s_cbranch_execz .LBB88_102
; %bb.101:
	v_add_u32_e32 v0, v2, v4
	v_lshl_add_u32 v1, v0, 2, 0
	ds_read_b32 v0, v1 offset:32
	ds_read_b32 v1, v1 offset:1088
.LBB88_102:
	s_or_b64 exec, exec, s[16:17]
	s_waitcnt lgkmcnt(1)
	ds_bpermute_b32 v8, v5, v0
	s_waitcnt lgkmcnt(1)
	ds_bpermute_b32 v9, v5, v1
	v_add_u32_e32 v10, 8, v2
	v_mov_b32_e32 v11, s5
	s_waitcnt lgkmcnt(1)
	v_add_f32_e32 v0, v0, v8
	s_waitcnt lgkmcnt(0)
	v_add_f32_e32 v1, v1, v9
	ds_bpermute_b32 v8, v6, v0
	ds_bpermute_b32 v9, v6, v1
	s_waitcnt lgkmcnt(1)
	v_add_f32_e32 v8, v0, v8
	s_waitcnt lgkmcnt(0)
	v_add_f32_e32 v9, v1, v9
	ds_bpermute_b32 v12, v7, v8
	ds_bpermute_b32 v13, v7, v9
	v_add_co_u32_e32 v0, vcc, s4, v10
	v_addc_co_u32_e32 v1, vcc, 0, v11, vcc
	v_cmp_gt_i64_e32 vcc, s[14:15], v[0:1]
	s_waitcnt lgkmcnt(1)
	v_add_f32_e32 v0, v8, v12
	s_waitcnt lgkmcnt(0)
	v_add_f32_e32 v1, v9, v13
	s_and_b64 s[18:19], s[2:3], vcc
	s_and_saveexec_b64 s[16:17], s[18:19]
	s_cbranch_execz .LBB88_107
; %bb.103:
	s_andn2_b64 vcc, exec, s[12:13]
	s_cbranch_vccnz .LBB88_105
; %bb.104:
	v_mov_b32_e32 v9, s5
	v_add_co_u32_e32 v8, vcc, s4, v2
	v_addc_co_u32_e32 v9, vcc, 0, v9, vcc
	v_lshlrev_b64 v[8:9], 1, v[8:9]
	v_cvt_f16_f32_e32 v11, v0
	v_mov_b32_e32 v10, s9
	v_add_co_u32_e32 v8, vcc, s8, v8
	v_addc_co_u32_e32 v9, vcc, v10, v9, vcc
	global_store_short v[8:9], v11, off offset:16
.LBB88_105:
	s_andn2_b64 vcc, exec, s[6:7]
	s_cbranch_vccnz .LBB88_107
; %bb.106:
	v_mov_b32_e32 v9, s5
	v_add_co_u32_e32 v8, vcc, s4, v2
	v_addc_co_u32_e32 v9, vcc, 0, v9, vcc
	v_lshlrev_b64 v[8:9], 1, v[8:9]
	v_cvt_f16_f32_e32 v11, v1
	v_mov_b32_e32 v10, s11
	v_add_co_u32_e32 v8, vcc, s10, v8
	v_addc_co_u32_e32 v9, vcc, v10, v9, vcc
	global_store_short v[8:9], v11, off offset:16
.LBB88_107:
	s_or_b64 exec, exec, s[16:17]
	s_movk_i32 s16, 0x500
	v_cmp_gt_u32_e32 vcc, s16, v3
	s_and_b64 exec, exec, vcc
	s_cbranch_execz .LBB88_147
; %bb.108:
	s_and_saveexec_b64 s[16:17], s[0:1]
	s_cbranch_execz .LBB88_110
; %bb.109:
	v_add_u32_e32 v0, v2, v4
	v_lshl_add_u32 v1, v0, 2, 0
	ds_read_b32 v0, v1 offset:48
	ds_read_b32 v1, v1 offset:1104
.LBB88_110:
	s_or_b64 exec, exec, s[16:17]
	s_waitcnt lgkmcnt(1)
	ds_bpermute_b32 v8, v5, v0
	s_waitcnt lgkmcnt(1)
	ds_bpermute_b32 v9, v5, v1
	v_add_u32_e32 v10, 12, v2
	v_mov_b32_e32 v11, s5
	s_waitcnt lgkmcnt(1)
	v_add_f32_e32 v0, v0, v8
	s_waitcnt lgkmcnt(0)
	v_add_f32_e32 v1, v1, v9
	ds_bpermute_b32 v8, v6, v0
	ds_bpermute_b32 v9, v6, v1
	s_waitcnt lgkmcnt(1)
	v_add_f32_e32 v8, v0, v8
	s_waitcnt lgkmcnt(0)
	v_add_f32_e32 v9, v1, v9
	ds_bpermute_b32 v12, v7, v8
	ds_bpermute_b32 v13, v7, v9
	v_add_co_u32_e32 v0, vcc, s4, v10
	v_addc_co_u32_e32 v1, vcc, 0, v11, vcc
	v_cmp_gt_i64_e32 vcc, s[14:15], v[0:1]
	s_waitcnt lgkmcnt(1)
	v_add_f32_e32 v0, v8, v12
	s_waitcnt lgkmcnt(0)
	v_add_f32_e32 v1, v9, v13
	s_and_b64 s[18:19], s[2:3], vcc
	s_and_saveexec_b64 s[16:17], s[18:19]
	s_cbranch_execz .LBB88_115
; %bb.111:
	s_andn2_b64 vcc, exec, s[12:13]
	s_cbranch_vccnz .LBB88_113
; %bb.112:
	v_mov_b32_e32 v9, s5
	v_add_co_u32_e32 v8, vcc, s4, v2
	v_addc_co_u32_e32 v9, vcc, 0, v9, vcc
	v_lshlrev_b64 v[8:9], 1, v[8:9]
	v_cvt_f16_f32_e32 v11, v0
	v_mov_b32_e32 v10, s9
	v_add_co_u32_e32 v8, vcc, s8, v8
	v_addc_co_u32_e32 v9, vcc, v10, v9, vcc
	global_store_short v[8:9], v11, off offset:24
.LBB88_113:
	s_andn2_b64 vcc, exec, s[6:7]
	s_cbranch_vccnz .LBB88_115
; %bb.114:
	v_mov_b32_e32 v9, s5
	v_add_co_u32_e32 v8, vcc, s4, v2
	v_addc_co_u32_e32 v9, vcc, 0, v9, vcc
	v_lshlrev_b64 v[8:9], 1, v[8:9]
	v_cvt_f16_f32_e32 v11, v1
	v_mov_b32_e32 v10, s11
	v_add_co_u32_e32 v8, vcc, s10, v8
	v_addc_co_u32_e32 v9, vcc, v10, v9, vcc
	global_store_short v[8:9], v11, off offset:24
.LBB88_115:
	s_or_b64 exec, exec, s[16:17]
	s_movk_i32 s16, 0x400
	v_cmp_gt_u32_e32 vcc, s16, v3
	s_and_b64 exec, exec, vcc
	s_cbranch_execz .LBB88_147
; %bb.116:
	s_and_saveexec_b64 s[16:17], s[0:1]
	s_cbranch_execz .LBB88_118
; %bb.117:
	v_add_u32_e32 v0, v2, v4
	v_lshl_add_u32 v1, v0, 2, 0
	ds_read_b32 v0, v1 offset:64
	ds_read_b32 v1, v1 offset:1120
.LBB88_118:
	s_or_b64 exec, exec, s[16:17]
	s_waitcnt lgkmcnt(1)
	ds_bpermute_b32 v8, v5, v0
	s_waitcnt lgkmcnt(1)
	ds_bpermute_b32 v9, v5, v1
	v_add_u32_e32 v10, 16, v2
	s_waitcnt lgkmcnt(1)
	v_add_f32_e32 v0, v0, v8
	s_waitcnt lgkmcnt(0)
	v_add_f32_e32 v1, v1, v9
	ds_bpermute_b32 v8, v6, v0
	ds_bpermute_b32 v9, v6, v1
	s_waitcnt lgkmcnt(1)
	v_add_f32_e32 v8, v0, v8
	s_waitcnt lgkmcnt(0)
	v_add_f32_e32 v9, v1, v9
	ds_bpermute_b32 v11, v7, v8
	ds_bpermute_b32 v12, v7, v9
	v_mov_b32_e32 v1, s5
	v_or_b32_e32 v0, s4, v10
	v_cmp_gt_i64_e32 vcc, s[14:15], v[0:1]
	s_waitcnt lgkmcnt(1)
	v_add_f32_e32 v0, v8, v11
	s_waitcnt lgkmcnt(0)
	v_add_f32_e32 v1, v9, v12
	s_and_b64 s[18:19], s[2:3], vcc
	s_and_saveexec_b64 s[16:17], s[18:19]
	s_cbranch_execz .LBB88_123
; %bb.119:
	s_andn2_b64 vcc, exec, s[12:13]
	s_cbranch_vccnz .LBB88_121
; %bb.120:
	v_mov_b32_e32 v9, s5
	v_add_co_u32_e32 v8, vcc, s4, v2
	v_addc_co_u32_e32 v9, vcc, 0, v9, vcc
	v_lshlrev_b64 v[8:9], 1, v[8:9]
	v_cvt_f16_f32_e32 v11, v0
	v_mov_b32_e32 v10, s9
	v_add_co_u32_e32 v8, vcc, s8, v8
	v_addc_co_u32_e32 v9, vcc, v10, v9, vcc
	global_store_short v[8:9], v11, off offset:32
.LBB88_121:
	s_andn2_b64 vcc, exec, s[6:7]
	s_cbranch_vccnz .LBB88_123
; %bb.122:
	v_mov_b32_e32 v9, s5
	v_add_co_u32_e32 v8, vcc, s4, v2
	v_addc_co_u32_e32 v9, vcc, 0, v9, vcc
	v_lshlrev_b64 v[8:9], 1, v[8:9]
	v_cvt_f16_f32_e32 v11, v1
	v_mov_b32_e32 v10, s11
	v_add_co_u32_e32 v8, vcc, s10, v8
	v_addc_co_u32_e32 v9, vcc, v10, v9, vcc
	global_store_short v[8:9], v11, off offset:32
.LBB88_123:
	s_or_b64 exec, exec, s[16:17]
	s_movk_i32 s16, 0x300
	v_cmp_gt_u32_e32 vcc, s16, v3
	s_and_b64 exec, exec, vcc
	s_cbranch_execz .LBB88_147
; %bb.124:
	s_and_saveexec_b64 s[16:17], s[0:1]
	s_cbranch_execz .LBB88_126
; %bb.125:
	v_add_u32_e32 v0, v2, v4
	v_lshl_add_u32 v1, v0, 2, 0
	ds_read_b32 v0, v1 offset:80
	ds_read_b32 v1, v1 offset:1136
.LBB88_126:
	s_or_b64 exec, exec, s[16:17]
	s_waitcnt lgkmcnt(1)
	ds_bpermute_b32 v8, v5, v0
	s_waitcnt lgkmcnt(1)
	ds_bpermute_b32 v9, v5, v1
	v_add_u32_e32 v10, 20, v2
	v_mov_b32_e32 v11, s5
	s_waitcnt lgkmcnt(1)
	v_add_f32_e32 v0, v0, v8
	s_waitcnt lgkmcnt(0)
	v_add_f32_e32 v1, v1, v9
	ds_bpermute_b32 v8, v6, v0
	ds_bpermute_b32 v9, v6, v1
	s_waitcnt lgkmcnt(1)
	v_add_f32_e32 v8, v0, v8
	s_waitcnt lgkmcnt(0)
	v_add_f32_e32 v9, v1, v9
	ds_bpermute_b32 v12, v7, v8
	ds_bpermute_b32 v13, v7, v9
	v_add_co_u32_e32 v0, vcc, s4, v10
	v_addc_co_u32_e32 v1, vcc, 0, v11, vcc
	v_cmp_gt_i64_e32 vcc, s[14:15], v[0:1]
	s_waitcnt lgkmcnt(1)
	v_add_f32_e32 v0, v8, v12
	s_waitcnt lgkmcnt(0)
	v_add_f32_e32 v1, v9, v13
	s_and_b64 s[18:19], s[2:3], vcc
	s_and_saveexec_b64 s[16:17], s[18:19]
	s_cbranch_execz .LBB88_131
; %bb.127:
	s_andn2_b64 vcc, exec, s[12:13]
	s_cbranch_vccnz .LBB88_129
; %bb.128:
	v_mov_b32_e32 v9, s5
	v_add_co_u32_e32 v8, vcc, s4, v2
	v_addc_co_u32_e32 v9, vcc, 0, v9, vcc
	v_lshlrev_b64 v[8:9], 1, v[8:9]
	v_cvt_f16_f32_e32 v11, v0
	v_mov_b32_e32 v10, s9
	v_add_co_u32_e32 v8, vcc, s8, v8
	v_addc_co_u32_e32 v9, vcc, v10, v9, vcc
	global_store_short v[8:9], v11, off offset:40
.LBB88_129:
	s_andn2_b64 vcc, exec, s[6:7]
	s_cbranch_vccnz .LBB88_131
; %bb.130:
	v_mov_b32_e32 v9, s5
	v_add_co_u32_e32 v8, vcc, s4, v2
	v_addc_co_u32_e32 v9, vcc, 0, v9, vcc
	v_lshlrev_b64 v[8:9], 1, v[8:9]
	v_cvt_f16_f32_e32 v11, v1
	v_mov_b32_e32 v10, s11
	v_add_co_u32_e32 v8, vcc, s10, v8
	v_addc_co_u32_e32 v9, vcc, v10, v9, vcc
	global_store_short v[8:9], v11, off offset:40
.LBB88_131:
	s_or_b64 exec, exec, s[16:17]
	s_movk_i32 s16, 0x200
	v_cmp_gt_u32_e32 vcc, s16, v3
	s_and_b64 exec, exec, vcc
	s_cbranch_execz .LBB88_147
; %bb.132:
	s_and_saveexec_b64 s[16:17], s[0:1]
	s_cbranch_execz .LBB88_134
; %bb.133:
	v_add_u32_e32 v0, v2, v4
	v_lshl_add_u32 v1, v0, 2, 0
	ds_read_b32 v0, v1 offset:96
	ds_read_b32 v1, v1 offset:1152
.LBB88_134:
	s_or_b64 exec, exec, s[16:17]
	s_waitcnt lgkmcnt(1)
	ds_bpermute_b32 v8, v5, v0
	s_waitcnt lgkmcnt(1)
	ds_bpermute_b32 v9, v5, v1
	v_add_u32_e32 v10, 24, v2
	s_waitcnt lgkmcnt(1)
	v_add_f32_e32 v0, v0, v8
	s_waitcnt lgkmcnt(0)
	v_add_f32_e32 v1, v1, v9
	ds_bpermute_b32 v8, v6, v0
	ds_bpermute_b32 v9, v6, v1
	s_waitcnt lgkmcnt(1)
	v_add_f32_e32 v8, v0, v8
	s_waitcnt lgkmcnt(0)
	v_add_f32_e32 v9, v1, v9
	ds_bpermute_b32 v11, v7, v8
	ds_bpermute_b32 v12, v7, v9
	v_mov_b32_e32 v1, s5
	v_or_b32_e32 v0, s4, v10
	v_cmp_gt_i64_e32 vcc, s[14:15], v[0:1]
	s_waitcnt lgkmcnt(1)
	v_add_f32_e32 v0, v8, v11
	s_waitcnt lgkmcnt(0)
	v_add_f32_e32 v1, v9, v12
	s_and_b64 s[18:19], s[2:3], vcc
	s_and_saveexec_b64 s[16:17], s[18:19]
	s_cbranch_execz .LBB88_139
; %bb.135:
	s_andn2_b64 vcc, exec, s[12:13]
	s_cbranch_vccnz .LBB88_137
; %bb.136:
	v_mov_b32_e32 v9, s5
	v_add_co_u32_e32 v8, vcc, s4, v2
	v_addc_co_u32_e32 v9, vcc, 0, v9, vcc
	v_lshlrev_b64 v[8:9], 1, v[8:9]
	v_cvt_f16_f32_e32 v11, v0
	v_mov_b32_e32 v10, s9
	v_add_co_u32_e32 v8, vcc, s8, v8
	v_addc_co_u32_e32 v9, vcc, v10, v9, vcc
	global_store_short v[8:9], v11, off offset:48
.LBB88_137:
	s_andn2_b64 vcc, exec, s[6:7]
	s_cbranch_vccnz .LBB88_139
; %bb.138:
	v_mov_b32_e32 v9, s5
	v_add_co_u32_e32 v8, vcc, s4, v2
	v_addc_co_u32_e32 v9, vcc, 0, v9, vcc
	v_lshlrev_b64 v[8:9], 1, v[8:9]
	v_cvt_f16_f32_e32 v11, v1
	v_mov_b32_e32 v10, s11
	v_add_co_u32_e32 v8, vcc, s10, v8
	v_addc_co_u32_e32 v9, vcc, v10, v9, vcc
	global_store_short v[8:9], v11, off offset:48
.LBB88_139:
	s_or_b64 exec, exec, s[16:17]
	s_movk_i32 s16, 0x100
	v_cmp_gt_u32_e32 vcc, s16, v3
	s_and_b64 exec, exec, vcc
	s_cbranch_execz .LBB88_147
; %bb.140:
	s_and_saveexec_b64 s[16:17], s[0:1]
	s_cbranch_execz .LBB88_142
; %bb.141:
	v_add_u32_e32 v0, v2, v4
	v_lshl_add_u32 v1, v0, 2, 0
	ds_read_b32 v0, v1 offset:112
	ds_read_b32 v1, v1 offset:1168
.LBB88_142:
	s_or_b64 exec, exec, s[16:17]
	s_waitcnt lgkmcnt(1)
	ds_bpermute_b32 v3, v5, v0
	s_waitcnt lgkmcnt(1)
	ds_bpermute_b32 v4, v5, v1
	v_add_u32_e32 v5, 28, v2
	v_or_b32_e32 v5, s4, v5
	s_waitcnt lgkmcnt(1)
	v_add_f32_e32 v0, v0, v3
	s_waitcnt lgkmcnt(0)
	v_add_f32_e32 v1, v1, v4
	ds_bpermute_b32 v3, v6, v0
	ds_bpermute_b32 v4, v6, v1
	v_mov_b32_e32 v6, s5
	v_cmp_gt_i64_e32 vcc, s[14:15], v[5:6]
	s_waitcnt lgkmcnt(1)
	v_add_f32_e32 v3, v0, v3
	s_waitcnt lgkmcnt(0)
	v_add_f32_e32 v0, v1, v4
	ds_bpermute_b32 v4, v7, v3
	ds_bpermute_b32 v1, v7, v0
	s_and_b64 s[0:1], s[2:3], vcc
	s_and_b64 exec, exec, s[0:1]
	s_cbranch_execz .LBB88_147
; %bb.143:
	s_andn2_b64 vcc, exec, s[12:13]
	s_cbranch_vccnz .LBB88_145
; %bb.144:
	s_waitcnt lgkmcnt(1)
	v_add_f32_e32 v5, v3, v4
	v_mov_b32_e32 v4, s5
	v_add_co_u32_e32 v3, vcc, s4, v2
	v_addc_co_u32_e32 v4, vcc, 0, v4, vcc
	v_lshlrev_b64 v[3:4], 1, v[3:4]
	v_cvt_f16_f32_e32 v5, v5
	v_mov_b32_e32 v6, s9
	v_add_co_u32_e32 v3, vcc, s8, v3
	v_addc_co_u32_e32 v4, vcc, v6, v4, vcc
	global_store_short v[3:4], v5, off offset:56
.LBB88_145:
	s_andn2_b64 vcc, exec, s[6:7]
	s_cbranch_vccnz .LBB88_147
; %bb.146:
	s_waitcnt lgkmcnt(0)
	v_add_f32_e32 v3, v0, v1
	v_mov_b32_e32 v1, s5
	v_add_co_u32_e32 v0, vcc, s4, v2
	v_addc_co_u32_e32 v1, vcc, 0, v1, vcc
	v_lshlrev_b64 v[0:1], 1, v[0:1]
	v_cvt_f16_f32_e32 v3, v3
	v_mov_b32_e32 v2, s11
	v_add_co_u32_e32 v0, vcc, s10, v0
	v_addc_co_u32_e32 v1, vcc, v2, v1, vcc
	global_store_short v[0:1], v3, off offset:56
.LBB88_147:
	s_endpgm
	.section	.rodata,"a",@progbits
	.p2align	6, 0x0
	.amdhsa_kernel _ZN2at6native12_GLOBAL__N_135GammaBetaBackwardCUDAKernelTemplateIN3c104HalfEfLj32ELj8ELj64ELb0ELb0ELb0EEEvllPKT_S7_PKT0_SA_PS5_SB_
		.amdhsa_group_segment_fixed_size 0
		.amdhsa_private_segment_fixed_size 0
		.amdhsa_kernarg_size 320
		.amdhsa_user_sgpr_count 6
		.amdhsa_user_sgpr_private_segment_buffer 1
		.amdhsa_user_sgpr_dispatch_ptr 0
		.amdhsa_user_sgpr_queue_ptr 0
		.amdhsa_user_sgpr_kernarg_segment_ptr 1
		.amdhsa_user_sgpr_dispatch_id 0
		.amdhsa_user_sgpr_flat_scratch_init 0
		.amdhsa_user_sgpr_private_segment_size 0
		.amdhsa_uses_dynamic_stack 0
		.amdhsa_system_sgpr_private_segment_wavefront_offset 0
		.amdhsa_system_sgpr_workgroup_id_x 1
		.amdhsa_system_sgpr_workgroup_id_y 1
		.amdhsa_system_sgpr_workgroup_id_z 0
		.amdhsa_system_sgpr_workgroup_info 0
		.amdhsa_system_vgpr_workitem_id 1
		.amdhsa_next_free_vgpr 94
		.amdhsa_next_free_sgpr 36
		.amdhsa_reserve_vcc 1
		.amdhsa_reserve_flat_scratch 0
		.amdhsa_float_round_mode_32 0
		.amdhsa_float_round_mode_16_64 0
		.amdhsa_float_denorm_mode_32 3
		.amdhsa_float_denorm_mode_16_64 3
		.amdhsa_dx10_clamp 1
		.amdhsa_ieee_mode 1
		.amdhsa_fp16_overflow 0
		.amdhsa_exception_fp_ieee_invalid_op 0
		.amdhsa_exception_fp_denorm_src 0
		.amdhsa_exception_fp_ieee_div_zero 0
		.amdhsa_exception_fp_ieee_overflow 0
		.amdhsa_exception_fp_ieee_underflow 0
		.amdhsa_exception_fp_ieee_inexact 0
		.amdhsa_exception_int_div_zero 0
	.end_amdhsa_kernel
	.section	.text._ZN2at6native12_GLOBAL__N_135GammaBetaBackwardCUDAKernelTemplateIN3c104HalfEfLj32ELj8ELj64ELb0ELb0ELb0EEEvllPKT_S7_PKT0_SA_PS5_SB_,"axG",@progbits,_ZN2at6native12_GLOBAL__N_135GammaBetaBackwardCUDAKernelTemplateIN3c104HalfEfLj32ELj8ELj64ELb0ELb0ELb0EEEvllPKT_S7_PKT0_SA_PS5_SB_,comdat
.Lfunc_end88:
	.size	_ZN2at6native12_GLOBAL__N_135GammaBetaBackwardCUDAKernelTemplateIN3c104HalfEfLj32ELj8ELj64ELb0ELb0ELb0EEEvllPKT_S7_PKT0_SA_PS5_SB_, .Lfunc_end88-_ZN2at6native12_GLOBAL__N_135GammaBetaBackwardCUDAKernelTemplateIN3c104HalfEfLj32ELj8ELj64ELb0ELb0ELb0EEEvllPKT_S7_PKT0_SA_PS5_SB_
                                        ; -- End function
	.set _ZN2at6native12_GLOBAL__N_135GammaBetaBackwardCUDAKernelTemplateIN3c104HalfEfLj32ELj8ELj64ELb0ELb0ELb0EEEvllPKT_S7_PKT0_SA_PS5_SB_.num_vgpr, 94
	.set _ZN2at6native12_GLOBAL__N_135GammaBetaBackwardCUDAKernelTemplateIN3c104HalfEfLj32ELj8ELj64ELb0ELb0ELb0EEEvllPKT_S7_PKT0_SA_PS5_SB_.num_agpr, 0
	.set _ZN2at6native12_GLOBAL__N_135GammaBetaBackwardCUDAKernelTemplateIN3c104HalfEfLj32ELj8ELj64ELb0ELb0ELb0EEEvllPKT_S7_PKT0_SA_PS5_SB_.numbered_sgpr, 36
	.set _ZN2at6native12_GLOBAL__N_135GammaBetaBackwardCUDAKernelTemplateIN3c104HalfEfLj32ELj8ELj64ELb0ELb0ELb0EEEvllPKT_S7_PKT0_SA_PS5_SB_.num_named_barrier, 0
	.set _ZN2at6native12_GLOBAL__N_135GammaBetaBackwardCUDAKernelTemplateIN3c104HalfEfLj32ELj8ELj64ELb0ELb0ELb0EEEvllPKT_S7_PKT0_SA_PS5_SB_.private_seg_size, 0
	.set _ZN2at6native12_GLOBAL__N_135GammaBetaBackwardCUDAKernelTemplateIN3c104HalfEfLj32ELj8ELj64ELb0ELb0ELb0EEEvllPKT_S7_PKT0_SA_PS5_SB_.uses_vcc, 1
	.set _ZN2at6native12_GLOBAL__N_135GammaBetaBackwardCUDAKernelTemplateIN3c104HalfEfLj32ELj8ELj64ELb0ELb0ELb0EEEvllPKT_S7_PKT0_SA_PS5_SB_.uses_flat_scratch, 0
	.set _ZN2at6native12_GLOBAL__N_135GammaBetaBackwardCUDAKernelTemplateIN3c104HalfEfLj32ELj8ELj64ELb0ELb0ELb0EEEvllPKT_S7_PKT0_SA_PS5_SB_.has_dyn_sized_stack, 0
	.set _ZN2at6native12_GLOBAL__N_135GammaBetaBackwardCUDAKernelTemplateIN3c104HalfEfLj32ELj8ELj64ELb0ELb0ELb0EEEvllPKT_S7_PKT0_SA_PS5_SB_.has_recursion, 0
	.set _ZN2at6native12_GLOBAL__N_135GammaBetaBackwardCUDAKernelTemplateIN3c104HalfEfLj32ELj8ELj64ELb0ELb0ELb0EEEvllPKT_S7_PKT0_SA_PS5_SB_.has_indirect_call, 0
	.section	.AMDGPU.csdata,"",@progbits
; Kernel info:
; codeLenInByte = 9512
; TotalNumSgprs: 40
; NumVgprs: 94
; ScratchSize: 0
; MemoryBound: 0
; FloatMode: 240
; IeeeMode: 1
; LDSByteSize: 0 bytes/workgroup (compile time only)
; SGPRBlocks: 4
; VGPRBlocks: 23
; NumSGPRsForWavesPerEU: 40
; NumVGPRsForWavesPerEU: 94
; Occupancy: 2
; WaveLimiterHint : 0
; COMPUTE_PGM_RSRC2:SCRATCH_EN: 0
; COMPUTE_PGM_RSRC2:USER_SGPR: 6
; COMPUTE_PGM_RSRC2:TRAP_HANDLER: 0
; COMPUTE_PGM_RSRC2:TGID_X_EN: 1
; COMPUTE_PGM_RSRC2:TGID_Y_EN: 1
; COMPUTE_PGM_RSRC2:TGID_Z_EN: 0
; COMPUTE_PGM_RSRC2:TIDIG_COMP_CNT: 1
	.section	.text._ZN2at6native12_GLOBAL__N_135GammaBetaBackwardCUDAKernelTemplateIN3c104HalfEfLj32ELj16ELj128ELb0ELb1ELb0EEEvllPKT_S7_PKT0_SA_PS5_SB_,"axG",@progbits,_ZN2at6native12_GLOBAL__N_135GammaBetaBackwardCUDAKernelTemplateIN3c104HalfEfLj32ELj16ELj128ELb0ELb1ELb0EEEvllPKT_S7_PKT0_SA_PS5_SB_,comdat
	.globl	_ZN2at6native12_GLOBAL__N_135GammaBetaBackwardCUDAKernelTemplateIN3c104HalfEfLj32ELj16ELj128ELb0ELb1ELb0EEEvllPKT_S7_PKT0_SA_PS5_SB_ ; -- Begin function _ZN2at6native12_GLOBAL__N_135GammaBetaBackwardCUDAKernelTemplateIN3c104HalfEfLj32ELj16ELj128ELb0ELb1ELb0EEEvllPKT_S7_PKT0_SA_PS5_SB_
	.p2align	8
	.type	_ZN2at6native12_GLOBAL__N_135GammaBetaBackwardCUDAKernelTemplateIN3c104HalfEfLj32ELj16ELj128ELb0ELb1ELb0EEEvllPKT_S7_PKT0_SA_PS5_SB_,@function
_ZN2at6native12_GLOBAL__N_135GammaBetaBackwardCUDAKernelTemplateIN3c104HalfEfLj32ELj16ELj128ELb0ELb1ELb0EEEvllPKT_S7_PKT0_SA_PS5_SB_: ; @_ZN2at6native12_GLOBAL__N_135GammaBetaBackwardCUDAKernelTemplateIN3c104HalfEfLj32ELj16ELj128ELb0ELb1ELb0EEEvllPKT_S7_PKT0_SA_PS5_SB_
; %bb.0:
	s_load_dwordx4 s[20:23], s[4:5], 0x0
	s_lshl_b32 s24, s7, 7
	s_mov_b32 s25, 0
	v_mov_b32_e32 v2, s24
	v_mov_b32_e32 v3, s25
	s_waitcnt lgkmcnt(0)
	v_cmp_gt_i64_e32 vcc, s[20:21], v[2:3]
	s_cbranch_vccnz .LBB89_2
; %bb.1:
	s_mov_b64 s[0:1], 0
	s_branch .LBB89_3
.LBB89_2:
	s_mov_b64 s[0:1], -1
.LBB89_3:
	s_load_dwordx4 s[16:19], s[4:5], 0x30
	v_mov_b32_e32 v16, 0
	s_andn2_b64 vcc, exec, s[0:1]
	v_mbcnt_lo_u32_b32 v7, -1, 0
	v_mov_b32_e32 v6, 0
	s_cbranch_vccnz .LBB89_10
; %bb.4:
	s_load_dword s0, s[4:5], 0x4c
	s_load_dword s2, s[4:5], 0x44
	s_load_dwordx8 s[8:15], s[4:5], 0x10
	v_lshlrev_b32_e32 v2, 3, v1
	v_mbcnt_hi_u32_b32 v4, -1, v7
	v_lshlrev_b32_e32 v4, 2, v4
	v_add_co_u32_e32 v2, vcc, s24, v2
	v_and_b32_e32 v8, 0x100, v4
	s_waitcnt lgkmcnt(0)
	s_lshl_b32 s4, s2, 7
	v_addc_co_u32_e64 v4, s[2:3], 0, 0, vcc
	v_mul_lo_u32 v18, s23, v2
	v_mul_lo_u32 v19, s22, v4
	v_mad_u64_u32 v[16:17], s[2:3], s22, v2, 0
	s_and_b32 s0, s0, 0xffff
	v_mad_u32_u24 v3, v1, s0, v0
	v_and_b32_e32 v3, 63, v3
	v_mov_b32_e32 v6, 0
	v_lshl_add_u32 v5, s6, 5, v0
	v_add_co_u32_e32 v2, vcc, v2, v3
	v_add3_u32 v17, v17, v19, v18
	v_cmp_gt_u32_e64 s[0:1], 8, v3
	v_addc_co_u32_e32 v3, vcc, 0, v4, vcc
	v_lshlrev_b64 v[17:18], 1, v[16:17]
	v_lshlrev_b64 v[4:5], 1, v[5:6]
	s_mul_i32 s2, s23, s4
	v_add_co_u32_e32 v17, vcc, v17, v4
	s_mul_hi_u32 s3, s22, s4
	s_mov_b32 s5, 0
	v_addc_co_u32_e32 v18, vcc, v18, v5, vcc
	v_lshlrev_b64 v[4:5], 2, v[2:3]
	s_add_i32 s3, s3, s2
	s_mul_i32 s2, s22, s4
	v_or_b32_e32 v9, 4, v8
	v_or_b32_e32 v10, 8, v8
	;; [unrolled: 1-line block ×7, first 2 shown]
	s_lshl_b64 s[26:27], s[4:5], 2
	s_lshl_b64 s[28:29], s[2:3], 1
	s_lshl_b64 s[22:23], s[22:23], 1
	v_mov_b32_e32 v16, v6
	s_branch .LBB89_7
.LBB89_5:                               ;   in Loop: Header=BB89_7 Depth=1
	s_or_b64 exec, exec, s[30:31]
.LBB89_6:                               ;   in Loop: Header=BB89_7 Depth=1
	s_or_b64 exec, exec, s[2:3]
	v_mov_b32_e32 v21, s11
	v_add_co_u32_e32 v22, vcc, s10, v17
	v_addc_co_u32_e32 v23, vcc, v21, v18, vcc
	v_mov_b32_e32 v21, s23
	v_add_co_u32_e32 v24, vcc, s22, v22
	v_addc_co_u32_e32 v25, vcc, v23, v21, vcc
	global_load_ushort v28, v[22:23], off
	v_mov_b32_e32 v23, s9
	v_add_co_u32_e32 v22, vcc, s8, v17
	v_addc_co_u32_e32 v23, vcc, v23, v18, vcc
	v_add_co_u32_e32 v26, vcc, s22, v22
	global_load_ushort v22, v[22:23], off
	v_addc_co_u32_e32 v27, vcc, v23, v21, vcc
	s_add_u32 s24, s24, s4
	s_addc_u32 s25, s25, 0
	v_add_co_u32_e64 v17, s[2:3], s28, v17
	s_waitcnt vmcnt(1)
	v_cvt_f32_f16_e32 v23, v28
	ds_bpermute_b32 v28, v8, v20
	s_waitcnt lgkmcnt(0)
	v_sub_f32_e32 v23, v23, v28
	global_load_ushort v28, v[24:25], off
	s_waitcnt vmcnt(1)
	v_cvt_f32_f16_e32 v22, v22
	v_add_f32_e32 v6, v6, v22
	v_mul_f32_e32 v22, v23, v22
	ds_bpermute_b32 v23, v8, v19
	s_waitcnt lgkmcnt(0)
	v_fmac_f32_e32 v16, v22, v23
	v_add_co_u32_e32 v22, vcc, s22, v24
	v_addc_co_u32_e32 v23, vcc, v25, v21, vcc
	global_load_ushort v29, v[22:23], off
	v_add_co_u32_e32 v24, vcc, s22, v26
	global_load_ushort v26, v[26:27], off
	v_addc_co_u32_e32 v25, vcc, v27, v21, vcc
	s_waitcnt vmcnt(2)
	v_cvt_f32_f16_e32 v27, v28
	ds_bpermute_b32 v28, v9, v20
	s_waitcnt lgkmcnt(0)
	v_sub_f32_e32 v27, v27, v28
	s_waitcnt vmcnt(0)
	v_cvt_f32_f16_e32 v28, v26
	v_mul_f32_e32 v26, v27, v28
	ds_bpermute_b32 v27, v9, v19
	v_add_f32_e32 v6, v6, v28
	s_waitcnt lgkmcnt(0)
	v_fmac_f32_e32 v16, v26, v27
	v_add_co_u32_e32 v26, vcc, s22, v22
	v_addc_co_u32_e32 v27, vcc, v23, v21, vcc
	v_add_co_u32_e32 v22, vcc, s22, v24
	global_load_ushort v24, v[24:25], off
	v_addc_co_u32_e32 v23, vcc, v25, v21, vcc
	v_cvt_f32_f16_e32 v25, v29
	ds_bpermute_b32 v29, v10, v20
	global_load_ushort v30, v[26:27], off
	s_waitcnt lgkmcnt(0)
	v_sub_f32_e32 v25, v25, v29
	s_waitcnt vmcnt(1)
	v_cvt_f32_f16_e32 v29, v24
	v_mul_f32_e32 v24, v25, v29
	ds_bpermute_b32 v25, v10, v19
	v_add_f32_e32 v6, v6, v29
	s_waitcnt lgkmcnt(0)
	v_fmac_f32_e32 v16, v24, v25
	v_add_co_u32_e32 v24, vcc, s22, v26
	v_addc_co_u32_e32 v25, vcc, v27, v21, vcc
	global_load_ushort v31, v[24:25], off
	v_add_co_u32_e32 v26, vcc, s22, v22
	global_load_ushort v22, v[22:23], off
	v_addc_co_u32_e32 v27, vcc, v23, v21, vcc
	s_waitcnt vmcnt(2)
	v_cvt_f32_f16_e32 v23, v30
	ds_bpermute_b32 v30, v11, v20
	s_waitcnt lgkmcnt(0)
	v_sub_f32_e32 v23, v23, v30
	s_waitcnt vmcnt(0)
	v_cvt_f32_f16_e32 v30, v22
	v_mul_f32_e32 v22, v23, v30
	ds_bpermute_b32 v23, v11, v19
	v_add_f32_e32 v6, v6, v30
	s_waitcnt lgkmcnt(0)
	v_fmac_f32_e32 v16, v22, v23
	v_add_co_u32_e32 v22, vcc, s22, v24
	v_addc_co_u32_e32 v23, vcc, v25, v21, vcc
	global_load_ushort v32, v[22:23], off
	v_add_co_u32_e32 v24, vcc, s22, v26
	global_load_ushort v26, v[26:27], off
	v_addc_co_u32_e32 v25, vcc, v27, v21, vcc
	v_cvt_f32_f16_e32 v27, v31
	ds_bpermute_b32 v31, v12, v20
	s_waitcnt lgkmcnt(0)
	v_sub_f32_e32 v27, v27, v31
	s_waitcnt vmcnt(0)
	v_cvt_f32_f16_e32 v31, v26
	v_mul_f32_e32 v26, v27, v31
	ds_bpermute_b32 v27, v12, v19
	v_add_f32_e32 v6, v6, v31
	s_waitcnt lgkmcnt(0)
	v_fmac_f32_e32 v16, v26, v27
	v_add_co_u32_e32 v26, vcc, s22, v22
	v_addc_co_u32_e32 v27, vcc, v23, v21, vcc
	v_add_co_u32_e32 v22, vcc, s22, v24
	global_load_ushort v24, v[24:25], off
	v_addc_co_u32_e32 v23, vcc, v25, v21, vcc
	v_cvt_f32_f16_e32 v25, v32
	ds_bpermute_b32 v32, v13, v20
	global_load_ushort v33, v[26:27], off
	s_waitcnt lgkmcnt(0)
	v_sub_f32_e32 v25, v25, v32
	s_waitcnt vmcnt(1)
	v_cvt_f32_f16_e32 v32, v24
	v_mul_f32_e32 v24, v25, v32
	ds_bpermute_b32 v25, v13, v19
	v_add_f32_e32 v6, v6, v32
	s_waitcnt lgkmcnt(0)
	v_fmac_f32_e32 v16, v24, v25
	v_add_co_u32_e32 v24, vcc, s22, v26
	v_addc_co_u32_e32 v25, vcc, v27, v21, vcc
	v_add_co_u32_e32 v26, vcc, s22, v22
	v_addc_co_u32_e32 v27, vcc, v23, v21, vcc
	global_load_ushort v21, v[22:23], off
	ds_bpermute_b32 v23, v14, v20
	s_waitcnt vmcnt(1)
	v_cvt_f32_f16_e32 v22, v33
	ds_bpermute_b32 v20, v15, v20
	v_add_co_u32_e32 v4, vcc, s26, v4
	s_waitcnt lgkmcnt(1)
	v_sub_f32_e32 v22, v22, v23
	ds_bpermute_b32 v23, v14, v19
	ds_bpermute_b32 v19, v15, v19
	s_waitcnt vmcnt(0)
	v_cvt_f32_f16_e32 v21, v21
	v_mul_f32_e32 v22, v22, v21
	s_waitcnt lgkmcnt(1)
	v_fmac_f32_e32 v16, v22, v23
	global_load_ushort v22, v[26:27], off
	global_load_ushort v23, v[24:25], off
	v_add_f32_e32 v6, v6, v21
	v_mov_b32_e32 v21, s29
	v_addc_co_u32_e64 v18, s[2:3], v18, v21, s[2:3]
	s_waitcnt vmcnt(1)
	v_cvt_f32_f16_e32 v22, v22
	s_waitcnt vmcnt(0)
	v_cvt_f32_f16_e32 v23, v23
	v_add_f32_e32 v6, v6, v22
	v_sub_f32_e32 v20, v23, v20
	v_mul_f32_e32 v20, v20, v22
	s_waitcnt lgkmcnt(0)
	v_fmac_f32_e32 v16, v20, v19
	v_mov_b32_e32 v19, s27
	v_addc_co_u32_e32 v5, vcc, v5, v19, vcc
	v_add_co_u32_e32 v2, vcc, s4, v2
	v_mov_b32_e32 v19, s20
	v_addc_co_u32_e32 v3, vcc, 0, v3, vcc
	v_mov_b32_e32 v20, s21
	v_cmp_lt_i64_e32 vcc, s[24:25], v[19:20]
	s_cbranch_vccz .LBB89_10
.LBB89_7:                               ; =>This Inner Loop Header: Depth=1
	v_mov_b32_e32 v19, 0
	v_mov_b32_e32 v20, 0
	s_and_saveexec_b64 s[2:3], s[0:1]
	s_cbranch_execz .LBB89_6
; %bb.8:                                ;   in Loop: Header=BB89_7 Depth=1
	v_cmp_gt_i64_e32 vcc, s[20:21], v[2:3]
	v_mov_b32_e32 v20, 0
	v_mov_b32_e32 v19, 0
	s_and_saveexec_b64 s[30:31], vcc
	s_cbranch_execz .LBB89_5
; %bb.9:                                ;   in Loop: Header=BB89_7 Depth=1
	v_mov_b32_e32 v19, s15
	v_add_co_u32_e32 v21, vcc, s14, v4
	v_addc_co_u32_e32 v22, vcc, v19, v5, vcc
	v_mov_b32_e32 v19, s13
	v_add_co_u32_e32 v23, vcc, s12, v4
	v_addc_co_u32_e32 v24, vcc, v19, v5, vcc
	global_load_dword v20, v[23:24], off
	global_load_dword v19, v[21:22], off
	s_branch .LBB89_5
.LBB89_10:
	v_mad_u32_u24 v2, v1, 33, v0
	v_sub_u32_e32 v4, v2, v1
	s_movk_i32 s0, 0x800
	v_lshl_add_u32 v3, v2, 2, 0
	v_cmp_gt_u32_e32 vcc, s0, v4
	ds_write_b32 v3, v16
	ds_write_b32 v3, v6 offset:2112
	s_waitcnt lgkmcnt(0)
	s_barrier
	s_and_saveexec_b64 s[0:1], vcc
	s_cbranch_execz .LBB89_42
; %bb.11:
	v_and_b32_e32 v1, 63, v4
	v_lshrrev_b32_e32 v2, 6, v4
	v_cmp_gt_u32_e64 s[0:1], 16, v1
	v_mul_u32_u24_e32 v3, 33, v1
                                        ; implicit-def: $vgpr1
                                        ; implicit-def: $vgpr6
	s_and_saveexec_b64 s[2:3], s[0:1]
	s_cbranch_execz .LBB89_13
; %bb.12:
	v_add_u32_e32 v1, v2, v3
	v_lshl_add_u32 v1, v1, 2, 0
	ds_read_b32 v6, v1
	ds_read_b32 v1, v1 offset:2112
.LBB89_13:
	s_or_b64 exec, exec, s[2:3]
	v_mbcnt_hi_u32_b32 v8, -1, v7
	v_and_b32_e32 v5, 64, v8
	v_add_u32_e32 v9, 64, v5
	v_xor_b32_e32 v5, 8, v8
	v_cmp_lt_i32_e32 vcc, v5, v9
	v_cndmask_b32_e32 v5, v8, v5, vcc
	v_lshlrev_b32_e32 v5, 2, v5
	s_waitcnt lgkmcnt(1)
	ds_bpermute_b32 v7, v5, v6
	s_waitcnt lgkmcnt(1)
	ds_bpermute_b32 v10, v5, v1
	v_cmp_eq_u32_e64 s[2:3], 0, v0
	s_mov_b32 s7, 0
	s_lshl_b64 s[4:5], s[6:7], 5
	s_waitcnt lgkmcnt(1)
	v_add_f32_e32 v7, v6, v7
	v_xor_b32_e32 v6, 4, v8
	v_cmp_lt_i32_e32 vcc, v6, v9
	v_cndmask_b32_e32 v6, v8, v6, vcc
	v_lshlrev_b32_e32 v6, 2, v6
	s_waitcnt lgkmcnt(0)
	v_add_f32_e32 v1, v1, v10
	ds_bpermute_b32 v10, v6, v7
	ds_bpermute_b32 v11, v6, v1
	s_cmp_lg_u64 s[16:17], 0
	s_cselect_b64 s[8:9], -1, 0
	s_cmp_lg_u64 s[18:19], 0
	s_waitcnt lgkmcnt(1)
	v_add_f32_e32 v10, v7, v10
	v_xor_b32_e32 v7, 2, v8
	v_cmp_lt_i32_e32 vcc, v7, v9
	v_cndmask_b32_e32 v7, v8, v7, vcc
	v_lshlrev_b32_e32 v7, 2, v7
	s_waitcnt lgkmcnt(0)
	v_add_f32_e32 v1, v1, v11
	ds_bpermute_b32 v11, v7, v10
	ds_bpermute_b32 v12, v7, v1
	s_cselect_b64 s[6:7], -1, 0
	s_waitcnt lgkmcnt(1)
	v_add_f32_e32 v0, v10, v11
	v_xor_b32_e32 v10, 1, v8
	v_cmp_lt_i32_e32 vcc, v10, v9
	v_cndmask_b32_e32 v8, v8, v10, vcc
	s_waitcnt lgkmcnt(0)
	v_add_f32_e32 v1, v1, v12
	v_lshlrev_b32_e32 v8, 2, v8
	ds_bpermute_b32 v9, v8, v0
	ds_bpermute_b32 v10, v8, v1
	s_waitcnt lgkmcnt(1)
	v_add_f32_e32 v9, v0, v9
	s_waitcnt lgkmcnt(0)
	v_add_f32_e32 v10, v1, v10
	s_and_saveexec_b64 s[10:11], s[2:3]
	s_cbranch_execz .LBB89_18
; %bb.14:
	v_mov_b32_e32 v1, s5
	v_or_b32_e32 v0, s4, v2
	v_lshlrev_b64 v[0:1], 1, v[0:1]
	s_andn2_b64 vcc, exec, s[8:9]
	s_cbranch_vccnz .LBB89_16
; %bb.15:
	v_cvt_f16_f32_e32 v13, v9
	v_mov_b32_e32 v12, s17
	v_add_co_u32_e32 v11, vcc, s16, v0
	v_addc_co_u32_e32 v12, vcc, v12, v1, vcc
	global_store_short v[11:12], v13, off
.LBB89_16:
	s_andn2_b64 vcc, exec, s[6:7]
	s_cbranch_vccnz .LBB89_18
; %bb.17:
	v_cvt_f16_f32_e32 v12, v10
	v_mov_b32_e32 v11, s19
	v_add_co_u32_e32 v0, vcc, s18, v0
	v_addc_co_u32_e32 v1, vcc, v11, v1, vcc
	global_store_short v[0:1], v12, off
.LBB89_18:
	s_or_b64 exec, exec, s[10:11]
	s_movk_i32 s10, 0x600
	v_cmp_gt_u32_e32 vcc, s10, v4
	s_and_b64 exec, exec, vcc
	s_cbranch_execz .LBB89_42
; %bb.19:
	s_and_saveexec_b64 s[10:11], s[0:1]
	s_cbranch_execz .LBB89_21
; %bb.20:
	v_add_u32_e32 v0, v2, v3
	v_lshl_add_u32 v0, v0, 2, 0
	ds_read_b32 v9, v0 offset:32
	ds_read_b32 v10, v0 offset:2144
.LBB89_21:
	s_or_b64 exec, exec, s[10:11]
	s_waitcnt lgkmcnt(1)
	ds_bpermute_b32 v0, v5, v9
	s_waitcnt lgkmcnt(1)
	ds_bpermute_b32 v1, v5, v10
	s_waitcnt lgkmcnt(1)
	v_add_f32_e32 v0, v9, v0
	s_waitcnt lgkmcnt(0)
	v_add_f32_e32 v1, v10, v1
	ds_bpermute_b32 v9, v6, v0
	ds_bpermute_b32 v10, v6, v1
	s_waitcnt lgkmcnt(1)
	v_add_f32_e32 v0, v0, v9
	s_waitcnt lgkmcnt(0)
	v_add_f32_e32 v1, v1, v10
	ds_bpermute_b32 v9, v7, v0
	;; [unrolled: 6-line block ×3, first 2 shown]
	ds_bpermute_b32 v10, v8, v1
	s_waitcnt lgkmcnt(1)
	v_add_f32_e32 v0, v0, v9
	s_waitcnt lgkmcnt(0)
	v_add_f32_e32 v1, v1, v10
	s_and_saveexec_b64 s[10:11], s[2:3]
	s_cbranch_execz .LBB89_26
; %bb.22:
	s_andn2_b64 vcc, exec, s[8:9]
	s_cbranch_vccnz .LBB89_24
; %bb.23:
	v_mov_b32_e32 v10, s5
	v_add_co_u32_e32 v9, vcc, s4, v2
	v_addc_co_u32_e32 v10, vcc, 0, v10, vcc
	v_lshlrev_b64 v[9:10], 1, v[9:10]
	v_cvt_f16_f32_e32 v12, v0
	v_mov_b32_e32 v11, s17
	v_add_co_u32_e32 v9, vcc, s16, v9
	v_addc_co_u32_e32 v10, vcc, v11, v10, vcc
	global_store_short v[9:10], v12, off offset:16
.LBB89_24:
	s_andn2_b64 vcc, exec, s[6:7]
	s_cbranch_vccnz .LBB89_26
; %bb.25:
	v_mov_b32_e32 v10, s5
	v_add_co_u32_e32 v9, vcc, s4, v2
	v_addc_co_u32_e32 v10, vcc, 0, v10, vcc
	v_lshlrev_b64 v[9:10], 1, v[9:10]
	v_cvt_f16_f32_e32 v12, v1
	v_mov_b32_e32 v11, s19
	v_add_co_u32_e32 v9, vcc, s18, v9
	v_addc_co_u32_e32 v10, vcc, v11, v10, vcc
	global_store_short v[9:10], v12, off offset:16
.LBB89_26:
	s_or_b64 exec, exec, s[10:11]
	s_movk_i32 s10, 0x400
	v_cmp_gt_u32_e32 vcc, s10, v4
	s_and_b64 exec, exec, vcc
	s_cbranch_execz .LBB89_42
; %bb.27:
	s_and_saveexec_b64 s[10:11], s[0:1]
	s_cbranch_execz .LBB89_29
; %bb.28:
	v_add_u32_e32 v0, v2, v3
	v_lshl_add_u32 v1, v0, 2, 0
	ds_read_b32 v0, v1 offset:64
	ds_read_b32 v1, v1 offset:2176
.LBB89_29:
	s_or_b64 exec, exec, s[10:11]
	s_waitcnt lgkmcnt(1)
	ds_bpermute_b32 v9, v5, v0
	s_waitcnt lgkmcnt(1)
	ds_bpermute_b32 v10, v5, v1
	s_waitcnt lgkmcnt(1)
	v_add_f32_e32 v0, v0, v9
	s_waitcnt lgkmcnt(0)
	v_add_f32_e32 v1, v1, v10
	ds_bpermute_b32 v9, v6, v0
	ds_bpermute_b32 v10, v6, v1
	s_waitcnt lgkmcnt(1)
	v_add_f32_e32 v0, v0, v9
	s_waitcnt lgkmcnt(0)
	v_add_f32_e32 v1, v1, v10
	ds_bpermute_b32 v9, v7, v0
	;; [unrolled: 6-line block ×3, first 2 shown]
	ds_bpermute_b32 v10, v8, v1
	s_waitcnt lgkmcnt(1)
	v_add_f32_e32 v0, v0, v9
	s_waitcnt lgkmcnt(0)
	v_add_f32_e32 v1, v1, v10
	s_and_saveexec_b64 s[10:11], s[2:3]
	s_cbranch_execz .LBB89_34
; %bb.30:
	s_andn2_b64 vcc, exec, s[8:9]
	s_cbranch_vccnz .LBB89_32
; %bb.31:
	v_mov_b32_e32 v10, s5
	v_add_co_u32_e32 v9, vcc, s4, v2
	v_addc_co_u32_e32 v10, vcc, 0, v10, vcc
	v_lshlrev_b64 v[9:10], 1, v[9:10]
	v_cvt_f16_f32_e32 v12, v0
	v_mov_b32_e32 v11, s17
	v_add_co_u32_e32 v9, vcc, s16, v9
	v_addc_co_u32_e32 v10, vcc, v11, v10, vcc
	global_store_short v[9:10], v12, off offset:32
.LBB89_32:
	s_andn2_b64 vcc, exec, s[6:7]
	s_cbranch_vccnz .LBB89_34
; %bb.33:
	v_mov_b32_e32 v10, s5
	v_add_co_u32_e32 v9, vcc, s4, v2
	v_addc_co_u32_e32 v10, vcc, 0, v10, vcc
	v_lshlrev_b64 v[9:10], 1, v[9:10]
	v_cvt_f16_f32_e32 v12, v1
	v_mov_b32_e32 v11, s19
	v_add_co_u32_e32 v9, vcc, s18, v9
	v_addc_co_u32_e32 v10, vcc, v11, v10, vcc
	global_store_short v[9:10], v12, off offset:32
.LBB89_34:
	s_or_b64 exec, exec, s[10:11]
	s_movk_i32 s10, 0x200
	v_cmp_gt_u32_e32 vcc, s10, v4
	s_and_b64 exec, exec, vcc
	s_cbranch_execz .LBB89_42
; %bb.35:
	s_and_saveexec_b64 s[10:11], s[0:1]
	s_cbranch_execz .LBB89_37
; %bb.36:
	v_add_u32_e32 v0, v2, v3
	v_lshl_add_u32 v1, v0, 2, 0
	ds_read_b32 v0, v1 offset:96
	ds_read_b32 v1, v1 offset:2208
.LBB89_37:
	s_or_b64 exec, exec, s[10:11]
	s_waitcnt lgkmcnt(1)
	ds_bpermute_b32 v3, v5, v0
	s_waitcnt lgkmcnt(1)
	ds_bpermute_b32 v4, v5, v1
	s_waitcnt lgkmcnt(1)
	v_add_f32_e32 v0, v0, v3
	s_waitcnt lgkmcnt(0)
	v_add_f32_e32 v1, v1, v4
	ds_bpermute_b32 v3, v6, v0
	ds_bpermute_b32 v4, v6, v1
	s_waitcnt lgkmcnt(1)
	v_add_f32_e32 v0, v0, v3
	s_waitcnt lgkmcnt(0)
	v_add_f32_e32 v1, v1, v4
	ds_bpermute_b32 v3, v7, v0
	;; [unrolled: 6-line block ×3, first 2 shown]
	ds_bpermute_b32 v1, v8, v0
	s_and_b64 exec, exec, s[2:3]
	s_cbranch_execz .LBB89_42
; %bb.38:
	s_andn2_b64 vcc, exec, s[8:9]
	s_cbranch_vccnz .LBB89_40
; %bb.39:
	s_waitcnt lgkmcnt(1)
	v_add_f32_e32 v5, v3, v4
	v_mov_b32_e32 v4, s5
	v_add_co_u32_e32 v3, vcc, s4, v2
	v_addc_co_u32_e32 v4, vcc, 0, v4, vcc
	v_lshlrev_b64 v[3:4], 1, v[3:4]
	v_cvt_f16_f32_e32 v5, v5
	v_mov_b32_e32 v6, s17
	v_add_co_u32_e32 v3, vcc, s16, v3
	v_addc_co_u32_e32 v4, vcc, v6, v4, vcc
	global_store_short v[3:4], v5, off offset:48
.LBB89_40:
	s_andn2_b64 vcc, exec, s[6:7]
	s_cbranch_vccnz .LBB89_42
; %bb.41:
	s_waitcnt lgkmcnt(0)
	v_add_f32_e32 v3, v0, v1
	v_mov_b32_e32 v1, s5
	v_add_co_u32_e32 v0, vcc, s4, v2
	v_addc_co_u32_e32 v1, vcc, 0, v1, vcc
	v_lshlrev_b64 v[0:1], 1, v[0:1]
	v_cvt_f16_f32_e32 v3, v3
	v_mov_b32_e32 v2, s19
	v_add_co_u32_e32 v0, vcc, s18, v0
	v_addc_co_u32_e32 v1, vcc, v2, v1, vcc
	global_store_short v[0:1], v3, off offset:48
.LBB89_42:
	s_endpgm
	.section	.rodata,"a",@progbits
	.p2align	6, 0x0
	.amdhsa_kernel _ZN2at6native12_GLOBAL__N_135GammaBetaBackwardCUDAKernelTemplateIN3c104HalfEfLj32ELj16ELj128ELb0ELb1ELb0EEEvllPKT_S7_PKT0_SA_PS5_SB_
		.amdhsa_group_segment_fixed_size 0
		.amdhsa_private_segment_fixed_size 0
		.amdhsa_kernarg_size 320
		.amdhsa_user_sgpr_count 6
		.amdhsa_user_sgpr_private_segment_buffer 1
		.amdhsa_user_sgpr_dispatch_ptr 0
		.amdhsa_user_sgpr_queue_ptr 0
		.amdhsa_user_sgpr_kernarg_segment_ptr 1
		.amdhsa_user_sgpr_dispatch_id 0
		.amdhsa_user_sgpr_flat_scratch_init 0
		.amdhsa_user_sgpr_private_segment_size 0
		.amdhsa_uses_dynamic_stack 0
		.amdhsa_system_sgpr_private_segment_wavefront_offset 0
		.amdhsa_system_sgpr_workgroup_id_x 1
		.amdhsa_system_sgpr_workgroup_id_y 1
		.amdhsa_system_sgpr_workgroup_id_z 0
		.amdhsa_system_sgpr_workgroup_info 0
		.amdhsa_system_vgpr_workitem_id 1
		.amdhsa_next_free_vgpr 34
		.amdhsa_next_free_sgpr 32
		.amdhsa_reserve_vcc 1
		.amdhsa_reserve_flat_scratch 0
		.amdhsa_float_round_mode_32 0
		.amdhsa_float_round_mode_16_64 0
		.amdhsa_float_denorm_mode_32 3
		.amdhsa_float_denorm_mode_16_64 3
		.amdhsa_dx10_clamp 1
		.amdhsa_ieee_mode 1
		.amdhsa_fp16_overflow 0
		.amdhsa_exception_fp_ieee_invalid_op 0
		.amdhsa_exception_fp_denorm_src 0
		.amdhsa_exception_fp_ieee_div_zero 0
		.amdhsa_exception_fp_ieee_overflow 0
		.amdhsa_exception_fp_ieee_underflow 0
		.amdhsa_exception_fp_ieee_inexact 0
		.amdhsa_exception_int_div_zero 0
	.end_amdhsa_kernel
	.section	.text._ZN2at6native12_GLOBAL__N_135GammaBetaBackwardCUDAKernelTemplateIN3c104HalfEfLj32ELj16ELj128ELb0ELb1ELb0EEEvllPKT_S7_PKT0_SA_PS5_SB_,"axG",@progbits,_ZN2at6native12_GLOBAL__N_135GammaBetaBackwardCUDAKernelTemplateIN3c104HalfEfLj32ELj16ELj128ELb0ELb1ELb0EEEvllPKT_S7_PKT0_SA_PS5_SB_,comdat
.Lfunc_end89:
	.size	_ZN2at6native12_GLOBAL__N_135GammaBetaBackwardCUDAKernelTemplateIN3c104HalfEfLj32ELj16ELj128ELb0ELb1ELb0EEEvllPKT_S7_PKT0_SA_PS5_SB_, .Lfunc_end89-_ZN2at6native12_GLOBAL__N_135GammaBetaBackwardCUDAKernelTemplateIN3c104HalfEfLj32ELj16ELj128ELb0ELb1ELb0EEEvllPKT_S7_PKT0_SA_PS5_SB_
                                        ; -- End function
	.set _ZN2at6native12_GLOBAL__N_135GammaBetaBackwardCUDAKernelTemplateIN3c104HalfEfLj32ELj16ELj128ELb0ELb1ELb0EEEvllPKT_S7_PKT0_SA_PS5_SB_.num_vgpr, 34
	.set _ZN2at6native12_GLOBAL__N_135GammaBetaBackwardCUDAKernelTemplateIN3c104HalfEfLj32ELj16ELj128ELb0ELb1ELb0EEEvllPKT_S7_PKT0_SA_PS5_SB_.num_agpr, 0
	.set _ZN2at6native12_GLOBAL__N_135GammaBetaBackwardCUDAKernelTemplateIN3c104HalfEfLj32ELj16ELj128ELb0ELb1ELb0EEEvllPKT_S7_PKT0_SA_PS5_SB_.numbered_sgpr, 32
	.set _ZN2at6native12_GLOBAL__N_135GammaBetaBackwardCUDAKernelTemplateIN3c104HalfEfLj32ELj16ELj128ELb0ELb1ELb0EEEvllPKT_S7_PKT0_SA_PS5_SB_.num_named_barrier, 0
	.set _ZN2at6native12_GLOBAL__N_135GammaBetaBackwardCUDAKernelTemplateIN3c104HalfEfLj32ELj16ELj128ELb0ELb1ELb0EEEvllPKT_S7_PKT0_SA_PS5_SB_.private_seg_size, 0
	.set _ZN2at6native12_GLOBAL__N_135GammaBetaBackwardCUDAKernelTemplateIN3c104HalfEfLj32ELj16ELj128ELb0ELb1ELb0EEEvllPKT_S7_PKT0_SA_PS5_SB_.uses_vcc, 1
	.set _ZN2at6native12_GLOBAL__N_135GammaBetaBackwardCUDAKernelTemplateIN3c104HalfEfLj32ELj16ELj128ELb0ELb1ELb0EEEvllPKT_S7_PKT0_SA_PS5_SB_.uses_flat_scratch, 0
	.set _ZN2at6native12_GLOBAL__N_135GammaBetaBackwardCUDAKernelTemplateIN3c104HalfEfLj32ELj16ELj128ELb0ELb1ELb0EEEvllPKT_S7_PKT0_SA_PS5_SB_.has_dyn_sized_stack, 0
	.set _ZN2at6native12_GLOBAL__N_135GammaBetaBackwardCUDAKernelTemplateIN3c104HalfEfLj32ELj16ELj128ELb0ELb1ELb0EEEvllPKT_S7_PKT0_SA_PS5_SB_.has_recursion, 0
	.set _ZN2at6native12_GLOBAL__N_135GammaBetaBackwardCUDAKernelTemplateIN3c104HalfEfLj32ELj16ELj128ELb0ELb1ELb0EEEvllPKT_S7_PKT0_SA_PS5_SB_.has_indirect_call, 0
	.section	.AMDGPU.csdata,"",@progbits
; Kernel info:
; codeLenInByte = 2564
; TotalNumSgprs: 36
; NumVgprs: 34
; ScratchSize: 0
; MemoryBound: 0
; FloatMode: 240
; IeeeMode: 1
; LDSByteSize: 0 bytes/workgroup (compile time only)
; SGPRBlocks: 4
; VGPRBlocks: 8
; NumSGPRsForWavesPerEU: 36
; NumVGPRsForWavesPerEU: 34
; Occupancy: 7
; WaveLimiterHint : 0
; COMPUTE_PGM_RSRC2:SCRATCH_EN: 0
; COMPUTE_PGM_RSRC2:USER_SGPR: 6
; COMPUTE_PGM_RSRC2:TRAP_HANDLER: 0
; COMPUTE_PGM_RSRC2:TGID_X_EN: 1
; COMPUTE_PGM_RSRC2:TGID_Y_EN: 1
; COMPUTE_PGM_RSRC2:TGID_Z_EN: 0
; COMPUTE_PGM_RSRC2:TIDIG_COMP_CNT: 1
	.section	.text._ZN2at6native12_GLOBAL__N_135GammaBetaBackwardCUDAKernelTemplateIN3c104HalfEfLj32ELj16ELj128ELb0ELb0ELb0EEEvllPKT_S7_PKT0_SA_PS5_SB_,"axG",@progbits,_ZN2at6native12_GLOBAL__N_135GammaBetaBackwardCUDAKernelTemplateIN3c104HalfEfLj32ELj16ELj128ELb0ELb0ELb0EEEvllPKT_S7_PKT0_SA_PS5_SB_,comdat
	.globl	_ZN2at6native12_GLOBAL__N_135GammaBetaBackwardCUDAKernelTemplateIN3c104HalfEfLj32ELj16ELj128ELb0ELb0ELb0EEEvllPKT_S7_PKT0_SA_PS5_SB_ ; -- Begin function _ZN2at6native12_GLOBAL__N_135GammaBetaBackwardCUDAKernelTemplateIN3c104HalfEfLj32ELj16ELj128ELb0ELb0ELb0EEEvllPKT_S7_PKT0_SA_PS5_SB_
	.p2align	8
	.type	_ZN2at6native12_GLOBAL__N_135GammaBetaBackwardCUDAKernelTemplateIN3c104HalfEfLj32ELj16ELj128ELb0ELb0ELb0EEEvllPKT_S7_PKT0_SA_PS5_SB_,@function
_ZN2at6native12_GLOBAL__N_135GammaBetaBackwardCUDAKernelTemplateIN3c104HalfEfLj32ELj16ELj128ELb0ELb0ELb0EEEvllPKT_S7_PKT0_SA_PS5_SB_: ; @_ZN2at6native12_GLOBAL__N_135GammaBetaBackwardCUDAKernelTemplateIN3c104HalfEfLj32ELj16ELj128ELb0ELb0ELb0EEEvllPKT_S7_PKT0_SA_PS5_SB_
; %bb.0:
	s_load_dwordx8 s[12:19], s[4:5], 0x0
	s_load_dwordx4 s[20:23], s[4:5], 0x20
	s_lshl_b32 s10, s7, 7
	s_lshl_b32 s33, s6, 5
	s_mov_b32 s11, 0
	v_mov_b32_e32 v4, s10
	s_or_b32 s0, s33, 31
	v_mov_b32_e32 v5, s11
	v_mov_b32_e32 v2, s0
	;; [unrolled: 1-line block ×3, first 2 shown]
	s_waitcnt lgkmcnt(0)
	v_cmp_gt_i64_e64 s[0:1], s[12:13], v[4:5]
	v_cmp_le_i64_e32 vcc, s[14:15], v[2:3]
	v_cndmask_b32_e64 v2, 0, 1, s[0:1]
	v_cmp_ne_u32_e64 s[0:1], 1, v2
	s_cbranch_vccz .LBB90_49
; %bb.1:
	s_and_b64 vcc, exec, s[0:1]
	v_mov_b32_e32 v54, 0
	s_cbranch_vccnz .LBB90_50
; %bb.2:
	v_lshlrev_b32_e32 v21, 3, v1
	v_add_co_u32_e32 v9, vcc, s10, v21
	v_addc_co_u32_e64 v10, s[2:3], 0, 0, vcc
	v_mul_lo_u32 v7, s15, v9
	v_mul_lo_u32 v8, s14, v10
	v_mad_u64_u32 v[5:6], s[2:3], s14, v9, 0
	v_mov_b32_e32 v2, 0
	s_load_dword s7, s[4:5], 0x44
	v_add_u32_e32 v3, s33, v0
	v_mov_b32_e32 v4, v2
	v_add3_u32 v6, v6, v8, v7
	v_cmp_gt_i64_e64 s[2:3], s[14:15], v[3:4]
	v_lshlrev_b64 v[19:20], 1, v[3:4]
	v_lshlrev_b64 v[3:4], 1, v[5:6]
	s_add_u32 s24, s4, 64
	v_mov_b32_e32 v7, s17
	v_add_co_u32_e32 v22, vcc, s16, v3
	s_addc_u32 s25, s5, 0
	s_waitcnt lgkmcnt(0)
	s_lshl_b32 s7, s7, 7
	v_addc_co_u32_e32 v23, vcc, v7, v4, vcc
	s_mul_i32 s8, s15, s7
	s_mul_hi_u32 s9, s14, s7
	v_add_co_u32_e32 v7, vcc, 7, v9
	s_add_i32 s9, s9, s8
	s_mul_i32 s8, s14, s7
	v_addc_co_u32_e32 v8, vcc, 0, v10, vcc
	s_lshl_b64 s[26:27], s[8:9], 1
	v_mul_lo_u32 v12, s15, v7
	v_mul_lo_u32 v13, s14, v8
	v_mad_u64_u32 v[7:8], s[8:9], s14, v7, 0
	v_mov_b32_e32 v11, s19
	v_add_co_u32_e32 v24, vcc, s18, v3
	v_add3_u32 v8, v8, v13, v12
	v_addc_co_u32_e32 v25, vcc, v11, v4, vcc
	v_lshlrev_b64 v[3:4], 1, v[7:8]
	v_mov_b32_e32 v7, s17
	v_add_co_u32_e32 v26, vcc, s16, v3
	v_addc_co_u32_e32 v27, vcc, v7, v4, vcc
	v_add_co_u32_e32 v7, vcc, 6, v9
	v_addc_co_u32_e32 v8, vcc, 0, v10, vcc
	v_mul_lo_u32 v12, s15, v7
	v_mul_lo_u32 v13, s14, v8
	v_mad_u64_u32 v[7:8], s[8:9], s14, v7, 0
	v_add_co_u32_e32 v28, vcc, s18, v3
	v_add3_u32 v8, v8, v13, v12
	v_addc_co_u32_e32 v29, vcc, v11, v4, vcc
	v_lshlrev_b64 v[3:4], 1, v[7:8]
	v_mov_b32_e32 v7, s17
	v_add_co_u32_e32 v30, vcc, s16, v3
	v_addc_co_u32_e32 v31, vcc, v7, v4, vcc
	v_add_co_u32_e32 v7, vcc, 5, v9
	v_addc_co_u32_e32 v8, vcc, 0, v10, vcc
	v_mul_lo_u32 v12, s15, v7
	v_mul_lo_u32 v13, s14, v8
	v_mad_u64_u32 v[7:8], s[8:9], s14, v7, 0
	;; [unrolled: 12-line block ×5, first 2 shown]
	v_add_co_u32_e32 v44, vcc, s18, v3
	v_add3_u32 v8, v8, v10, v9
	v_addc_co_u32_e32 v45, vcc, v11, v4, vcc
	v_lshlrev_b64 v[3:4], 1, v[7:8]
	v_mov_b32_e32 v7, s17
	v_add_co_u32_e32 v46, vcc, s16, v3
	v_addc_co_u32_e32 v47, vcc, v7, v4, vcc
	v_mov_b32_e32 v7, s19
	v_add_co_u32_e32 v48, vcc, s18, v3
	v_addc_co_u32_e32 v49, vcc, v7, v4, vcc
	;; [unrolled: 3-line block ×3, first 2 shown]
	v_lshlrev_b64 v[3:4], 1, v[3:4]
	v_mov_b32_e32 v5, s17
	v_add_co_u32_e32 v50, vcc, s16, v3
	v_addc_co_u32_e32 v51, vcc, v5, v4, vcc
	v_add_co_u32_e32 v52, vcc, s18, v3
	v_mbcnt_lo_u32_b32 v3, -1, 0
	v_mbcnt_hi_u32_b32 v3, -1, v3
	v_mov_b32_e32 v5, s19
	s_add_u32 s28, s10, 0x7f
	v_lshlrev_b32_e32 v3, 2, v3
	v_addc_co_u32_e32 v53, vcc, v5, v4, vcc
	s_addc_u32 s29, 0, 0
	v_and_b32_e32 v55, 0x100, v3
	v_mov_b32_e32 v54, 0
	v_mov_b32_e32 v56, 0
	s_mov_b64 s[30:31], s[10:11]
.LBB90_3:                               ; =>This Inner Loop Header: Depth=1
	v_mov_b32_e32 v3, s12
	v_mov_b32_e32 v4, s13
	v_cmp_ge_i64_e32 vcc, s[28:29], v[3:4]
	v_mov_b32_e32 v3, s29
	v_add_co_u32_e64 v57, s[8:9], s28, v21
	v_addc_co_u32_e64 v58, s[8:9], 0, v3, s[8:9]
	s_mov_b64 s[8:9], -1
	s_and_b64 vcc, exec, vcc
                                        ; implicit-def: $vgpr3_vgpr4_vgpr5_vgpr6_vgpr7_vgpr8_vgpr9_vgpr10
                                        ; implicit-def: $vgpr59
                                        ; implicit-def: $vgpr11_vgpr12_vgpr13_vgpr14_vgpr15_vgpr16_vgpr17_vgpr18
                                        ; implicit-def: $vgpr4
                                        ; implicit-def: $vgpr3
                                        ; implicit-def: $vgpr5
	s_cbranch_vccz .LBB90_25
; %bb.4:                                ;   in Loop: Header=BB90_3 Depth=1
	s_load_dword s8, s[24:25], 0xc
	v_mov_b32_e32 v59, 0
	v_mov_b32_e32 v60, 0
	s_waitcnt lgkmcnt(0)
	s_and_b32 s8, s8, 0xffff
	v_mad_u32_u24 v3, v1, s8, v0
	v_and_b32_e32 v3, 63, v3
	v_cmp_gt_u32_e32 vcc, 8, v3
	s_and_saveexec_b64 s[8:9], vcc
	s_cbranch_execz .LBB90_8
; %bb.5:                                ;   in Loop: Header=BB90_3 Depth=1
	v_add_co_u32_e32 v3, vcc, v57, v3
	v_addc_co_u32_e32 v4, vcc, 0, v58, vcc
	v_add_co_u32_e32 v3, vcc, 0xffffff81, v3
	v_addc_co_u32_e32 v4, vcc, -1, v4, vcc
	v_cmp_gt_i64_e32 vcc, s[12:13], v[3:4]
	v_mov_b32_e32 v60, 0
	v_mov_b32_e32 v59, 0
	s_and_saveexec_b64 s[34:35], vcc
	s_cbranch_execz .LBB90_7
; %bb.6:                                ;   in Loop: Header=BB90_3 Depth=1
	v_lshlrev_b64 v[3:4], 2, v[3:4]
	v_mov_b32_e32 v6, s23
	v_add_co_u32_e32 v5, vcc, s22, v3
	v_addc_co_u32_e32 v6, vcc, v6, v4, vcc
	v_mov_b32_e32 v7, s21
	v_add_co_u32_e32 v3, vcc, s20, v3
	v_addc_co_u32_e32 v4, vcc, v7, v4, vcc
	global_load_dword v60, v[3:4], off
	global_load_dword v59, v[5:6], off
.LBB90_7:                               ;   in Loop: Header=BB90_3 Depth=1
	s_or_b64 exec, exec, s[34:35]
.LBB90_8:                               ;   in Loop: Header=BB90_3 Depth=1
	s_or_b64 exec, exec, s[8:9]
	v_add_co_u32_e32 v3, vcc, 0xffffff81, v57
	v_addc_co_u32_e32 v4, vcc, -1, v58, vcc
	v_mov_b32_e32 v9, v2
	v_cmp_gt_i64_e32 vcc, s[12:13], v[3:4]
	v_mov_b32_e32 v3, v2
	v_mov_b32_e32 v4, v2
	;; [unrolled: 1-line block ×15, first 2 shown]
	s_and_b64 s[34:35], s[2:3], vcc
	v_mov_b32_e32 v9, v8
	v_mov_b32_e32 v8, v7
	;; [unrolled: 1-line block ×7, first 2 shown]
	s_and_saveexec_b64 s[8:9], s[34:35]
	s_cbranch_execz .LBB90_10
; %bb.9:                                ;   in Loop: Header=BB90_3 Depth=1
	v_add_co_u32_e32 v3, vcc, v22, v19
	v_addc_co_u32_e32 v4, vcc, v23, v20, vcc
	global_load_ushort v11, v[3:4], off
	v_add_co_u32_e32 v3, vcc, v24, v19
	v_addc_co_u32_e32 v4, vcc, v25, v20, vcc
	global_load_ushort v15, v[3:4], off
	v_mov_b32_e32 v4, v2
	v_mov_b32_e32 v5, v2
	;; [unrolled: 1-line block ×13, first 2 shown]
	s_waitcnt vmcnt(1)
	v_cvt_f32_f16_e32 v3, v11
	s_waitcnt vmcnt(0)
	v_cvt_f32_f16_e32 v11, v15
	v_mov_b32_e32 v15, v2
.LBB90_10:                              ;   in Loop: Header=BB90_3 Depth=1
	s_or_b64 exec, exec, s[8:9]
	v_add_co_u32_e32 v61, vcc, 0xffffff82, v57
	v_addc_co_u32_e32 v62, vcc, -1, v58, vcc
	v_cmp_gt_i64_e32 vcc, s[12:13], v[61:62]
	s_and_b64 s[34:35], s[2:3], vcc
	s_and_saveexec_b64 s[8:9], s[34:35]
	s_cbranch_execz .LBB90_12
; %bb.11:                               ;   in Loop: Header=BB90_3 Depth=1
	v_add_co_u32_e32 v61, vcc, v50, v19
	v_addc_co_u32_e32 v62, vcc, v51, v20, vcc
	global_load_ushort v4, v[61:62], off
	v_add_co_u32_e32 v61, vcc, v52, v19
	v_addc_co_u32_e32 v62, vcc, v53, v20, vcc
	global_load_ushort v12, v[61:62], off
	s_waitcnt vmcnt(1)
	v_cvt_f32_f16_e32 v4, v4
	s_waitcnt vmcnt(0)
	v_cvt_f32_f16_e32 v12, v12
.LBB90_12:                              ;   in Loop: Header=BB90_3 Depth=1
	s_or_b64 exec, exec, s[8:9]
	v_add_co_u32_e32 v61, vcc, 0xffffff83, v57
	v_addc_co_u32_e32 v62, vcc, -1, v58, vcc
	v_cmp_gt_i64_e32 vcc, s[12:13], v[61:62]
	s_and_b64 s[34:35], s[2:3], vcc
	s_and_saveexec_b64 s[8:9], s[34:35]
	s_cbranch_execz .LBB90_14
; %bb.13:                               ;   in Loop: Header=BB90_3 Depth=1
	v_add_co_u32_e32 v61, vcc, v46, v19
	v_addc_co_u32_e32 v62, vcc, v47, v20, vcc
	global_load_ushort v5, v[61:62], off
	v_add_co_u32_e32 v61, vcc, v48, v19
	v_addc_co_u32_e32 v62, vcc, v49, v20, vcc
	global_load_ushort v13, v[61:62], off
	s_waitcnt vmcnt(1)
	v_cvt_f32_f16_e32 v5, v5
	s_waitcnt vmcnt(0)
	v_cvt_f32_f16_e32 v13, v13
.LBB90_14:                              ;   in Loop: Header=BB90_3 Depth=1
	;; [unrolled: 19-line block ×7, first 2 shown]
	s_or_b64 exec, exec, s[8:9]
	s_waitcnt vmcnt(1)
	ds_bpermute_b32 v61, v55, v60
	ds_bpermute_b32 v64, v55, v60 offset:4
	s_waitcnt vmcnt(0)
	ds_bpermute_b32 v62, v55, v59
	ds_bpermute_b32 v65, v55, v59 offset:4
	v_add_f32_e32 v63, v54, v3
	s_waitcnt lgkmcnt(3)
	v_sub_f32_e32 v11, v11, v61
	v_mul_f32_e32 v3, v3, v11
	s_waitcnt lgkmcnt(2)
	v_sub_f32_e32 v11, v12, v64
	ds_bpermute_b32 v12, v55, v60 offset:8
	s_waitcnt lgkmcnt(2)
	v_fma_f32 v3, v3, v62, v56
	v_mul_f32_e32 v11, v4, v11
	s_waitcnt lgkmcnt(1)
	v_fmac_f32_e32 v3, v11, v65
	ds_bpermute_b32 v11, v55, v59 offset:8
	s_waitcnt lgkmcnt(1)
	v_sub_f32_e32 v12, v13, v12
	ds_bpermute_b32 v13, v55, v60 offset:12
	v_mul_f32_e32 v12, v5, v12
	v_add_f32_e32 v4, v4, v63
	s_waitcnt lgkmcnt(1)
	v_fmac_f32_e32 v3, v12, v11
	ds_bpermute_b32 v11, v55, v59 offset:12
	v_add_f32_e32 v4, v5, v4
	s_waitcnt lgkmcnt(1)
	v_sub_f32_e32 v5, v14, v13
	ds_bpermute_b32 v12, v55, v60 offset:16
	v_mul_f32_e32 v5, v6, v5
	s_waitcnt lgkmcnt(1)
	v_fmac_f32_e32 v3, v5, v11
	ds_bpermute_b32 v5, v55, v59 offset:16
	v_add_f32_e32 v4, v6, v4
	s_waitcnt lgkmcnt(1)
	v_sub_f32_e32 v6, v15, v12
	ds_bpermute_b32 v11, v55, v60 offset:20
	v_mul_f32_e32 v6, v7, v6
	;; [unrolled: 8-line block ×3, first 2 shown]
	s_waitcnt lgkmcnt(1)
	v_fmac_f32_e32 v3, v6, v5
	ds_bpermute_b32 v6, v55, v59 offset:24
	v_add_f32_e32 v5, v8, v4
	ds_bpermute_b32 v59, v55, v59 offset:28
	ds_bpermute_b32 v4, v55, v60 offset:28
	s_waitcnt lgkmcnt(3)
	v_sub_f32_e32 v7, v17, v7
	v_mul_f32_e32 v7, v9, v7
	s_waitcnt lgkmcnt(2)
	v_fmac_f32_e32 v3, v7, v6
	v_add_f32_e32 v5, v9, v5
	s_mov_b64 s[8:9], 0
.LBB90_25:                              ;   in Loop: Header=BB90_3 Depth=1
	s_and_b64 vcc, exec, s[8:9]
	s_cbranch_vccz .LBB90_40
; %bb.26:                               ;   in Loop: Header=BB90_3 Depth=1
	s_load_dword s8, s[24:25], 0x0
	s_waitcnt lgkmcnt(0)
	v_mov_b32_e32 v59, 0
	v_mov_b32_e32 v60, 0
	s_cmp_lt_u32 s6, s8
	s_cselect_b32 s8, 12, 18
	s_add_u32 s8, s24, s8
	s_addc_u32 s9, s25, 0
	global_load_ushort v3, v2, s[8:9]
	s_waitcnt vmcnt(0)
	v_mad_u32_u24 v3, v1, v3, v0
	v_and_b32_e32 v3, 63, v3
	v_cmp_gt_u32_e32 vcc, 8, v3
	s_and_saveexec_b64 s[8:9], vcc
	s_cbranch_execz .LBB90_30
; %bb.27:                               ;   in Loop: Header=BB90_3 Depth=1
	v_add_co_u32_e32 v3, vcc, v57, v3
	v_addc_co_u32_e32 v4, vcc, 0, v58, vcc
	v_add_co_u32_e32 v3, vcc, 0xffffff81, v3
	v_addc_co_u32_e32 v4, vcc, -1, v4, vcc
	v_cmp_gt_i64_e32 vcc, s[12:13], v[3:4]
	v_mov_b32_e32 v60, 0
	v_mov_b32_e32 v59, 0
	s_and_saveexec_b64 s[34:35], vcc
	s_cbranch_execz .LBB90_29
; %bb.28:                               ;   in Loop: Header=BB90_3 Depth=1
	v_lshlrev_b64 v[3:4], 2, v[3:4]
	v_mov_b32_e32 v6, s23
	v_add_co_u32_e32 v5, vcc, s22, v3
	v_addc_co_u32_e32 v6, vcc, v6, v4, vcc
	v_mov_b32_e32 v7, s21
	v_add_co_u32_e32 v3, vcc, s20, v3
	v_addc_co_u32_e32 v4, vcc, v7, v4, vcc
	global_load_dword v60, v[3:4], off
	global_load_dword v59, v[5:6], off
.LBB90_29:                              ;   in Loop: Header=BB90_3 Depth=1
	s_or_b64 exec, exec, s[34:35]
.LBB90_30:                              ;   in Loop: Header=BB90_3 Depth=1
	s_or_b64 exec, exec, s[8:9]
	v_mov_b32_e32 v9, v2
	v_mov_b32_e32 v3, v2
	v_mov_b32_e32 v4, v2
	v_mov_b32_e32 v5, v2
	v_mov_b32_e32 v6, v2
	v_mov_b32_e32 v7, v2
	v_mov_b32_e32 v8, v2
	v_mov_b32_e32 v18, v9
	v_mov_b32_e32 v17, v8
	v_mov_b32_e32 v16, v7
	v_mov_b32_e32 v15, v6
	v_mov_b32_e32 v14, v5
	v_mov_b32_e32 v13, v4
	v_mov_b32_e32 v12, v3
	v_mov_b32_e32 v11, v2
	v_mov_b32_e32 v10, v9
	v_mov_b32_e32 v9, v8
	v_mov_b32_e32 v8, v7
	v_mov_b32_e32 v7, v6
	v_mov_b32_e32 v6, v5
	v_mov_b32_e32 v5, v4
	v_mov_b32_e32 v4, v3
	v_mov_b32_e32 v3, v2
	s_and_saveexec_b64 s[8:9], s[2:3]
	s_cbranch_execnz .LBB90_42
; %bb.31:                               ;   in Loop: Header=BB90_3 Depth=1
	s_or_b64 exec, exec, s[8:9]
	s_and_saveexec_b64 s[8:9], s[2:3]
	s_cbranch_execnz .LBB90_43
.LBB90_32:                              ;   in Loop: Header=BB90_3 Depth=1
	s_or_b64 exec, exec, s[8:9]
	s_and_saveexec_b64 s[8:9], s[2:3]
	s_cbranch_execnz .LBB90_44
.LBB90_33:                              ;   in Loop: Header=BB90_3 Depth=1
	s_or_b64 exec, exec, s[8:9]
	s_and_saveexec_b64 s[8:9], s[2:3]
	s_cbranch_execnz .LBB90_45
.LBB90_34:                              ;   in Loop: Header=BB90_3 Depth=1
	s_or_b64 exec, exec, s[8:9]
	s_and_saveexec_b64 s[8:9], s[2:3]
	s_cbranch_execnz .LBB90_46
.LBB90_35:                              ;   in Loop: Header=BB90_3 Depth=1
	s_or_b64 exec, exec, s[8:9]
	s_and_saveexec_b64 s[8:9], s[2:3]
	s_cbranch_execnz .LBB90_47
.LBB90_36:                              ;   in Loop: Header=BB90_3 Depth=1
	s_or_b64 exec, exec, s[8:9]
	s_and_saveexec_b64 s[8:9], s[2:3]
	s_cbranch_execnz .LBB90_48
.LBB90_37:                              ;   in Loop: Header=BB90_3 Depth=1
	s_or_b64 exec, exec, s[8:9]
	s_and_saveexec_b64 s[8:9], s[2:3]
	s_cbranch_execz .LBB90_39
.LBB90_38:                              ;   in Loop: Header=BB90_3 Depth=1
	v_add_co_u32_e32 v57, vcc, v26, v19
	v_addc_co_u32_e32 v58, vcc, v27, v20, vcc
	global_load_ushort v10, v[57:58], off
	v_add_co_u32_e32 v57, vcc, v28, v19
	v_addc_co_u32_e32 v58, vcc, v29, v20, vcc
	global_load_ushort v18, v[57:58], off
	s_waitcnt vmcnt(1)
	v_cvt_f32_f16_e32 v10, v10
	s_waitcnt vmcnt(0)
	v_cvt_f32_f16_e32 v18, v18
.LBB90_39:                              ;   in Loop: Header=BB90_3 Depth=1
	s_or_b64 exec, exec, s[8:9]
	s_waitcnt vmcnt(1)
	ds_bpermute_b32 v57, v55, v60
	s_waitcnt vmcnt(0)
	ds_bpermute_b32 v58, v55, v59
	ds_bpermute_b32 v61, v55, v60 offset:4
	ds_bpermute_b32 v62, v55, v59 offset:4
	v_add_f32_e32 v54, v54, v3
	s_waitcnt lgkmcnt(3)
	v_sub_f32_e32 v11, v11, v57
	v_mul_f32_e32 v3, v3, v11
	s_waitcnt lgkmcnt(2)
	v_fmac_f32_e32 v56, v3, v58
	s_waitcnt lgkmcnt(1)
	v_sub_f32_e32 v3, v12, v61
	ds_bpermute_b32 v11, v55, v60 offset:8
	v_mul_f32_e32 v3, v4, v3
	s_waitcnt lgkmcnt(1)
	v_fmac_f32_e32 v56, v3, v62
	ds_bpermute_b32 v3, v55, v59 offset:8
	ds_bpermute_b32 v12, v55, v60 offset:12
	s_waitcnt lgkmcnt(2)
	v_sub_f32_e32 v11, v13, v11
	v_mul_f32_e32 v11, v5, v11
	v_add_f32_e32 v4, v4, v54
	s_waitcnt lgkmcnt(1)
	v_fmac_f32_e32 v56, v11, v3
	ds_bpermute_b32 v3, v55, v59 offset:12
	v_add_f32_e32 v4, v5, v4
	s_waitcnt lgkmcnt(1)
	v_sub_f32_e32 v5, v14, v12
	ds_bpermute_b32 v11, v55, v60 offset:16
	v_mul_f32_e32 v5, v6, v5
	s_waitcnt lgkmcnt(1)
	v_fmac_f32_e32 v56, v5, v3
	ds_bpermute_b32 v3, v55, v59 offset:16
	v_add_f32_e32 v4, v6, v4
	s_waitcnt lgkmcnt(1)
	v_sub_f32_e32 v5, v15, v11
	ds_bpermute_b32 v6, v55, v60 offset:20
	v_mul_f32_e32 v5, v7, v5
	;; [unrolled: 8-line block ×3, first 2 shown]
	s_waitcnt lgkmcnt(1)
	v_fmac_f32_e32 v56, v5, v3
	ds_bpermute_b32 v5, v55, v59 offset:24
	v_add_f32_e32 v3, v8, v4
	ds_bpermute_b32 v59, v55, v59 offset:28
	ds_bpermute_b32 v4, v55, v60 offset:28
	s_waitcnt lgkmcnt(3)
	v_sub_f32_e32 v6, v17, v6
	v_mul_f32_e32 v6, v9, v6
	s_waitcnt lgkmcnt(2)
	v_fmac_f32_e32 v56, v6, v5
	v_add_f32_e32 v5, v9, v3
	v_mov_b32_e32 v3, v56
.LBB90_40:                              ;   in Loop: Header=BB90_3 Depth=1
	s_waitcnt lgkmcnt(0)
	v_sub_f32_e32 v4, v18, v4
	v_mul_f32_e32 v4, v10, v4
	v_fmac_f32_e32 v3, v4, v59
	v_mov_b32_e32 v4, s27
	v_add_co_u32_e32 v22, vcc, s26, v22
	v_addc_co_u32_e32 v23, vcc, v23, v4, vcc
	v_add_co_u32_e32 v24, vcc, s26, v24
	v_addc_co_u32_e32 v25, vcc, v25, v4, vcc
	;; [unrolled: 2-line block ×15, first 2 shown]
	v_add_co_u32_e32 v52, vcc, s26, v52
	v_add_f32_e32 v54, v5, v10
	s_add_u32 s30, s30, s7
	v_addc_co_u32_e32 v53, vcc, v53, v4, vcc
	v_mov_b32_e32 v4, s12
	s_addc_u32 s31, s31, 0
	v_mov_b32_e32 v5, s13
	v_cmp_lt_i64_e32 vcc, s[30:31], v[4:5]
	s_add_u32 s28, s28, s7
	s_addc_u32 s29, s29, 0
	s_cbranch_vccz .LBB90_50
; %bb.41:                               ;   in Loop: Header=BB90_3 Depth=1
	v_mov_b32_e32 v56, v3
	s_branch .LBB90_3
.LBB90_42:                              ;   in Loop: Header=BB90_3 Depth=1
	v_add_co_u32_e32 v3, vcc, v22, v19
	v_addc_co_u32_e32 v4, vcc, v23, v20, vcc
	global_load_ushort v11, v[3:4], off
	v_add_co_u32_e32 v3, vcc, v24, v19
	v_addc_co_u32_e32 v4, vcc, v25, v20, vcc
	global_load_ushort v15, v[3:4], off
	v_mov_b32_e32 v4, v2
	v_mov_b32_e32 v5, v2
	;; [unrolled: 1-line block ×13, first 2 shown]
	s_waitcnt vmcnt(1)
	v_cvt_f32_f16_e32 v3, v11
	s_waitcnt vmcnt(0)
	v_cvt_f32_f16_e32 v11, v15
	v_mov_b32_e32 v15, v2
	s_or_b64 exec, exec, s[8:9]
	s_and_saveexec_b64 s[8:9], s[2:3]
	s_cbranch_execz .LBB90_32
.LBB90_43:                              ;   in Loop: Header=BB90_3 Depth=1
	v_add_co_u32_e32 v57, vcc, v50, v19
	v_addc_co_u32_e32 v58, vcc, v51, v20, vcc
	global_load_ushort v4, v[57:58], off
	v_add_co_u32_e32 v57, vcc, v52, v19
	v_addc_co_u32_e32 v58, vcc, v53, v20, vcc
	global_load_ushort v12, v[57:58], off
	s_waitcnt vmcnt(1)
	v_cvt_f32_f16_e32 v4, v4
	s_waitcnt vmcnt(0)
	v_cvt_f32_f16_e32 v12, v12
	s_or_b64 exec, exec, s[8:9]
	s_and_saveexec_b64 s[8:9], s[2:3]
	s_cbranch_execz .LBB90_33
.LBB90_44:                              ;   in Loop: Header=BB90_3 Depth=1
	v_add_co_u32_e32 v57, vcc, v46, v19
	v_addc_co_u32_e32 v58, vcc, v47, v20, vcc
	global_load_ushort v5, v[57:58], off
	v_add_co_u32_e32 v57, vcc, v48, v19
	v_addc_co_u32_e32 v58, vcc, v49, v20, vcc
	global_load_ushort v13, v[57:58], off
	s_waitcnt vmcnt(1)
	v_cvt_f32_f16_e32 v5, v5
	s_waitcnt vmcnt(0)
	v_cvt_f32_f16_e32 v13, v13
	s_or_b64 exec, exec, s[8:9]
	s_and_saveexec_b64 s[8:9], s[2:3]
	s_cbranch_execz .LBB90_34
.LBB90_45:                              ;   in Loop: Header=BB90_3 Depth=1
	v_add_co_u32_e32 v57, vcc, v42, v19
	v_addc_co_u32_e32 v58, vcc, v43, v20, vcc
	global_load_ushort v6, v[57:58], off
	v_add_co_u32_e32 v57, vcc, v44, v19
	v_addc_co_u32_e32 v58, vcc, v45, v20, vcc
	global_load_ushort v14, v[57:58], off
	s_waitcnt vmcnt(1)
	v_cvt_f32_f16_e32 v6, v6
	s_waitcnt vmcnt(0)
	v_cvt_f32_f16_e32 v14, v14
	s_or_b64 exec, exec, s[8:9]
	s_and_saveexec_b64 s[8:9], s[2:3]
	s_cbranch_execz .LBB90_35
.LBB90_46:                              ;   in Loop: Header=BB90_3 Depth=1
	v_add_co_u32_e32 v57, vcc, v38, v19
	v_addc_co_u32_e32 v58, vcc, v39, v20, vcc
	global_load_ushort v7, v[57:58], off
	v_add_co_u32_e32 v57, vcc, v40, v19
	v_addc_co_u32_e32 v58, vcc, v41, v20, vcc
	global_load_ushort v15, v[57:58], off
	s_waitcnt vmcnt(1)
	v_cvt_f32_f16_e32 v7, v7
	s_waitcnt vmcnt(0)
	v_cvt_f32_f16_e32 v15, v15
	s_or_b64 exec, exec, s[8:9]
	s_and_saveexec_b64 s[8:9], s[2:3]
	s_cbranch_execz .LBB90_36
.LBB90_47:                              ;   in Loop: Header=BB90_3 Depth=1
	v_add_co_u32_e32 v57, vcc, v34, v19
	v_addc_co_u32_e32 v58, vcc, v35, v20, vcc
	global_load_ushort v8, v[57:58], off
	v_add_co_u32_e32 v57, vcc, v36, v19
	v_addc_co_u32_e32 v58, vcc, v37, v20, vcc
	global_load_ushort v16, v[57:58], off
	s_waitcnt vmcnt(1)
	v_cvt_f32_f16_e32 v8, v8
	s_waitcnt vmcnt(0)
	v_cvt_f32_f16_e32 v16, v16
	s_or_b64 exec, exec, s[8:9]
	s_and_saveexec_b64 s[8:9], s[2:3]
	s_cbranch_execz .LBB90_37
.LBB90_48:                              ;   in Loop: Header=BB90_3 Depth=1
	v_add_co_u32_e32 v57, vcc, v30, v19
	v_addc_co_u32_e32 v58, vcc, v31, v20, vcc
	global_load_ushort v9, v[57:58], off
	v_add_co_u32_e32 v57, vcc, v32, v19
	v_addc_co_u32_e32 v58, vcc, v33, v20, vcc
	global_load_ushort v17, v[57:58], off
	s_waitcnt vmcnt(1)
	v_cvt_f32_f16_e32 v9, v9
	s_waitcnt vmcnt(0)
	v_cvt_f32_f16_e32 v17, v17
	s_or_b64 exec, exec, s[8:9]
	s_and_saveexec_b64 s[8:9], s[2:3]
	s_cbranch_execnz .LBB90_38
	s_branch .LBB90_39
.LBB90_49:
                                        ; implicit-def: $vgpr3
                                        ; implicit-def: $vgpr54
	s_branch .LBB90_51
.LBB90_50:
	s_cbranch_execnz .LBB90_83
.LBB90_51:
	v_mov_b32_e32 v3, 0
	s_and_b64 vcc, exec, s[0:1]
	v_mov_b32_e32 v54, 0
	s_cbranch_vccnz .LBB90_83
; %bb.52:
	v_lshlrev_b32_e32 v49, 3, v1
	v_add_co_u32_e32 v6, vcc, s10, v49
	v_addc_co_u32_e64 v7, s[0:1], 0, 0, vcc
	s_load_dword s7, s[4:5], 0x44
	v_mul_lo_u32 v2, s15, v6
	v_mul_lo_u32 v3, s14, v7
	v_mad_u64_u32 v[4:5], s[0:1], s14, v6, 0
	s_add_u32 s2, s4, 64
	s_addc_u32 s3, s5, 0
	v_add3_u32 v5, v5, v3, v2
	s_waitcnt lgkmcnt(0)
	s_lshl_b32 s7, s7, 7
	v_lshlrev_b64 v[2:3], 1, v[4:5]
	s_mul_i32 s0, s15, s7
	s_mul_hi_u32 s1, s14, s7
	v_mov_b32_e32 v8, s17
	v_add_co_u32_e32 v50, vcc, s16, v2
	s_add_i32 s1, s1, s0
	s_mul_i32 s0, s14, s7
	v_addc_co_u32_e32 v51, vcc, v8, v3, vcc
	s_lshl_b64 s[8:9], s[0:1], 1
	v_mov_b32_e32 v8, s19
	v_add_co_u32_e32 v52, vcc, s18, v2
	s_add_u32 s24, s10, 0x7f
	v_addc_co_u32_e32 v53, vcc, v8, v3, vcc
	s_addc_u32 s25, 0, 0
	v_lshlrev_b32_e32 v2, 4, v1
	s_lshl_b64 s[0:1], s[10:11], 1
	v_mov_b32_e32 v3, s1
	v_add_co_u32_e32 v8, vcc, s0, v2
	v_addc_co_u32_e32 v9, vcc, 0, v3, vcc
	v_add_co_u32_e32 v12, vcc, 2, v8
	v_addc_co_u32_e32 v10, vcc, 0, v9, vcc
	v_mov_b32_e32 v2, s16
	v_mul_lo_u32 v14, s14, v10
	v_mov_b32_e32 v10, s18
	v_mov_b32_e32 v3, s17
	;; [unrolled: 1-line block ×3, first 2 shown]
	v_mad_u64_u32 v[19:20], s[0:1], s14, v12, v[2:3]
	v_mul_lo_u32 v15, s15, v12
	v_mad_u64_u32 v[21:22], s[0:1], s14, v12, v[10:11]
	v_add_co_u32_e32 v12, vcc, 4, v8
	v_addc_co_u32_e32 v16, vcc, 0, v9, vcc
	v_mov_b32_e32 v13, s15
	v_add_co_u32_e32 v4, vcc, s14, v4
	v_addc_co_u32_e32 v5, vcc, v5, v13, vcc
	v_mul_lo_u32 v17, s15, v12
	v_mad_u64_u32 v[23:24], s[0:1], s14, v12, v[2:3]
	v_mad_u64_u32 v[25:26], s[0:1], s14, v12, v[10:11]
	v_add_co_u32_e32 v12, vcc, 6, v8
	v_addc_co_u32_e32 v13, vcc, 0, v9, vcc
	v_add3_u32 v20, v15, v20, v14
	v_add3_u32 v22, v15, v22, v14
	v_mul_lo_u32 v13, s14, v13
	v_mul_lo_u32 v14, s15, v12
	v_mad_u64_u32 v[27:28], s[0:1], s14, v12, v[2:3]
	v_mad_u64_u32 v[29:30], s[0:1], s14, v12, v[10:11]
	v_add_co_u32_e32 v12, vcc, 8, v8
	v_mul_lo_u32 v16, s14, v16
	v_addc_co_u32_e32 v15, vcc, 0, v9, vcc
	v_mul_lo_u32 v18, s15, v12
	v_mad_u64_u32 v[31:32], s[0:1], s14, v12, v[2:3]
	v_mad_u64_u32 v[33:34], s[0:1], s14, v12, v[10:11]
	v_add_co_u32_e32 v12, vcc, 10, v8
	v_add3_u32 v28, v14, v28, v13
	v_add3_u32 v30, v14, v30, v13
	v_addc_co_u32_e32 v13, vcc, 0, v9, vcc
	v_mul_lo_u32 v14, s15, v12
	v_mad_u64_u32 v[35:36], s[0:1], s14, v12, v[2:3]
	v_mad_u64_u32 v[37:38], s[0:1], s14, v12, v[10:11]
	v_add_co_u32_e32 v12, vcc, 12, v8
	v_add3_u32 v24, v17, v24, v16
	v_add3_u32 v26, v17, v26, v16
	v_addc_co_u32_e32 v16, vcc, 0, v9, vcc
	v_add_co_u32_e32 v8, vcc, 14, v8
	v_addc_co_u32_e32 v9, vcc, 0, v9, vcc
	v_mad_u64_u32 v[39:40], s[0:1], s14, v12, v[2:3]
	v_mad_u64_u32 v[43:44], s[0:1], s14, v8, v[2:3]
	v_add_co_u32_e32 v2, vcc, 7, v6
	v_addc_co_u32_e32 v3, vcc, 0, v7, vcc
	v_mad_u64_u32 v[41:42], s[0:1], s14, v12, v[10:11]
	v_mad_u64_u32 v[45:46], s[0:1], s14, v8, v[10:11]
	v_mul_lo_u32 v10, s14, v3
	v_mul_lo_u32 v11, s15, v2
	v_mad_u64_u32 v[2:3], s[0:1], s14, v2, 0
	v_mul_lo_u32 v9, s14, v9
	v_mul_lo_u32 v8, s15, v8
	v_add3_u32 v3, v3, v10, v11
	v_lshlrev_b64 v[2:3], 1, v[2:3]
	v_mul_lo_u32 v17, s15, v12
	v_add3_u32 v44, v8, v44, v9
	v_add3_u32 v46, v8, v46, v9
	v_mov_b32_e32 v8, s17
	v_add_co_u32_e32 v55, vcc, s16, v2
	v_addc_co_u32_e32 v56, vcc, v8, v3, vcc
	v_add_co_u32_e32 v8, vcc, 6, v6
	v_addc_co_u32_e32 v9, vcc, 0, v7, vcc
	v_mul_lo_u32 v11, s14, v9
	v_mul_lo_u32 v12, s15, v8
	v_mad_u64_u32 v[8:9], s[0:1], s14, v8, 0
	v_mov_b32_e32 v10, s19
	v_add_co_u32_e32 v57, vcc, s18, v2
	v_add3_u32 v9, v9, v11, v12
	v_addc_co_u32_e32 v58, vcc, v10, v3, vcc
	v_lshlrev_b64 v[2:3], 1, v[8:9]
	v_mov_b32_e32 v8, s17
	v_add_co_u32_e32 v59, vcc, s16, v2
	v_addc_co_u32_e32 v60, vcc, v8, v3, vcc
	v_add_co_u32_e32 v8, vcc, 5, v6
	v_addc_co_u32_e32 v9, vcc, 0, v7, vcc
	v_mul_lo_u32 v11, s14, v9
	v_mul_lo_u32 v12, s15, v8
	v_mad_u64_u32 v[8:9], s[0:1], s14, v8, 0
	v_add_co_u32_e32 v61, vcc, s18, v2
	v_add3_u32 v9, v9, v11, v12
	v_addc_co_u32_e32 v62, vcc, v10, v3, vcc
	v_lshlrev_b64 v[2:3], 1, v[8:9]
	v_mov_b32_e32 v8, s17
	v_add_co_u32_e32 v63, vcc, s16, v2
	v_addc_co_u32_e32 v64, vcc, v8, v3, vcc
	v_add_co_u32_e32 v8, vcc, 4, v6
	v_addc_co_u32_e32 v9, vcc, 0, v7, vcc
	v_mul_lo_u32 v11, s14, v9
	v_mul_lo_u32 v12, s15, v8
	v_mad_u64_u32 v[8:9], s[0:1], s14, v8, 0
	;; [unrolled: 12-line block ×4, first 2 shown]
	v_mov_b32_e32 v8, s19
	v_add_co_u32_e32 v73, vcc, s18, v2
	v_add3_u32 v7, v7, v9, v10
	v_addc_co_u32_e32 v74, vcc, v8, v3, vcc
	v_lshlrev_b64 v[2:3], 1, v[6:7]
	v_mov_b32_e32 v6, s17
	v_add_co_u32_e32 v75, vcc, s16, v2
	v_addc_co_u32_e32 v76, vcc, v6, v3, vcc
	v_mov_b32_e32 v6, s19
	v_add_co_u32_e32 v77, vcc, s18, v2
	v_addc_co_u32_e32 v78, vcc, v6, v3, vcc
	v_lshlrev_b64 v[2:3], 1, v[4:5]
	v_mov_b32_e32 v4, s17
	v_add_co_u32_e32 v79, vcc, s16, v2
	v_addc_co_u32_e32 v80, vcc, v4, v3, vcc
	v_mov_b32_e32 v4, s19
	v_add_co_u32_e32 v81, vcc, s18, v2
	v_mov_b32_e32 v2, 0
	v_mul_lo_u32 v15, s14, v15
	v_mul_lo_u32 v13, s14, v13
	;; [unrolled: 1-line block ×3, first 2 shown]
	v_addc_co_u32_e32 v82, vcc, v4, v3, vcc
	v_add_u32_e32 v3, s33, v0
	v_mov_b32_e32 v4, v2
	v_lshlrev_b64 v[47:48], 1, v[3:4]
	v_mbcnt_lo_u32_b32 v3, -1, 0
	v_mbcnt_hi_u32_b32 v3, -1, v3
	v_lshlrev_b32_e32 v3, 2, v3
	v_add3_u32 v32, v18, v32, v15
	v_add3_u32 v34, v18, v34, v15
	;; [unrolled: 1-line block ×6, first 2 shown]
	v_and_b32_e32 v83, 0x100, v3
	v_mov_b32_e32 v85, 0
	v_mov_b32_e32 v84, 0
.LBB90_53:                              ; =>This Inner Loop Header: Depth=1
	v_mov_b32_e32 v3, s12
	v_mov_b32_e32 v4, s13
	v_cmp_ge_i64_e32 vcc, s[24:25], v[3:4]
	v_mov_b32_e32 v3, s25
	v_add_co_u32_e64 v86, s[0:1], s24, v49
	v_addc_co_u32_e64 v87, s[0:1], 0, v3, s[0:1]
	s_mov_b64 s[0:1], -1
                                        ; implicit-def: $vgpr54
                                        ; implicit-def: $vgpr3
	s_cbranch_vccz .LBB90_75
; %bb.54:                               ;   in Loop: Header=BB90_53 Depth=1
	s_load_dword s0, s[2:3], 0xc
	v_mov_b32_e32 v54, 0
	v_mov_b32_e32 v88, 0
	s_waitcnt lgkmcnt(0)
	s_and_b32 s0, s0, 0xffff
	v_mad_u32_u24 v3, v1, s0, v0
	v_and_b32_e32 v3, 63, v3
	v_cmp_gt_u32_e32 vcc, 8, v3
	s_and_saveexec_b64 s[0:1], vcc
	s_cbranch_execz .LBB90_58
; %bb.55:                               ;   in Loop: Header=BB90_53 Depth=1
	v_add_co_u32_e32 v3, vcc, v86, v3
	v_addc_co_u32_e32 v4, vcc, 0, v87, vcc
	v_add_co_u32_e32 v3, vcc, 0xffffff81, v3
	v_addc_co_u32_e32 v4, vcc, -1, v4, vcc
	v_cmp_gt_i64_e32 vcc, s[12:13], v[3:4]
	v_mov_b32_e32 v88, 0
	v_mov_b32_e32 v54, 0
	s_and_saveexec_b64 s[16:17], vcc
	s_cbranch_execz .LBB90_57
; %bb.56:                               ;   in Loop: Header=BB90_53 Depth=1
	v_lshlrev_b64 v[3:4], 2, v[3:4]
	v_mov_b32_e32 v6, s23
	v_add_co_u32_e32 v5, vcc, s22, v3
	v_addc_co_u32_e32 v6, vcc, v6, v4, vcc
	v_mov_b32_e32 v7, s21
	v_add_co_u32_e32 v3, vcc, s20, v3
	v_addc_co_u32_e32 v4, vcc, v7, v4, vcc
	global_load_dword v88, v[3:4], off
	global_load_dword v54, v[5:6], off
.LBB90_57:                              ;   in Loop: Header=BB90_53 Depth=1
	s_or_b64 exec, exec, s[16:17]
.LBB90_58:                              ;   in Loop: Header=BB90_53 Depth=1
	s_or_b64 exec, exec, s[0:1]
	v_add_co_u32_e32 v3, vcc, 0xffffff81, v86
	v_addc_co_u32_e32 v4, vcc, -1, v87, vcc
	v_mov_b32_e32 v9, v2
	v_cmp_gt_i64_e32 vcc, s[12:13], v[3:4]
	v_mov_b32_e32 v3, v2
	v_mov_b32_e32 v4, v2
	;; [unrolled: 1-line block ×22, first 2 shown]
	s_and_saveexec_b64 s[0:1], vcc
	s_cbranch_execz .LBB90_60
; %bb.59:                               ;   in Loop: Header=BB90_53 Depth=1
	v_add_co_u32_e32 v3, vcc, v50, v47
	v_addc_co_u32_e32 v4, vcc, v51, v48, vcc
	global_load_ushort v11, v[3:4], off
	v_add_co_u32_e32 v3, vcc, v52, v47
	v_addc_co_u32_e32 v4, vcc, v53, v48, vcc
	global_load_ushort v15, v[3:4], off
	v_mov_b32_e32 v4, v2
	v_mov_b32_e32 v5, v2
	;; [unrolled: 1-line block ×13, first 2 shown]
	s_waitcnt vmcnt(1)
	v_cvt_f32_f16_e32 v3, v11
	s_waitcnt vmcnt(0)
	v_cvt_f32_f16_e32 v11, v15
	v_mov_b32_e32 v15, v2
.LBB90_60:                              ;   in Loop: Header=BB90_53 Depth=1
	s_or_b64 exec, exec, s[0:1]
	v_add_co_u32_e32 v89, vcc, 0xffffff82, v86
	v_addc_co_u32_e32 v90, vcc, -1, v87, vcc
	v_cmp_gt_i64_e32 vcc, s[12:13], v[89:90]
	s_and_saveexec_b64 s[0:1], vcc
	s_cbranch_execz .LBB90_62
; %bb.61:                               ;   in Loop: Header=BB90_53 Depth=1
	v_add_co_u32_e32 v89, vcc, v79, v47
	v_addc_co_u32_e32 v90, vcc, v80, v48, vcc
	global_load_ushort v4, v[89:90], off
	v_add_co_u32_e32 v89, vcc, v81, v47
	v_addc_co_u32_e32 v90, vcc, v82, v48, vcc
	global_load_ushort v12, v[89:90], off
	s_waitcnt vmcnt(1)
	v_cvt_f32_f16_e32 v4, v4
	s_waitcnt vmcnt(0)
	v_cvt_f32_f16_e32 v12, v12
.LBB90_62:                              ;   in Loop: Header=BB90_53 Depth=1
	s_or_b64 exec, exec, s[0:1]
	v_add_co_u32_e32 v89, vcc, 0xffffff83, v86
	v_addc_co_u32_e32 v90, vcc, -1, v87, vcc
	v_cmp_gt_i64_e32 vcc, s[12:13], v[89:90]
	s_and_saveexec_b64 s[0:1], vcc
	s_cbranch_execz .LBB90_64
; %bb.63:                               ;   in Loop: Header=BB90_53 Depth=1
	v_add_co_u32_e32 v89, vcc, v75, v47
	v_addc_co_u32_e32 v90, vcc, v76, v48, vcc
	global_load_ushort v5, v[89:90], off
	v_add_co_u32_e32 v89, vcc, v77, v47
	v_addc_co_u32_e32 v90, vcc, v78, v48, vcc
	global_load_ushort v13, v[89:90], off
	s_waitcnt vmcnt(1)
	v_cvt_f32_f16_e32 v5, v5
	s_waitcnt vmcnt(0)
	v_cvt_f32_f16_e32 v13, v13
.LBB90_64:                              ;   in Loop: Header=BB90_53 Depth=1
	;; [unrolled: 18-line block ×7, first 2 shown]
	s_or_b64 exec, exec, s[0:1]
	s_waitcnt vmcnt(1)
	ds_bpermute_b32 v89, v83, v88
	ds_bpermute_b32 v92, v83, v88 offset:4
	s_waitcnt vmcnt(0)
	ds_bpermute_b32 v90, v83, v54
	ds_bpermute_b32 v93, v83, v54 offset:4
	v_add_f32_e32 v91, v85, v3
	s_waitcnt lgkmcnt(3)
	v_sub_f32_e32 v11, v11, v89
	v_mul_f32_e32 v3, v3, v11
	s_waitcnt lgkmcnt(2)
	v_sub_f32_e32 v11, v12, v92
	ds_bpermute_b32 v12, v83, v88 offset:8
	s_waitcnt lgkmcnt(2)
	v_fma_f32 v3, v3, v90, v84
	v_mul_f32_e32 v11, v4, v11
	s_waitcnt lgkmcnt(1)
	v_fmac_f32_e32 v3, v11, v93
	ds_bpermute_b32 v11, v83, v54 offset:8
	s_waitcnt lgkmcnt(1)
	v_sub_f32_e32 v12, v13, v12
	ds_bpermute_b32 v13, v83, v88 offset:12
	v_mul_f32_e32 v12, v5, v12
	v_add_f32_e32 v4, v4, v91
	s_waitcnt lgkmcnt(1)
	v_fmac_f32_e32 v3, v12, v11
	ds_bpermute_b32 v11, v83, v54 offset:12
	v_add_f32_e32 v4, v5, v4
	s_waitcnt lgkmcnt(1)
	v_sub_f32_e32 v5, v14, v13
	ds_bpermute_b32 v12, v83, v88 offset:16
	v_mul_f32_e32 v5, v6, v5
	s_waitcnt lgkmcnt(1)
	v_fmac_f32_e32 v3, v5, v11
	ds_bpermute_b32 v5, v83, v54 offset:16
	v_add_f32_e32 v4, v6, v4
	s_waitcnt lgkmcnt(1)
	v_sub_f32_e32 v6, v15, v12
	ds_bpermute_b32 v11, v83, v88 offset:20
	v_mul_f32_e32 v6, v7, v6
	s_waitcnt lgkmcnt(1)
	v_fmac_f32_e32 v3, v6, v5
	ds_bpermute_b32 v5, v83, v54 offset:20
	v_add_f32_e32 v4, v7, v4
	ds_bpermute_b32 v7, v83, v88 offset:24
	s_waitcnt lgkmcnt(2)
	v_sub_f32_e32 v6, v16, v11
	v_mul_f32_e32 v6, v8, v6
	s_waitcnt lgkmcnt(1)
	v_fmac_f32_e32 v3, v6, v5
	ds_bpermute_b32 v5, v83, v54 offset:24
	s_waitcnt lgkmcnt(1)
	v_sub_f32_e32 v6, v17, v7
	ds_bpermute_b32 v7, v83, v88 offset:28
	v_add_f32_e32 v4, v8, v4
	ds_bpermute_b32 v8, v83, v54 offset:28
	v_mul_f32_e32 v6, v9, v6
	s_waitcnt lgkmcnt(2)
	v_fmac_f32_e32 v3, v6, v5
	s_waitcnt lgkmcnt(1)
	v_sub_f32_e32 v5, v18, v7
	v_add_f32_e32 v4, v9, v4
	v_mul_f32_e32 v5, v10, v5
	s_waitcnt lgkmcnt(0)
	v_fmac_f32_e32 v3, v5, v8
	v_add_f32_e32 v54, v10, v4
	s_mov_b64 s[0:1], 0
.LBB90_75:                              ;   in Loop: Header=BB90_53 Depth=1
	s_and_b64 vcc, exec, s[0:1]
	s_cbranch_vccz .LBB90_81
; %bb.76:                               ;   in Loop: Header=BB90_53 Depth=1
	s_load_dword s0, s[2:3], 0x0
	v_mov_b32_e32 v5, 0
	v_mov_b32_e32 v6, 0
	s_waitcnt lgkmcnt(0)
	s_cmp_lt_u32 s6, s0
	s_cselect_b32 s0, 12, 18
	s_add_u32 s0, s2, s0
	s_addc_u32 s1, s3, 0
	global_load_ushort v3, v2, s[0:1]
	s_waitcnt vmcnt(0)
	v_mad_u32_u24 v3, v1, v3, v0
	v_and_b32_e32 v3, 63, v3
	v_cmp_gt_u32_e32 vcc, 8, v3
	s_and_saveexec_b64 s[0:1], vcc
	s_cbranch_execz .LBB90_80
; %bb.77:                               ;   in Loop: Header=BB90_53 Depth=1
	v_add_co_u32_e32 v3, vcc, v86, v3
	v_addc_co_u32_e32 v4, vcc, 0, v87, vcc
	v_add_co_u32_e32 v3, vcc, 0xffffff81, v3
	v_addc_co_u32_e32 v4, vcc, -1, v4, vcc
	v_cmp_gt_i64_e32 vcc, s[12:13], v[3:4]
	v_mov_b32_e32 v6, 0
	v_mov_b32_e32 v5, 0
	s_and_saveexec_b64 s[16:17], vcc
	s_cbranch_execz .LBB90_79
; %bb.78:                               ;   in Loop: Header=BB90_53 Depth=1
	v_lshlrev_b64 v[3:4], 2, v[3:4]
	v_mov_b32_e32 v5, s23
	v_add_co_u32_e32 v7, vcc, s22, v3
	v_addc_co_u32_e32 v8, vcc, v5, v4, vcc
	v_mov_b32_e32 v5, s21
	v_add_co_u32_e32 v3, vcc, s20, v3
	v_addc_co_u32_e32 v4, vcc, v5, v4, vcc
	global_load_dword v6, v[3:4], off
	global_load_dword v5, v[7:8], off
.LBB90_79:                              ;   in Loop: Header=BB90_53 Depth=1
	s_or_b64 exec, exec, s[16:17]
.LBB90_80:                              ;   in Loop: Header=BB90_53 Depth=1
	s_or_b64 exec, exec, s[0:1]
	v_add_co_u32_e32 v3, vcc, v50, v47
	v_addc_co_u32_e32 v4, vcc, v51, v48, vcc
	global_load_ushort v7, v[3:4], off
	v_add_co_u32_e32 v3, vcc, v52, v47
	v_addc_co_u32_e32 v4, vcc, v53, v48, vcc
	global_load_ushort v8, v[3:4], off
	;; [unrolled: 3-line block ×16, first 2 shown]
	s_waitcnt vmcnt(16)
	ds_bpermute_b32 v88, v83, v5
	s_waitcnt vmcnt(15)
	v_cvt_f32_f16_e32 v4, v7
	s_waitcnt vmcnt(14)
	v_cvt_f32_f16_e32 v7, v8
	;; [unrolled: 2-line block ×13, first 2 shown]
	ds_bpermute_b32 v54, v83, v6
	s_waitcnt vmcnt(2)
	v_cvt_f32_f16_e32 v86, v86
	s_waitcnt lgkmcnt(0)
	v_sub_f32_e32 v7, v7, v54
	ds_bpermute_b32 v54, v83, v6 offset:4
	v_mul_f32_e32 v7, v7, v4
	v_fmac_f32_e32 v84, v7, v88
	ds_bpermute_b32 v7, v83, v5 offset:4
	v_add_f32_e32 v4, v85, v4
	s_waitcnt lgkmcnt(1)
	v_sub_f32_e32 v9, v9, v54
	ds_bpermute_b32 v54, v83, v6 offset:8
	v_mul_f32_e32 v9, v9, v8
	s_waitcnt lgkmcnt(1)
	v_fmac_f32_e32 v84, v9, v7
	ds_bpermute_b32 v7, v83, v5 offset:8
	v_add_f32_e32 v4, v4, v8
	s_waitcnt lgkmcnt(1)
	v_sub_f32_e32 v8, v11, v54
	ds_bpermute_b32 v9, v83, v6 offset:12
	v_mul_f32_e32 v8, v8, v10
	s_waitcnt lgkmcnt(1)
	v_fmac_f32_e32 v84, v8, v7
	ds_bpermute_b32 v7, v83, v5 offset:12
	s_waitcnt vmcnt(0)
	v_cvt_f32_f16_e32 v3, v3
	s_waitcnt lgkmcnt(1)
	v_sub_f32_e32 v8, v13, v9
	ds_bpermute_b32 v9, v83, v6 offset:16
	v_mul_f32_e32 v8, v8, v12
	s_waitcnt lgkmcnt(1)
	v_fmac_f32_e32 v84, v8, v7
	ds_bpermute_b32 v7, v83, v5 offset:16
	v_cvt_f32_f16_e32 v87, v87
	s_waitcnt lgkmcnt(1)
	v_sub_f32_e32 v8, v15, v9
	ds_bpermute_b32 v9, v83, v6 offset:20
	v_mul_f32_e32 v8, v8, v14
	s_waitcnt lgkmcnt(1)
	v_fmac_f32_e32 v84, v8, v7
	ds_bpermute_b32 v7, v83, v5 offset:20
	v_add_f32_e32 v4, v4, v10
	s_waitcnt lgkmcnt(1)
	v_sub_f32_e32 v8, v17, v9
	ds_bpermute_b32 v9, v83, v6 offset:24
	v_mul_f32_e32 v8, v8, v16
	ds_bpermute_b32 v6, v83, v6 offset:28
	s_waitcnt lgkmcnt(2)
	v_fmac_f32_e32 v84, v8, v7
	ds_bpermute_b32 v7, v83, v5 offset:24
	ds_bpermute_b32 v5, v83, v5 offset:28
	v_add_f32_e32 v4, v4, v12
	s_waitcnt lgkmcnt(3)
	v_sub_f32_e32 v8, v86, v9
	v_add_f32_e32 v4, v4, v14
	v_mul_f32_e32 v8, v8, v18
	s_waitcnt lgkmcnt(2)
	v_sub_f32_e32 v3, v3, v6
	v_add_f32_e32 v4, v4, v16
	s_waitcnt lgkmcnt(1)
	v_fmac_f32_e32 v84, v8, v7
	v_mul_f32_e32 v3, v3, v87
	v_add_f32_e32 v4, v4, v18
	s_waitcnt lgkmcnt(0)
	v_fmac_f32_e32 v84, v3, v5
	v_add_f32_e32 v54, v4, v87
	v_mov_b32_e32 v3, v84
.LBB90_81:                              ;   in Loop: Header=BB90_53 Depth=1
	v_mov_b32_e32 v6, s9
	v_add_co_u32_e32 v50, vcc, s8, v50
	v_addc_co_u32_e32 v51, vcc, v51, v6, vcc
	v_add_co_u32_e32 v52, vcc, s8, v52
	v_addc_co_u32_e32 v53, vcc, v53, v6, vcc
	;; [unrolled: 2-line block ×28, first 2 shown]
	s_add_u32 s10, s10, s7
	v_add_co_u32_e32 v79, vcc, s8, v79
	v_mov_b32_e32 v4, s12
	s_addc_u32 s11, s11, 0
	v_addc_co_u32_e32 v80, vcc, v80, v6, vcc
	v_mov_b32_e32 v5, s13
	v_cmp_ge_i64_e32 vcc, s[10:11], v[4:5]
	s_add_u32 s24, s24, s7
	v_add_co_u32_e64 v81, s[0:1], s8, v81
	s_addc_u32 s25, s25, 0
	v_addc_co_u32_e64 v82, s[0:1], v82, v6, s[0:1]
	s_cbranch_vccnz .LBB90_83
; %bb.82:                               ;   in Loop: Header=BB90_53 Depth=1
	v_mov_b32_e32 v85, v54
	v_mov_b32_e32 v84, v3
	s_branch .LBB90_53
.LBB90_83:
	v_mad_u32_u24 v2, v1, 33, v0
	v_lshl_add_u32 v4, v2, 2, 0
	ds_write_b32 v4, v3
	ds_write_b32 v4, v54 offset:2112
	v_sub_u32_e32 v3, v2, v1
	s_movk_i32 s0, 0x800
	v_cmp_gt_u32_e32 vcc, s0, v3
	s_waitcnt lgkmcnt(0)
	s_barrier
	s_and_saveexec_b64 s[0:1], vcc
	s_cbranch_execz .LBB90_115
; %bb.84:
	s_load_dwordx4 s[8:11], s[4:5], 0x30
	v_and_b32_e32 v1, 63, v3
	v_lshrrev_b32_e32 v2, 6, v3
	v_cmp_gt_u32_e64 s[0:1], 16, v1
	v_mul_u32_u24_e32 v4, 33, v1
                                        ; implicit-def: $vgpr1
                                        ; implicit-def: $vgpr6
	s_and_saveexec_b64 s[2:3], s[0:1]
	s_cbranch_execz .LBB90_86
; %bb.85:
	v_add_u32_e32 v1, v2, v4
	v_lshl_add_u32 v1, v1, 2, 0
	ds_read_b32 v6, v1
	ds_read_b32 v1, v1 offset:2112
.LBB90_86:
	s_or_b64 exec, exec, s[2:3]
	v_mbcnt_lo_u32_b32 v5, -1, 0
	v_mbcnt_hi_u32_b32 v8, -1, v5
	v_and_b32_e32 v5, 64, v8
	v_add_u32_e32 v9, 64, v5
	v_xor_b32_e32 v5, 8, v8
	v_cmp_lt_i32_e32 vcc, v5, v9
	v_cndmask_b32_e32 v5, v8, v5, vcc
	v_lshlrev_b32_e32 v5, 2, v5
	s_waitcnt lgkmcnt(0)
	ds_bpermute_b32 v7, v5, v6
	v_xor_b32_e32 v10, 4, v8
	v_cmp_lt_i32_e32 vcc, v10, v9
	ds_bpermute_b32 v11, v5, v1
	v_cmp_eq_u32_e64 s[2:3], 0, v0
	s_waitcnt lgkmcnt(1)
	v_add_f32_e32 v7, v6, v7
	v_cndmask_b32_e32 v6, v8, v10, vcc
	v_lshlrev_b32_e32 v6, 2, v6
	ds_bpermute_b32 v10, v6, v7
	s_waitcnt lgkmcnt(1)
	v_add_f32_e32 v1, v1, v11
	ds_bpermute_b32 v11, v6, v1
	s_mov_b32 s7, 0
	s_lshl_b64 s[4:5], s[6:7], 5
	s_waitcnt lgkmcnt(1)
	v_add_f32_e32 v10, v7, v10
	v_xor_b32_e32 v7, 2, v8
	v_cmp_lt_i32_e32 vcc, v7, v9
	v_cndmask_b32_e32 v7, v8, v7, vcc
	v_lshlrev_b32_e32 v7, 2, v7
	ds_bpermute_b32 v12, v7, v10
	s_waitcnt lgkmcnt(1)
	v_add_f32_e32 v0, v1, v11
	v_xor_b32_e32 v11, 1, v8
	v_cmp_lt_i32_e32 vcc, v11, v9
	v_cndmask_b32_e32 v8, v8, v11, vcc
	s_waitcnt lgkmcnt(0)
	v_add_f32_e32 v1, v10, v12
	ds_bpermute_b32 v10, v7, v0
	v_lshlrev_b32_e32 v8, 2, v8
	ds_bpermute_b32 v9, v8, v1
	s_cmp_lg_u64 s[8:9], 0
	s_cselect_b64 s[12:13], -1, 0
	s_waitcnt lgkmcnt(1)
	v_add_f32_e32 v10, v0, v10
	ds_bpermute_b32 v11, v8, v10
	s_waitcnt lgkmcnt(1)
	v_add_f32_e32 v9, v1, v9
	v_or_b32_e32 v0, s4, v2
	v_mov_b32_e32 v1, s5
	v_cmp_gt_i64_e32 vcc, s[14:15], v[0:1]
	s_cmp_lg_u64 s[10:11], 0
	s_cselect_b64 s[6:7], -1, 0
	s_waitcnt lgkmcnt(0)
	v_add_f32_e32 v10, v10, v11
	s_and_b64 s[18:19], s[2:3], vcc
	s_and_saveexec_b64 s[16:17], s[18:19]
	s_cbranch_execz .LBB90_91
; %bb.87:
	v_lshlrev_b64 v[0:1], 1, v[0:1]
	s_andn2_b64 vcc, exec, s[12:13]
	s_cbranch_vccnz .LBB90_89
; %bb.88:
	v_cvt_f16_f32_e32 v13, v9
	v_mov_b32_e32 v12, s9
	v_add_co_u32_e32 v11, vcc, s8, v0
	v_addc_co_u32_e32 v12, vcc, v12, v1, vcc
	global_store_short v[11:12], v13, off
.LBB90_89:
	s_andn2_b64 vcc, exec, s[6:7]
	s_cbranch_vccnz .LBB90_91
; %bb.90:
	v_cvt_f16_f32_e32 v12, v10
	v_mov_b32_e32 v11, s11
	v_add_co_u32_e32 v0, vcc, s10, v0
	v_addc_co_u32_e32 v1, vcc, v11, v1, vcc
	global_store_short v[0:1], v12, off
.LBB90_91:
	s_or_b64 exec, exec, s[16:17]
	s_movk_i32 s16, 0x600
	v_cmp_gt_u32_e32 vcc, s16, v3
	s_and_b64 exec, exec, vcc
	s_cbranch_execz .LBB90_115
; %bb.92:
	s_and_saveexec_b64 s[16:17], s[0:1]
	s_cbranch_execz .LBB90_94
; %bb.93:
	v_add_u32_e32 v0, v2, v4
	v_lshl_add_u32 v0, v0, 2, 0
	ds_read_b32 v9, v0 offset:32
	ds_read_b32 v10, v0 offset:2144
.LBB90_94:
	s_or_b64 exec, exec, s[16:17]
	s_waitcnt lgkmcnt(1)
	ds_bpermute_b32 v0, v5, v9
	s_waitcnt lgkmcnt(1)
	ds_bpermute_b32 v1, v5, v10
	v_add_u32_e32 v11, 8, v2
	v_mov_b32_e32 v12, s5
	s_waitcnt lgkmcnt(1)
	v_add_f32_e32 v0, v9, v0
	s_waitcnt lgkmcnt(0)
	v_add_f32_e32 v1, v10, v1
	ds_bpermute_b32 v9, v6, v0
	ds_bpermute_b32 v10, v6, v1
	s_waitcnt lgkmcnt(1)
	v_add_f32_e32 v0, v0, v9
	s_waitcnt lgkmcnt(0)
	v_add_f32_e32 v1, v1, v10
	ds_bpermute_b32 v9, v7, v0
	ds_bpermute_b32 v10, v7, v1
	;; [unrolled: 6-line block ×3, first 2 shown]
	v_add_co_u32_e32 v0, vcc, s4, v11
	v_addc_co_u32_e32 v1, vcc, 0, v12, vcc
	v_cmp_gt_i64_e32 vcc, s[14:15], v[0:1]
	s_waitcnt lgkmcnt(1)
	v_add_f32_e32 v0, v9, v13
	s_waitcnt lgkmcnt(0)
	v_add_f32_e32 v1, v10, v14
	s_and_b64 s[18:19], s[2:3], vcc
	s_and_saveexec_b64 s[16:17], s[18:19]
	s_cbranch_execz .LBB90_99
; %bb.95:
	s_andn2_b64 vcc, exec, s[12:13]
	s_cbranch_vccnz .LBB90_97
; %bb.96:
	v_mov_b32_e32 v10, s5
	v_add_co_u32_e32 v9, vcc, s4, v2
	v_addc_co_u32_e32 v10, vcc, 0, v10, vcc
	v_lshlrev_b64 v[9:10], 1, v[9:10]
	v_cvt_f16_f32_e32 v12, v0
	v_mov_b32_e32 v11, s9
	v_add_co_u32_e32 v9, vcc, s8, v9
	v_addc_co_u32_e32 v10, vcc, v11, v10, vcc
	global_store_short v[9:10], v12, off offset:16
.LBB90_97:
	s_andn2_b64 vcc, exec, s[6:7]
	s_cbranch_vccnz .LBB90_99
; %bb.98:
	v_mov_b32_e32 v10, s5
	v_add_co_u32_e32 v9, vcc, s4, v2
	v_addc_co_u32_e32 v10, vcc, 0, v10, vcc
	v_lshlrev_b64 v[9:10], 1, v[9:10]
	v_cvt_f16_f32_e32 v12, v1
	v_mov_b32_e32 v11, s11
	v_add_co_u32_e32 v9, vcc, s10, v9
	v_addc_co_u32_e32 v10, vcc, v11, v10, vcc
	global_store_short v[9:10], v12, off offset:16
.LBB90_99:
	s_or_b64 exec, exec, s[16:17]
	s_movk_i32 s16, 0x400
	v_cmp_gt_u32_e32 vcc, s16, v3
	s_and_b64 exec, exec, vcc
	s_cbranch_execz .LBB90_115
; %bb.100:
	s_and_saveexec_b64 s[16:17], s[0:1]
	s_cbranch_execz .LBB90_102
; %bb.101:
	v_add_u32_e32 v0, v2, v4
	v_lshl_add_u32 v1, v0, 2, 0
	ds_read_b32 v0, v1 offset:64
	ds_read_b32 v1, v1 offset:2176
.LBB90_102:
	s_or_b64 exec, exec, s[16:17]
	s_waitcnt lgkmcnt(1)
	ds_bpermute_b32 v9, v5, v0
	s_waitcnt lgkmcnt(1)
	ds_bpermute_b32 v10, v5, v1
	v_add_u32_e32 v11, 16, v2
	s_waitcnt lgkmcnt(1)
	v_add_f32_e32 v0, v0, v9
	s_waitcnt lgkmcnt(0)
	v_add_f32_e32 v1, v1, v10
	ds_bpermute_b32 v9, v6, v0
	ds_bpermute_b32 v10, v6, v1
	s_waitcnt lgkmcnt(1)
	v_add_f32_e32 v0, v0, v9
	s_waitcnt lgkmcnt(0)
	v_add_f32_e32 v1, v1, v10
	ds_bpermute_b32 v9, v7, v0
	ds_bpermute_b32 v10, v7, v1
	;; [unrolled: 6-line block ×3, first 2 shown]
	v_mov_b32_e32 v1, s5
	v_or_b32_e32 v0, s4, v11
	v_cmp_gt_i64_e32 vcc, s[14:15], v[0:1]
	s_waitcnt lgkmcnt(1)
	v_add_f32_e32 v0, v9, v12
	s_waitcnt lgkmcnt(0)
	v_add_f32_e32 v1, v10, v13
	s_and_b64 s[18:19], s[2:3], vcc
	s_and_saveexec_b64 s[16:17], s[18:19]
	s_cbranch_execz .LBB90_107
; %bb.103:
	s_andn2_b64 vcc, exec, s[12:13]
	s_cbranch_vccnz .LBB90_105
; %bb.104:
	v_mov_b32_e32 v10, s5
	v_add_co_u32_e32 v9, vcc, s4, v2
	v_addc_co_u32_e32 v10, vcc, 0, v10, vcc
	v_lshlrev_b64 v[9:10], 1, v[9:10]
	v_cvt_f16_f32_e32 v12, v0
	v_mov_b32_e32 v11, s9
	v_add_co_u32_e32 v9, vcc, s8, v9
	v_addc_co_u32_e32 v10, vcc, v11, v10, vcc
	global_store_short v[9:10], v12, off offset:32
.LBB90_105:
	s_andn2_b64 vcc, exec, s[6:7]
	s_cbranch_vccnz .LBB90_107
; %bb.106:
	v_mov_b32_e32 v10, s5
	v_add_co_u32_e32 v9, vcc, s4, v2
	v_addc_co_u32_e32 v10, vcc, 0, v10, vcc
	v_lshlrev_b64 v[9:10], 1, v[9:10]
	v_cvt_f16_f32_e32 v12, v1
	v_mov_b32_e32 v11, s11
	v_add_co_u32_e32 v9, vcc, s10, v9
	v_addc_co_u32_e32 v10, vcc, v11, v10, vcc
	global_store_short v[9:10], v12, off offset:32
.LBB90_107:
	s_or_b64 exec, exec, s[16:17]
	s_movk_i32 s16, 0x200
	v_cmp_gt_u32_e32 vcc, s16, v3
	s_and_b64 exec, exec, vcc
	s_cbranch_execz .LBB90_115
; %bb.108:
	s_and_saveexec_b64 s[16:17], s[0:1]
	s_cbranch_execz .LBB90_110
; %bb.109:
	v_add_u32_e32 v0, v2, v4
	v_lshl_add_u32 v1, v0, 2, 0
	ds_read_b32 v0, v1 offset:96
	ds_read_b32 v1, v1 offset:2208
.LBB90_110:
	s_or_b64 exec, exec, s[16:17]
	s_waitcnt lgkmcnt(1)
	ds_bpermute_b32 v3, v5, v0
	s_waitcnt lgkmcnt(1)
	ds_bpermute_b32 v4, v5, v1
	v_add_u32_e32 v5, 24, v2
	v_or_b32_e32 v5, s4, v5
	s_waitcnt lgkmcnt(1)
	v_add_f32_e32 v0, v0, v3
	s_waitcnt lgkmcnt(0)
	v_add_f32_e32 v1, v1, v4
	ds_bpermute_b32 v3, v6, v0
	ds_bpermute_b32 v4, v6, v1
	v_mov_b32_e32 v6, s5
	v_cmp_gt_i64_e32 vcc, s[14:15], v[5:6]
	s_waitcnt lgkmcnt(1)
	v_add_f32_e32 v0, v0, v3
	s_waitcnt lgkmcnt(0)
	v_add_f32_e32 v1, v1, v4
	ds_bpermute_b32 v3, v7, v0
	ds_bpermute_b32 v4, v7, v1
	s_and_b64 s[0:1], s[2:3], vcc
	s_waitcnt lgkmcnt(1)
	v_add_f32_e32 v3, v0, v3
	s_waitcnt lgkmcnt(0)
	v_add_f32_e32 v0, v1, v4
	ds_bpermute_b32 v4, v8, v3
	ds_bpermute_b32 v1, v8, v0
	s_and_b64 exec, exec, s[0:1]
	s_cbranch_execz .LBB90_115
; %bb.111:
	s_andn2_b64 vcc, exec, s[12:13]
	s_cbranch_vccnz .LBB90_113
; %bb.112:
	s_waitcnt lgkmcnt(1)
	v_add_f32_e32 v5, v3, v4
	v_mov_b32_e32 v4, s5
	v_add_co_u32_e32 v3, vcc, s4, v2
	v_addc_co_u32_e32 v4, vcc, 0, v4, vcc
	v_lshlrev_b64 v[3:4], 1, v[3:4]
	v_cvt_f16_f32_e32 v5, v5
	v_mov_b32_e32 v6, s9
	v_add_co_u32_e32 v3, vcc, s8, v3
	v_addc_co_u32_e32 v4, vcc, v6, v4, vcc
	global_store_short v[3:4], v5, off offset:48
.LBB90_113:
	s_andn2_b64 vcc, exec, s[6:7]
	s_cbranch_vccnz .LBB90_115
; %bb.114:
	s_waitcnt lgkmcnt(0)
	v_add_f32_e32 v3, v0, v1
	v_mov_b32_e32 v1, s5
	v_add_co_u32_e32 v0, vcc, s4, v2
	v_addc_co_u32_e32 v1, vcc, 0, v1, vcc
	v_lshlrev_b64 v[0:1], 1, v[0:1]
	v_cvt_f16_f32_e32 v3, v3
	v_mov_b32_e32 v2, s11
	v_add_co_u32_e32 v0, vcc, s10, v0
	v_addc_co_u32_e32 v1, vcc, v2, v1, vcc
	global_store_short v[0:1], v3, off offset:48
.LBB90_115:
	s_endpgm
	.section	.rodata,"a",@progbits
	.p2align	6, 0x0
	.amdhsa_kernel _ZN2at6native12_GLOBAL__N_135GammaBetaBackwardCUDAKernelTemplateIN3c104HalfEfLj32ELj16ELj128ELb0ELb0ELb0EEEvllPKT_S7_PKT0_SA_PS5_SB_
		.amdhsa_group_segment_fixed_size 0
		.amdhsa_private_segment_fixed_size 0
		.amdhsa_kernarg_size 320
		.amdhsa_user_sgpr_count 6
		.amdhsa_user_sgpr_private_segment_buffer 1
		.amdhsa_user_sgpr_dispatch_ptr 0
		.amdhsa_user_sgpr_queue_ptr 0
		.amdhsa_user_sgpr_kernarg_segment_ptr 1
		.amdhsa_user_sgpr_dispatch_id 0
		.amdhsa_user_sgpr_flat_scratch_init 0
		.amdhsa_user_sgpr_private_segment_size 0
		.amdhsa_uses_dynamic_stack 0
		.amdhsa_system_sgpr_private_segment_wavefront_offset 0
		.amdhsa_system_sgpr_workgroup_id_x 1
		.amdhsa_system_sgpr_workgroup_id_y 1
		.amdhsa_system_sgpr_workgroup_id_z 0
		.amdhsa_system_sgpr_workgroup_info 0
		.amdhsa_system_vgpr_workitem_id 1
		.amdhsa_next_free_vgpr 94
		.amdhsa_next_free_sgpr 36
		.amdhsa_reserve_vcc 1
		.amdhsa_reserve_flat_scratch 0
		.amdhsa_float_round_mode_32 0
		.amdhsa_float_round_mode_16_64 0
		.amdhsa_float_denorm_mode_32 3
		.amdhsa_float_denorm_mode_16_64 3
		.amdhsa_dx10_clamp 1
		.amdhsa_ieee_mode 1
		.amdhsa_fp16_overflow 0
		.amdhsa_exception_fp_ieee_invalid_op 0
		.amdhsa_exception_fp_denorm_src 0
		.amdhsa_exception_fp_ieee_div_zero 0
		.amdhsa_exception_fp_ieee_overflow 0
		.amdhsa_exception_fp_ieee_underflow 0
		.amdhsa_exception_fp_ieee_inexact 0
		.amdhsa_exception_int_div_zero 0
	.end_amdhsa_kernel
	.section	.text._ZN2at6native12_GLOBAL__N_135GammaBetaBackwardCUDAKernelTemplateIN3c104HalfEfLj32ELj16ELj128ELb0ELb0ELb0EEEvllPKT_S7_PKT0_SA_PS5_SB_,"axG",@progbits,_ZN2at6native12_GLOBAL__N_135GammaBetaBackwardCUDAKernelTemplateIN3c104HalfEfLj32ELj16ELj128ELb0ELb0ELb0EEEvllPKT_S7_PKT0_SA_PS5_SB_,comdat
.Lfunc_end90:
	.size	_ZN2at6native12_GLOBAL__N_135GammaBetaBackwardCUDAKernelTemplateIN3c104HalfEfLj32ELj16ELj128ELb0ELb0ELb0EEEvllPKT_S7_PKT0_SA_PS5_SB_, .Lfunc_end90-_ZN2at6native12_GLOBAL__N_135GammaBetaBackwardCUDAKernelTemplateIN3c104HalfEfLj32ELj16ELj128ELb0ELb0ELb0EEEvllPKT_S7_PKT0_SA_PS5_SB_
                                        ; -- End function
	.set _ZN2at6native12_GLOBAL__N_135GammaBetaBackwardCUDAKernelTemplateIN3c104HalfEfLj32ELj16ELj128ELb0ELb0ELb0EEEvllPKT_S7_PKT0_SA_PS5_SB_.num_vgpr, 94
	.set _ZN2at6native12_GLOBAL__N_135GammaBetaBackwardCUDAKernelTemplateIN3c104HalfEfLj32ELj16ELj128ELb0ELb0ELb0EEEvllPKT_S7_PKT0_SA_PS5_SB_.num_agpr, 0
	.set _ZN2at6native12_GLOBAL__N_135GammaBetaBackwardCUDAKernelTemplateIN3c104HalfEfLj32ELj16ELj128ELb0ELb0ELb0EEEvllPKT_S7_PKT0_SA_PS5_SB_.numbered_sgpr, 36
	.set _ZN2at6native12_GLOBAL__N_135GammaBetaBackwardCUDAKernelTemplateIN3c104HalfEfLj32ELj16ELj128ELb0ELb0ELb0EEEvllPKT_S7_PKT0_SA_PS5_SB_.num_named_barrier, 0
	.set _ZN2at6native12_GLOBAL__N_135GammaBetaBackwardCUDAKernelTemplateIN3c104HalfEfLj32ELj16ELj128ELb0ELb0ELb0EEEvllPKT_S7_PKT0_SA_PS5_SB_.private_seg_size, 0
	.set _ZN2at6native12_GLOBAL__N_135GammaBetaBackwardCUDAKernelTemplateIN3c104HalfEfLj32ELj16ELj128ELb0ELb0ELb0EEEvllPKT_S7_PKT0_SA_PS5_SB_.uses_vcc, 1
	.set _ZN2at6native12_GLOBAL__N_135GammaBetaBackwardCUDAKernelTemplateIN3c104HalfEfLj32ELj16ELj128ELb0ELb0ELb0EEEvllPKT_S7_PKT0_SA_PS5_SB_.uses_flat_scratch, 0
	.set _ZN2at6native12_GLOBAL__N_135GammaBetaBackwardCUDAKernelTemplateIN3c104HalfEfLj32ELj16ELj128ELb0ELb0ELb0EEEvllPKT_S7_PKT0_SA_PS5_SB_.has_dyn_sized_stack, 0
	.set _ZN2at6native12_GLOBAL__N_135GammaBetaBackwardCUDAKernelTemplateIN3c104HalfEfLj32ELj16ELj128ELb0ELb0ELb0EEEvllPKT_S7_PKT0_SA_PS5_SB_.has_recursion, 0
	.set _ZN2at6native12_GLOBAL__N_135GammaBetaBackwardCUDAKernelTemplateIN3c104HalfEfLj32ELj16ELj128ELb0ELb0ELb0EEEvllPKT_S7_PKT0_SA_PS5_SB_.has_indirect_call, 0
	.section	.AMDGPU.csdata,"",@progbits
; Kernel info:
; codeLenInByte = 8472
; TotalNumSgprs: 40
; NumVgprs: 94
; ScratchSize: 0
; MemoryBound: 0
; FloatMode: 240
; IeeeMode: 1
; LDSByteSize: 0 bytes/workgroup (compile time only)
; SGPRBlocks: 4
; VGPRBlocks: 23
; NumSGPRsForWavesPerEU: 40
; NumVGPRsForWavesPerEU: 94
; Occupancy: 2
; WaveLimiterHint : 0
; COMPUTE_PGM_RSRC2:SCRATCH_EN: 0
; COMPUTE_PGM_RSRC2:USER_SGPR: 6
; COMPUTE_PGM_RSRC2:TRAP_HANDLER: 0
; COMPUTE_PGM_RSRC2:TGID_X_EN: 1
; COMPUTE_PGM_RSRC2:TGID_Y_EN: 1
; COMPUTE_PGM_RSRC2:TGID_Z_EN: 0
; COMPUTE_PGM_RSRC2:TIDIG_COMP_CNT: 1
	.section	.text._ZN2at6native12_GLOBAL__N_135GammaBetaBackwardCUDAKernelTemplateIN3c104HalfEfLj32ELj32ELj256ELb0ELb1ELb0EEEvllPKT_S7_PKT0_SA_PS5_SB_,"axG",@progbits,_ZN2at6native12_GLOBAL__N_135GammaBetaBackwardCUDAKernelTemplateIN3c104HalfEfLj32ELj32ELj256ELb0ELb1ELb0EEEvllPKT_S7_PKT0_SA_PS5_SB_,comdat
	.globl	_ZN2at6native12_GLOBAL__N_135GammaBetaBackwardCUDAKernelTemplateIN3c104HalfEfLj32ELj32ELj256ELb0ELb1ELb0EEEvllPKT_S7_PKT0_SA_PS5_SB_ ; -- Begin function _ZN2at6native12_GLOBAL__N_135GammaBetaBackwardCUDAKernelTemplateIN3c104HalfEfLj32ELj32ELj256ELb0ELb1ELb0EEEvllPKT_S7_PKT0_SA_PS5_SB_
	.p2align	8
	.type	_ZN2at6native12_GLOBAL__N_135GammaBetaBackwardCUDAKernelTemplateIN3c104HalfEfLj32ELj32ELj256ELb0ELb1ELb0EEEvllPKT_S7_PKT0_SA_PS5_SB_,@function
_ZN2at6native12_GLOBAL__N_135GammaBetaBackwardCUDAKernelTemplateIN3c104HalfEfLj32ELj32ELj256ELb0ELb1ELb0EEEvllPKT_S7_PKT0_SA_PS5_SB_: ; @_ZN2at6native12_GLOBAL__N_135GammaBetaBackwardCUDAKernelTemplateIN3c104HalfEfLj32ELj32ELj256ELb0ELb1ELb0EEEvllPKT_S7_PKT0_SA_PS5_SB_
; %bb.0:
	s_load_dwordx4 s[20:23], s[4:5], 0x0
	s_lshl_b32 s24, s7, 8
	s_mov_b32 s25, 0
	v_mov_b32_e32 v2, s24
	v_mov_b32_e32 v3, s25
	s_waitcnt lgkmcnt(0)
	v_cmp_gt_i64_e32 vcc, s[20:21], v[2:3]
	s_cbranch_vccnz .LBB91_2
; %bb.1:
	s_mov_b64 s[0:1], 0
	s_branch .LBB91_3
.LBB91_2:
	s_mov_b64 s[0:1], -1
.LBB91_3:
	s_load_dwordx4 s[16:19], s[4:5], 0x30
	v_mov_b32_e32 v18, 0
	s_andn2_b64 vcc, exec, s[0:1]
	v_mbcnt_lo_u32_b32 v9, -1, 0
	v_mov_b32_e32 v6, 0
	s_cbranch_vccnz .LBB91_10
; %bb.4:
	s_load_dword s0, s[4:5], 0x4c
	s_load_dword s2, s[4:5], 0x44
	s_load_dwordx8 s[8:15], s[4:5], 0x10
	v_lshlrev_b32_e32 v2, 3, v1
	v_mbcnt_hi_u32_b32 v4, -1, v9
	v_lshlrev_b32_e32 v4, 2, v4
	v_add_co_u32_e32 v2, vcc, s24, v2
	v_and_b32_e32 v10, 0x100, v4
	s_waitcnt lgkmcnt(0)
	s_lshl_b32 s4, s2, 8
	v_addc_co_u32_e64 v4, s[2:3], 0, 0, vcc
	v_mul_lo_u32 v18, s23, v2
	v_mul_lo_u32 v19, s22, v4
	v_mad_u64_u32 v[7:8], s[2:3], s22, v2, 0
	s_and_b32 s0, s0, 0xffff
	v_mad_u32_u24 v3, v1, s0, v0
	v_and_b32_e32 v3, 63, v3
	v_mov_b32_e32 v6, 0
	v_lshl_add_u32 v5, s6, 5, v0
	v_add_co_u32_e32 v2, vcc, v2, v3
	v_add3_u32 v8, v8, v19, v18
	v_cmp_gt_u32_e64 s[0:1], 8, v3
	v_addc_co_u32_e32 v3, vcc, 0, v4, vcc
	v_lshlrev_b64 v[7:8], 1, v[7:8]
	v_lshlrev_b64 v[4:5], 1, v[5:6]
	s_mul_i32 s2, s23, s4
	v_add_co_u32_e32 v19, vcc, v7, v4
	s_mul_hi_u32 s3, s22, s4
	s_mov_b32 s5, 0
	v_addc_co_u32_e32 v20, vcc, v8, v5, vcc
	v_lshlrev_b64 v[4:5], 2, v[2:3]
	s_add_i32 s3, s3, s2
	s_mul_i32 s2, s22, s4
	v_or_b32_e32 v11, 4, v10
	v_or_b32_e32 v12, 8, v10
	;; [unrolled: 1-line block ×7, first 2 shown]
	s_lshl_b64 s[26:27], s[4:5], 2
	s_lshl_b64 s[28:29], s[2:3], 1
	s_lshl_b64 s[22:23], s[22:23], 1
	v_mov_b32_e32 v18, v6
	s_branch .LBB91_7
.LBB91_5:                               ;   in Loop: Header=BB91_7 Depth=1
	s_or_b64 exec, exec, s[30:31]
.LBB91_6:                               ;   in Loop: Header=BB91_7 Depth=1
	s_or_b64 exec, exec, s[2:3]
	v_mov_b32_e32 v7, s11
	v_add_co_u32_e32 v24, vcc, s10, v19
	v_addc_co_u32_e32 v25, vcc, v7, v20, vcc
	v_mov_b32_e32 v23, s23
	v_add_co_u32_e32 v7, vcc, s22, v24
	v_addc_co_u32_e32 v8, vcc, v25, v23, vcc
	global_load_ushort v28, v[24:25], off
	v_mov_b32_e32 v25, s9
	v_add_co_u32_e32 v24, vcc, s8, v19
	v_addc_co_u32_e32 v25, vcc, v25, v20, vcc
	v_add_co_u32_e32 v26, vcc, s22, v24
	global_load_ushort v24, v[24:25], off
	v_addc_co_u32_e32 v27, vcc, v25, v23, vcc
	s_add_u32 s24, s24, s4
	s_addc_u32 s25, s25, 0
	v_add_co_u32_e64 v19, s[2:3], s28, v19
	s_waitcnt vmcnt(1)
	v_cvt_f32_f16_e32 v25, v28
	ds_bpermute_b32 v28, v10, v22
	s_waitcnt lgkmcnt(0)
	v_sub_f32_e32 v25, v25, v28
	s_waitcnt vmcnt(0)
	v_cvt_f32_f16_e32 v24, v24
	v_add_f32_e32 v6, v6, v24
	v_mul_f32_e32 v24, v25, v24
	ds_bpermute_b32 v25, v10, v21
	s_waitcnt lgkmcnt(0)
	v_fmac_f32_e32 v18, v24, v25
	v_add_co_u32_e32 v24, vcc, s22, v7
	global_load_ushort v7, v[7:8], off
	v_addc_co_u32_e32 v25, vcc, v8, v23, vcc
	global_load_ushort v8, v[26:27], off
	v_add_co_u32_e32 v28, vcc, s22, v26
	ds_bpermute_b32 v26, v11, v22
	v_addc_co_u32_e32 v29, vcc, v27, v23, vcc
	s_waitcnt vmcnt(1)
	v_cvt_f32_f16_e32 v7, v7
	s_waitcnt lgkmcnt(0)
	v_sub_f32_e32 v26, v7, v26
	s_waitcnt vmcnt(0)
	v_cvt_f32_f16_e32 v7, v8
	v_mul_f32_e32 v8, v26, v7
	ds_bpermute_b32 v26, v11, v21
	v_add_f32_e32 v6, v6, v7
	s_waitcnt lgkmcnt(0)
	v_fmac_f32_e32 v18, v8, v26
	global_load_ushort v8, v[24:25], off
	v_add_co_u32_e32 v26, vcc, s22, v24
	v_addc_co_u32_e32 v27, vcc, v25, v23, vcc
	global_load_ushort v30, v[26:27], off
	v_add_co_u32_e32 v24, vcc, s22, v28
	global_load_ushort v28, v[28:29], off
	v_addc_co_u32_e32 v25, vcc, v29, v23, vcc
	ds_bpermute_b32 v29, v12, v22
	s_waitcnt vmcnt(2)
	v_cvt_f32_f16_e32 v8, v8
	s_waitcnt lgkmcnt(0)
	v_sub_f32_e32 v29, v8, v29
	s_waitcnt vmcnt(0)
	v_cvt_f32_f16_e32 v8, v28
	v_mul_f32_e32 v28, v29, v8
	ds_bpermute_b32 v29, v12, v21
	v_add_f32_e32 v6, v6, v8
	ds_bpermute_b32 v8, v17, v22
	s_waitcnt lgkmcnt(1)
	v_fmac_f32_e32 v18, v28, v29
	v_add_co_u32_e32 v28, vcc, s22, v26
	v_addc_co_u32_e32 v29, vcc, v27, v23, vcc
	v_add_co_u32_e32 v26, vcc, s22, v24
	global_load_ushort v24, v[24:25], off
	v_addc_co_u32_e32 v27, vcc, v25, v23, vcc
	v_cvt_f32_f16_e32 v25, v30
	ds_bpermute_b32 v30, v13, v22
	s_waitcnt lgkmcnt(0)
	v_sub_f32_e32 v25, v25, v30
	ds_bpermute_b32 v30, v13, v21
	s_waitcnt vmcnt(0)
	v_cvt_f32_f16_e32 v24, v24
	v_mul_f32_e32 v25, v25, v24
	s_waitcnt lgkmcnt(0)
	v_fmac_f32_e32 v18, v25, v30
	v_add_co_u32_e32 v30, vcc, s22, v28
	v_addc_co_u32_e32 v31, vcc, v29, v23, vcc
	global_load_ushort v25, v[28:29], off
	v_add_co_u32_e32 v28, vcc, s22, v26
	global_load_ushort v26, v[26:27], off
	v_addc_co_u32_e32 v29, vcc, v27, v23, vcc
	ds_bpermute_b32 v27, v14, v22
	v_add_f32_e32 v6, v6, v24
	s_waitcnt vmcnt(1)
	v_cvt_f32_f16_e32 v25, v25
	s_waitcnt vmcnt(0)
	v_cvt_f32_f16_e32 v32, v26
	ds_bpermute_b32 v26, v14, v21
	s_waitcnt lgkmcnt(1)
	v_sub_f32_e32 v25, v25, v27
	global_load_ushort v27, v[30:31], off
	v_mul_f32_e32 v25, v25, v32
	v_add_f32_e32 v6, v6, v32
	s_waitcnt lgkmcnt(0)
	v_fmac_f32_e32 v18, v25, v26
	v_add_co_u32_e32 v25, vcc, s22, v30
	v_addc_co_u32_e32 v26, vcc, v31, v23, vcc
	v_add_co_u32_e32 v30, vcc, s22, v28
	global_load_ushort v28, v[28:29], off
	v_addc_co_u32_e32 v31, vcc, v29, v23, vcc
	ds_bpermute_b32 v29, v15, v22
	global_load_ushort v33, v[25:26], off
	s_waitcnt vmcnt(2)
	v_cvt_f32_f16_e32 v27, v27
	s_waitcnt lgkmcnt(0)
	v_sub_f32_e32 v27, v27, v29
	s_waitcnt vmcnt(1)
	v_cvt_f32_f16_e32 v29, v28
	ds_bpermute_b32 v28, v15, v21
	v_mul_f32_e32 v27, v27, v29
	v_add_f32_e32 v6, v6, v29
	s_waitcnt lgkmcnt(0)
	v_fmac_f32_e32 v18, v27, v28
	v_add_co_u32_e32 v27, vcc, s22, v25
	v_addc_co_u32_e32 v28, vcc, v26, v23, vcc
	v_add_co_u32_e32 v25, vcc, s22, v30
	v_addc_co_u32_e32 v26, vcc, v31, v23, vcc
	global_load_ushort v23, v[30:31], off
	s_nop 0
	global_load_ushort v25, v[25:26], off
	s_nop 0
	global_load_ushort v26, v[27:28], off
	ds_bpermute_b32 v31, v16, v22
	s_waitcnt vmcnt(3)
	v_cvt_f32_f16_e32 v30, v33
	v_add_co_u32_e32 v4, vcc, s26, v4
	s_waitcnt lgkmcnt(0)
	v_sub_f32_e32 v30, v30, v31
	ds_bpermute_b32 v31, v16, v21
	ds_bpermute_b32 v21, v17, v21
	s_waitcnt vmcnt(2)
	v_cvt_f32_f16_e32 v23, v23
	s_waitcnt vmcnt(0)
	v_cvt_f32_f16_e32 v22, v26
	v_cvt_f32_f16_e32 v7, v25
	v_add_f32_e32 v6, v6, v23
	v_sub_f32_e32 v8, v22, v8
	v_mul_f32_e32 v30, v30, v23
	v_mul_f32_e32 v8, v8, v7
	v_add_f32_e32 v6, v6, v7
	v_mov_b32_e32 v7, s27
	s_waitcnt lgkmcnt(1)
	v_fmac_f32_e32 v18, v30, v31
	v_addc_co_u32_e32 v5, vcc, v5, v7, vcc
	s_waitcnt lgkmcnt(0)
	v_fmac_f32_e32 v18, v8, v21
	v_add_co_u32_e32 v2, vcc, s4, v2
	v_mov_b32_e32 v7, s20
	v_addc_co_u32_e32 v3, vcc, 0, v3, vcc
	v_mov_b32_e32 v8, s21
	v_cmp_lt_i64_e32 vcc, s[24:25], v[7:8]
	v_mov_b32_e32 v21, s29
	v_addc_co_u32_e64 v20, s[2:3], v20, v21, s[2:3]
	s_cbranch_vccz .LBB91_10
.LBB91_7:                               ; =>This Inner Loop Header: Depth=1
	v_mov_b32_e32 v21, 0
	v_mov_b32_e32 v22, 0
	s_and_saveexec_b64 s[2:3], s[0:1]
	s_cbranch_execz .LBB91_6
; %bb.8:                                ;   in Loop: Header=BB91_7 Depth=1
	v_cmp_gt_i64_e32 vcc, s[20:21], v[2:3]
	v_mov_b32_e32 v22, 0
	v_mov_b32_e32 v21, 0
	s_and_saveexec_b64 s[30:31], vcc
	s_cbranch_execz .LBB91_5
; %bb.9:                                ;   in Loop: Header=BB91_7 Depth=1
	v_mov_b32_e32 v8, s15
	v_add_co_u32_e32 v7, vcc, s14, v4
	v_addc_co_u32_e32 v8, vcc, v8, v5, vcc
	v_mov_b32_e32 v21, s13
	v_add_co_u32_e32 v23, vcc, s12, v4
	v_addc_co_u32_e32 v24, vcc, v21, v5, vcc
	global_load_dword v22, v[23:24], off
	global_load_dword v21, v[7:8], off
	s_branch .LBB91_5
.LBB91_10:
	v_mad_u32_u24 v2, v1, 33, v0
	v_sub_u32_e32 v4, v2, v1
	s_movk_i32 s0, 0x800
	v_lshl_add_u32 v3, v2, 2, 0
	v_cmp_gt_u32_e32 vcc, s0, v4
	ds_write_b32 v3, v18
	ds_write_b32 v3, v6 offset:4224
	s_waitcnt lgkmcnt(0)
	s_barrier
	s_and_saveexec_b64 s[0:1], vcc
	s_cbranch_execz .LBB91_26
; %bb.11:
	v_and_b32_e32 v1, 63, v4
	v_lshrrev_b32_e32 v2, 6, v4
	v_cmp_gt_u32_e64 s[0:1], 32, v1
	v_mul_u32_u24_e32 v3, 33, v1
                                        ; implicit-def: $vgpr1
                                        ; implicit-def: $vgpr6
	s_and_saveexec_b64 s[2:3], s[0:1]
	s_cbranch_execz .LBB91_13
; %bb.12:
	v_add_u32_e32 v1, v2, v3
	v_lshl_add_u32 v1, v1, 2, 0
	ds_read_b32 v6, v1
	ds_read_b32 v1, v1 offset:4224
.LBB91_13:
	s_or_b64 exec, exec, s[2:3]
	v_mbcnt_hi_u32_b32 v9, -1, v9
	v_and_b32_e32 v5, 64, v9
	v_add_u32_e32 v10, 64, v5
	v_xor_b32_e32 v5, 16, v9
	v_cmp_lt_i32_e32 vcc, v5, v10
	v_cndmask_b32_e32 v5, v9, v5, vcc
	v_lshlrev_b32_e32 v5, 2, v5
	s_waitcnt lgkmcnt(1)
	ds_bpermute_b32 v7, v5, v6
	s_waitcnt lgkmcnt(1)
	ds_bpermute_b32 v8, v5, v1
	v_cmp_eq_u32_e64 s[2:3], 0, v0
	s_mov_b32 s7, 0
	s_lshl_b64 s[4:5], s[6:7], 5
	s_waitcnt lgkmcnt(1)
	v_add_f32_e32 v7, v6, v7
	v_xor_b32_e32 v6, 8, v9
	v_cmp_lt_i32_e32 vcc, v6, v10
	v_cndmask_b32_e32 v6, v9, v6, vcc
	v_lshlrev_b32_e32 v6, 2, v6
	s_waitcnt lgkmcnt(0)
	v_add_f32_e32 v1, v1, v8
	ds_bpermute_b32 v8, v6, v7
	ds_bpermute_b32 v11, v6, v1
	s_cmp_lg_u64 s[16:17], 0
	s_cselect_b64 s[8:9], -1, 0
	s_cmp_lg_u64 s[18:19], 0
	s_waitcnt lgkmcnt(1)
	v_add_f32_e32 v8, v7, v8
	v_xor_b32_e32 v7, 4, v9
	v_cmp_lt_i32_e32 vcc, v7, v10
	v_cndmask_b32_e32 v7, v9, v7, vcc
	v_lshlrev_b32_e32 v7, 2, v7
	s_waitcnt lgkmcnt(0)
	v_add_f32_e32 v1, v1, v11
	ds_bpermute_b32 v11, v7, v8
	ds_bpermute_b32 v12, v7, v1
	s_cselect_b64 s[6:7], -1, 0
	s_waitcnt lgkmcnt(1)
	v_add_f32_e32 v11, v8, v11
	v_xor_b32_e32 v8, 2, v9
	v_cmp_lt_i32_e32 vcc, v8, v10
	v_cndmask_b32_e32 v8, v9, v8, vcc
	v_lshlrev_b32_e32 v8, 2, v8
	s_waitcnt lgkmcnt(0)
	v_add_f32_e32 v1, v1, v12
	ds_bpermute_b32 v12, v8, v11
	ds_bpermute_b32 v13, v8, v1
	s_waitcnt lgkmcnt(1)
	v_add_f32_e32 v0, v11, v12
	v_xor_b32_e32 v11, 1, v9
	v_cmp_lt_i32_e32 vcc, v11, v10
	v_cndmask_b32_e32 v9, v9, v11, vcc
	s_waitcnt lgkmcnt(0)
	v_add_f32_e32 v1, v1, v13
	v_lshlrev_b32_e32 v9, 2, v9
	ds_bpermute_b32 v10, v9, v0
	ds_bpermute_b32 v11, v9, v1
	s_waitcnt lgkmcnt(1)
	v_add_f32_e32 v10, v0, v10
	s_waitcnt lgkmcnt(0)
	v_add_f32_e32 v11, v1, v11
	s_and_saveexec_b64 s[10:11], s[2:3]
	s_cbranch_execz .LBB91_18
; %bb.14:
	v_mov_b32_e32 v1, s5
	v_or_b32_e32 v0, s4, v2
	v_lshlrev_b64 v[0:1], 1, v[0:1]
	s_andn2_b64 vcc, exec, s[8:9]
	s_cbranch_vccnz .LBB91_16
; %bb.15:
	v_cvt_f16_f32_e32 v14, v10
	v_mov_b32_e32 v13, s17
	v_add_co_u32_e32 v12, vcc, s16, v0
	v_addc_co_u32_e32 v13, vcc, v13, v1, vcc
	global_store_short v[12:13], v14, off
.LBB91_16:
	s_andn2_b64 vcc, exec, s[6:7]
	s_cbranch_vccnz .LBB91_18
; %bb.17:
	v_cvt_f16_f32_e32 v13, v11
	v_mov_b32_e32 v12, s19
	v_add_co_u32_e32 v0, vcc, s18, v0
	v_addc_co_u32_e32 v1, vcc, v12, v1, vcc
	global_store_short v[0:1], v13, off
.LBB91_18:
	s_or_b64 exec, exec, s[10:11]
	s_movk_i32 s10, 0x400
	v_cmp_gt_u32_e32 vcc, s10, v4
	s_and_b64 exec, exec, vcc
	s_cbranch_execz .LBB91_26
; %bb.19:
	s_and_saveexec_b64 s[10:11], s[0:1]
	s_cbranch_execz .LBB91_21
; %bb.20:
	v_add_u32_e32 v0, v2, v3
	v_lshl_add_u32 v0, v0, 2, 0
	ds_read_b32 v10, v0 offset:64
	ds_read_b32 v11, v0 offset:4288
.LBB91_21:
	s_or_b64 exec, exec, s[10:11]
	s_waitcnt lgkmcnt(1)
	ds_bpermute_b32 v0, v5, v10
	s_waitcnt lgkmcnt(1)
	ds_bpermute_b32 v1, v5, v11
	s_waitcnt lgkmcnt(1)
	v_add_f32_e32 v0, v10, v0
	s_waitcnt lgkmcnt(0)
	v_add_f32_e32 v1, v11, v1
	ds_bpermute_b32 v3, v6, v0
	ds_bpermute_b32 v4, v6, v1
	s_waitcnt lgkmcnt(1)
	v_add_f32_e32 v0, v0, v3
	s_waitcnt lgkmcnt(0)
	v_add_f32_e32 v1, v1, v4
	ds_bpermute_b32 v3, v7, v0
	;; [unrolled: 6-line block ×4, first 2 shown]
	ds_bpermute_b32 v1, v9, v0
	s_and_b64 exec, exec, s[2:3]
	s_cbranch_execz .LBB91_26
; %bb.22:
	s_andn2_b64 vcc, exec, s[8:9]
	s_cbranch_vccnz .LBB91_24
; %bb.23:
	s_waitcnt lgkmcnt(1)
	v_add_f32_e32 v5, v3, v4
	v_mov_b32_e32 v4, s5
	v_add_co_u32_e32 v3, vcc, s4, v2
	v_addc_co_u32_e32 v4, vcc, 0, v4, vcc
	v_lshlrev_b64 v[3:4], 1, v[3:4]
	v_cvt_f16_f32_e32 v5, v5
	v_mov_b32_e32 v6, s17
	v_add_co_u32_e32 v3, vcc, s16, v3
	v_addc_co_u32_e32 v4, vcc, v6, v4, vcc
	global_store_short v[3:4], v5, off offset:32
.LBB91_24:
	s_andn2_b64 vcc, exec, s[6:7]
	s_cbranch_vccnz .LBB91_26
; %bb.25:
	s_waitcnt lgkmcnt(0)
	v_add_f32_e32 v3, v0, v1
	v_mov_b32_e32 v1, s5
	v_add_co_u32_e32 v0, vcc, s4, v2
	v_addc_co_u32_e32 v1, vcc, 0, v1, vcc
	v_lshlrev_b64 v[0:1], 1, v[0:1]
	v_cvt_f16_f32_e32 v3, v3
	v_mov_b32_e32 v2, s19
	v_add_co_u32_e32 v0, vcc, s18, v0
	v_addc_co_u32_e32 v1, vcc, v2, v1, vcc
	global_store_short v[0:1], v3, off offset:32
.LBB91_26:
	s_endpgm
	.section	.rodata,"a",@progbits
	.p2align	6, 0x0
	.amdhsa_kernel _ZN2at6native12_GLOBAL__N_135GammaBetaBackwardCUDAKernelTemplateIN3c104HalfEfLj32ELj32ELj256ELb0ELb1ELb0EEEvllPKT_S7_PKT0_SA_PS5_SB_
		.amdhsa_group_segment_fixed_size 0
		.amdhsa_private_segment_fixed_size 0
		.amdhsa_kernarg_size 320
		.amdhsa_user_sgpr_count 6
		.amdhsa_user_sgpr_private_segment_buffer 1
		.amdhsa_user_sgpr_dispatch_ptr 0
		.amdhsa_user_sgpr_queue_ptr 0
		.amdhsa_user_sgpr_kernarg_segment_ptr 1
		.amdhsa_user_sgpr_dispatch_id 0
		.amdhsa_user_sgpr_flat_scratch_init 0
		.amdhsa_user_sgpr_private_segment_size 0
		.amdhsa_uses_dynamic_stack 0
		.amdhsa_system_sgpr_private_segment_wavefront_offset 0
		.amdhsa_system_sgpr_workgroup_id_x 1
		.amdhsa_system_sgpr_workgroup_id_y 1
		.amdhsa_system_sgpr_workgroup_id_z 0
		.amdhsa_system_sgpr_workgroup_info 0
		.amdhsa_system_vgpr_workitem_id 1
		.amdhsa_next_free_vgpr 34
		.amdhsa_next_free_sgpr 32
		.amdhsa_reserve_vcc 1
		.amdhsa_reserve_flat_scratch 0
		.amdhsa_float_round_mode_32 0
		.amdhsa_float_round_mode_16_64 0
		.amdhsa_float_denorm_mode_32 3
		.amdhsa_float_denorm_mode_16_64 3
		.amdhsa_dx10_clamp 1
		.amdhsa_ieee_mode 1
		.amdhsa_fp16_overflow 0
		.amdhsa_exception_fp_ieee_invalid_op 0
		.amdhsa_exception_fp_denorm_src 0
		.amdhsa_exception_fp_ieee_div_zero 0
		.amdhsa_exception_fp_ieee_overflow 0
		.amdhsa_exception_fp_ieee_underflow 0
		.amdhsa_exception_fp_ieee_inexact 0
		.amdhsa_exception_int_div_zero 0
	.end_amdhsa_kernel
	.section	.text._ZN2at6native12_GLOBAL__N_135GammaBetaBackwardCUDAKernelTemplateIN3c104HalfEfLj32ELj32ELj256ELb0ELb1ELb0EEEvllPKT_S7_PKT0_SA_PS5_SB_,"axG",@progbits,_ZN2at6native12_GLOBAL__N_135GammaBetaBackwardCUDAKernelTemplateIN3c104HalfEfLj32ELj32ELj256ELb0ELb1ELb0EEEvllPKT_S7_PKT0_SA_PS5_SB_,comdat
.Lfunc_end91:
	.size	_ZN2at6native12_GLOBAL__N_135GammaBetaBackwardCUDAKernelTemplateIN3c104HalfEfLj32ELj32ELj256ELb0ELb1ELb0EEEvllPKT_S7_PKT0_SA_PS5_SB_, .Lfunc_end91-_ZN2at6native12_GLOBAL__N_135GammaBetaBackwardCUDAKernelTemplateIN3c104HalfEfLj32ELj32ELj256ELb0ELb1ELb0EEEvllPKT_S7_PKT0_SA_PS5_SB_
                                        ; -- End function
	.set _ZN2at6native12_GLOBAL__N_135GammaBetaBackwardCUDAKernelTemplateIN3c104HalfEfLj32ELj32ELj256ELb0ELb1ELb0EEEvllPKT_S7_PKT0_SA_PS5_SB_.num_vgpr, 34
	.set _ZN2at6native12_GLOBAL__N_135GammaBetaBackwardCUDAKernelTemplateIN3c104HalfEfLj32ELj32ELj256ELb0ELb1ELb0EEEvllPKT_S7_PKT0_SA_PS5_SB_.num_agpr, 0
	.set _ZN2at6native12_GLOBAL__N_135GammaBetaBackwardCUDAKernelTemplateIN3c104HalfEfLj32ELj32ELj256ELb0ELb1ELb0EEEvllPKT_S7_PKT0_SA_PS5_SB_.numbered_sgpr, 32
	.set _ZN2at6native12_GLOBAL__N_135GammaBetaBackwardCUDAKernelTemplateIN3c104HalfEfLj32ELj32ELj256ELb0ELb1ELb0EEEvllPKT_S7_PKT0_SA_PS5_SB_.num_named_barrier, 0
	.set _ZN2at6native12_GLOBAL__N_135GammaBetaBackwardCUDAKernelTemplateIN3c104HalfEfLj32ELj32ELj256ELb0ELb1ELb0EEEvllPKT_S7_PKT0_SA_PS5_SB_.private_seg_size, 0
	.set _ZN2at6native12_GLOBAL__N_135GammaBetaBackwardCUDAKernelTemplateIN3c104HalfEfLj32ELj32ELj256ELb0ELb1ELb0EEEvllPKT_S7_PKT0_SA_PS5_SB_.uses_vcc, 1
	.set _ZN2at6native12_GLOBAL__N_135GammaBetaBackwardCUDAKernelTemplateIN3c104HalfEfLj32ELj32ELj256ELb0ELb1ELb0EEEvllPKT_S7_PKT0_SA_PS5_SB_.uses_flat_scratch, 0
	.set _ZN2at6native12_GLOBAL__N_135GammaBetaBackwardCUDAKernelTemplateIN3c104HalfEfLj32ELj32ELj256ELb0ELb1ELb0EEEvllPKT_S7_PKT0_SA_PS5_SB_.has_dyn_sized_stack, 0
	.set _ZN2at6native12_GLOBAL__N_135GammaBetaBackwardCUDAKernelTemplateIN3c104HalfEfLj32ELj32ELj256ELb0ELb1ELb0EEEvllPKT_S7_PKT0_SA_PS5_SB_.has_recursion, 0
	.set _ZN2at6native12_GLOBAL__N_135GammaBetaBackwardCUDAKernelTemplateIN3c104HalfEfLj32ELj32ELj256ELb0ELb1ELb0EEEvllPKT_S7_PKT0_SA_PS5_SB_.has_indirect_call, 0
	.section	.AMDGPU.csdata,"",@progbits
; Kernel info:
; codeLenInByte = 2040
; TotalNumSgprs: 36
; NumVgprs: 34
; ScratchSize: 0
; MemoryBound: 0
; FloatMode: 240
; IeeeMode: 1
; LDSByteSize: 0 bytes/workgroup (compile time only)
; SGPRBlocks: 4
; VGPRBlocks: 8
; NumSGPRsForWavesPerEU: 36
; NumVGPRsForWavesPerEU: 34
; Occupancy: 7
; WaveLimiterHint : 0
; COMPUTE_PGM_RSRC2:SCRATCH_EN: 0
; COMPUTE_PGM_RSRC2:USER_SGPR: 6
; COMPUTE_PGM_RSRC2:TRAP_HANDLER: 0
; COMPUTE_PGM_RSRC2:TGID_X_EN: 1
; COMPUTE_PGM_RSRC2:TGID_Y_EN: 1
; COMPUTE_PGM_RSRC2:TGID_Z_EN: 0
; COMPUTE_PGM_RSRC2:TIDIG_COMP_CNT: 1
	.section	.text._ZN2at6native12_GLOBAL__N_135GammaBetaBackwardCUDAKernelTemplateIN3c104HalfEfLj32ELj32ELj256ELb0ELb0ELb0EEEvllPKT_S7_PKT0_SA_PS5_SB_,"axG",@progbits,_ZN2at6native12_GLOBAL__N_135GammaBetaBackwardCUDAKernelTemplateIN3c104HalfEfLj32ELj32ELj256ELb0ELb0ELb0EEEvllPKT_S7_PKT0_SA_PS5_SB_,comdat
	.globl	_ZN2at6native12_GLOBAL__N_135GammaBetaBackwardCUDAKernelTemplateIN3c104HalfEfLj32ELj32ELj256ELb0ELb0ELb0EEEvllPKT_S7_PKT0_SA_PS5_SB_ ; -- Begin function _ZN2at6native12_GLOBAL__N_135GammaBetaBackwardCUDAKernelTemplateIN3c104HalfEfLj32ELj32ELj256ELb0ELb0ELb0EEEvllPKT_S7_PKT0_SA_PS5_SB_
	.p2align	8
	.type	_ZN2at6native12_GLOBAL__N_135GammaBetaBackwardCUDAKernelTemplateIN3c104HalfEfLj32ELj32ELj256ELb0ELb0ELb0EEEvllPKT_S7_PKT0_SA_PS5_SB_,@function
_ZN2at6native12_GLOBAL__N_135GammaBetaBackwardCUDAKernelTemplateIN3c104HalfEfLj32ELj32ELj256ELb0ELb0ELb0EEEvllPKT_S7_PKT0_SA_PS5_SB_: ; @_ZN2at6native12_GLOBAL__N_135GammaBetaBackwardCUDAKernelTemplateIN3c104HalfEfLj32ELj32ELj256ELb0ELb0ELb0EEEvllPKT_S7_PKT0_SA_PS5_SB_
; %bb.0:
	s_mov_b64 s[38:39], s[2:3]
	s_mov_b64 s[36:37], s[0:1]
	s_add_u32 s36, s36, s8
	s_load_dwordx8 s[12:19], s[4:5], 0x0
	s_load_dwordx4 s[20:23], s[4:5], 0x20
	s_addc_u32 s37, s37, 0
	s_lshl_b32 s24, s7, 8
	s_lshl_b32 s33, s6, 5
	s_mov_b32 s25, 0
	v_mov_b32_e32 v2, s24
	s_or_b32 s0, s33, 31
	v_mov_b32_e32 v3, s25
	v_mov_b32_e32 v10, s0
	;; [unrolled: 1-line block ×3, first 2 shown]
	s_waitcnt lgkmcnt(0)
	v_cmp_gt_i64_e64 s[0:1], s[12:13], v[2:3]
	v_cmp_le_i64_e32 vcc, s[14:15], v[10:11]
	v_mov_b32_e32 v61, v0
	v_cndmask_b32_e64 v0, 0, 1, s[0:1]
	v_cmp_ne_u32_e64 s[0:1], 1, v0
	s_cbranch_vccz .LBB92_49
; %bb.1:
	s_and_b64 vcc, exec, s[0:1]
	v_mov_b32_e32 v60, 0
	s_cbranch_vccnz .LBB92_50
; %bb.2:
	v_lshlrev_b32_e32 v0, 3, v1
	v_add_co_u32_e32 v5, vcc, s24, v0
	v_addc_co_u32_e64 v6, s[2:3], 0, 0, vcc
	v_mul_lo_u32 v10, s15, v5
	v_mul_lo_u32 v9, s14, v6
	v_mad_u64_u32 v[3:4], s[2:3], s14, v5, 0
	v_mov_b32_e32 v2, 0
	s_load_dword s7, s[4:5], 0x44
	v_add_u32_e32 v7, s33, v61
	v_mov_b32_e32 v8, v2
	v_add3_u32 v4, v4, v9, v10
	v_cmp_gt_i64_e64 s[2:3], s[14:15], v[7:8]
	v_lshlrev_b64 v[19:20], 1, v[7:8]
	v_lshlrev_b64 v[7:8], 1, v[3:4]
	s_add_u32 s10, s4, 64
	v_mov_b32_e32 v9, s17
	v_add_co_u32_e32 v62, vcc, s16, v7
	s_addc_u32 s11, s5, 0
	s_waitcnt lgkmcnt(0)
	s_lshl_b32 s7, s7, 8
	v_addc_co_u32_e32 v21, vcc, v9, v8, vcc
	s_mul_i32 s8, s15, s7
	s_mul_hi_u32 s9, s14, s7
	v_add_co_u32_e32 v9, vcc, 7, v5
	s_add_i32 s9, s9, s8
	s_mul_i32 s8, s14, s7
	v_addc_co_u32_e32 v10, vcc, 0, v6, vcc
	s_lshl_b64 s[26:27], s[8:9], 1
	v_mul_lo_u32 v12, s15, v9
	v_mul_lo_u32 v13, s14, v10
	v_mad_u64_u32 v[9:10], s[8:9], s14, v9, 0
	v_mov_b32_e32 v11, s19
	v_add_co_u32_e32 v22, vcc, s18, v7
	v_add3_u32 v10, v10, v13, v12
	v_addc_co_u32_e32 v23, vcc, v11, v8, vcc
	v_lshlrev_b64 v[7:8], 1, v[9:10]
	v_mov_b32_e32 v9, s17
	v_add_co_u32_e32 v24, vcc, s16, v7
	v_addc_co_u32_e32 v25, vcc, v9, v8, vcc
	v_add_co_u32_e32 v9, vcc, 6, v5
	v_addc_co_u32_e32 v10, vcc, 0, v6, vcc
	v_mul_lo_u32 v12, s15, v9
	v_mul_lo_u32 v13, s14, v10
	v_mad_u64_u32 v[9:10], s[8:9], s14, v9, 0
	v_add_co_u32_e32 v26, vcc, s18, v7
	v_add3_u32 v10, v10, v13, v12
	v_addc_co_u32_e32 v27, vcc, v11, v8, vcc
	v_lshlrev_b64 v[7:8], 1, v[9:10]
	v_mov_b32_e32 v9, s17
	v_add_co_u32_e32 v28, vcc, s16, v7
	v_addc_co_u32_e32 v29, vcc, v9, v8, vcc
	v_add_co_u32_e32 v9, vcc, 5, v5
	v_addc_co_u32_e32 v10, vcc, 0, v6, vcc
	v_mul_lo_u32 v12, s15, v9
	v_mul_lo_u32 v13, s14, v10
	v_mad_u64_u32 v[9:10], s[8:9], s14, v9, 0
	;; [unrolled: 12-line block ×5, first 2 shown]
	v_mov_b32_e32 v9, s19
	v_add_co_u32_e32 v42, vcc, s18, v7
	v_add3_u32 v6, v6, v11, v10
	v_lshlrev_b64 v[5:6], 1, v[5:6]
	v_addc_co_u32_e32 v43, vcc, v9, v8, vcc
	v_mov_b32_e32 v7, s17
	v_add_co_u32_e32 v44, vcc, s16, v5
	v_addc_co_u32_e32 v45, vcc, v7, v6, vcc
	v_mov_b32_e32 v7, s19
	v_add_co_u32_e32 v46, vcc, s18, v5
	;; [unrolled: 3-line block ×3, first 2 shown]
	v_addc_co_u32_e32 v4, vcc, v4, v5, vcc
	v_lshlrev_b64 v[3:4], 1, v[3:4]
	v_mov_b32_e32 v5, s17
	v_add_co_u32_e32 v48, vcc, s16, v3
	v_addc_co_u32_e32 v49, vcc, v5, v4, vcc
	v_add_co_u32_e32 v50, vcc, s18, v3
	v_mbcnt_lo_u32_b32 v3, -1, 0
	v_mbcnt_hi_u32_b32 v3, -1, v3
	v_mov_b32_e32 v5, s19
	s_add_u32 s28, s24, 0xff
	v_lshlrev_b32_e32 v3, 2, v3
	v_addc_co_u32_e32 v51, vcc, v5, v4, vcc
	s_addc_u32 s29, 0, 0
	v_and_b32_e32 v52, 0x100, v3
	v_mov_b32_e32 v60, 0
	v_mov_b32_e32 v53, 0
	s_mov_b64 s[30:31], s[24:25]
.LBB92_3:                               ; =>This Inner Loop Header: Depth=1
	v_mov_b32_e32 v3, s12
	v_mov_b32_e32 v4, s13
	v_cmp_ge_i64_e32 vcc, s[28:29], v[3:4]
	v_mov_b32_e32 v3, s29
	v_add_co_u32_e64 v54, s[8:9], s28, v0
	v_addc_co_u32_e64 v55, s[8:9], 0, v3, s[8:9]
	s_mov_b64 s[8:9], -1
	s_and_b64 vcc, exec, vcc
                                        ; implicit-def: $vgpr11_vgpr12_vgpr13_vgpr14_vgpr15_vgpr16_vgpr17_vgpr18
                                        ; implicit-def: $vgpr3_vgpr4_vgpr5_vgpr6_vgpr7_vgpr8_vgpr9_vgpr10
                                        ; implicit-def: $vgpr56
                                        ; implicit-def: $vgpr4
                                        ; implicit-def: $vgpr11
                                        ; implicit-def: $vgpr3
	s_cbranch_vccz .LBB92_25
; %bb.4:                                ;   in Loop: Header=BB92_3 Depth=1
	s_load_dword s8, s[10:11], 0xc
	v_mov_b32_e32 v56, 0
	v_mov_b32_e32 v57, 0
	s_waitcnt lgkmcnt(0)
	s_and_b32 s8, s8, 0xffff
	v_mad_u32_u24 v3, v1, s8, v61
	v_and_b32_e32 v3, 63, v3
	v_cmp_gt_u32_e32 vcc, 8, v3
	s_and_saveexec_b64 s[8:9], vcc
	s_cbranch_execz .LBB92_8
; %bb.5:                                ;   in Loop: Header=BB92_3 Depth=1
	v_add_co_u32_e32 v3, vcc, v54, v3
	v_addc_co_u32_e32 v4, vcc, 0, v55, vcc
	v_add_co_u32_e32 v3, vcc, 0xffffff01, v3
	v_addc_co_u32_e32 v4, vcc, -1, v4, vcc
	v_cmp_gt_i64_e32 vcc, s[12:13], v[3:4]
	v_mov_b32_e32 v57, 0
	v_mov_b32_e32 v56, 0
	s_and_saveexec_b64 s[34:35], vcc
	s_cbranch_execz .LBB92_7
; %bb.6:                                ;   in Loop: Header=BB92_3 Depth=1
	v_lshlrev_b64 v[3:4], 2, v[3:4]
	v_mov_b32_e32 v6, s23
	v_add_co_u32_e32 v5, vcc, s22, v3
	v_addc_co_u32_e32 v6, vcc, v6, v4, vcc
	v_mov_b32_e32 v7, s21
	v_add_co_u32_e32 v3, vcc, s20, v3
	v_addc_co_u32_e32 v4, vcc, v7, v4, vcc
	global_load_dword v57, v[3:4], off
	global_load_dword v56, v[5:6], off
.LBB92_7:                               ;   in Loop: Header=BB92_3 Depth=1
	s_or_b64 exec, exec, s[34:35]
.LBB92_8:                               ;   in Loop: Header=BB92_3 Depth=1
	s_or_b64 exec, exec, s[8:9]
	v_add_co_u32_e32 v3, vcc, 0xffffff01, v54
	v_addc_co_u32_e32 v4, vcc, -1, v55, vcc
	v_mov_b32_e32 v9, v2
	v_cmp_gt_i64_e32 vcc, s[12:13], v[3:4]
	v_mov_b32_e32 v3, v2
	v_mov_b32_e32 v4, v2
	;; [unrolled: 1-line block ×15, first 2 shown]
	s_and_b64 s[34:35], s[2:3], vcc
	v_mov_b32_e32 v9, v8
	v_mov_b32_e32 v8, v7
	;; [unrolled: 1-line block ×7, first 2 shown]
	s_and_saveexec_b64 s[8:9], s[34:35]
	s_cbranch_execz .LBB92_10
; %bb.9:                                ;   in Loop: Header=BB92_3 Depth=1
	v_add_co_u32_e32 v3, vcc, v62, v19
	v_addc_co_u32_e32 v4, vcc, v21, v20, vcc
	global_load_ushort v11, v[3:4], off
	v_add_co_u32_e32 v3, vcc, v22, v19
	v_addc_co_u32_e32 v4, vcc, v23, v20, vcc
	global_load_ushort v15, v[3:4], off
	v_mov_b32_e32 v4, v2
	v_mov_b32_e32 v5, v2
	;; [unrolled: 1-line block ×13, first 2 shown]
	s_waitcnt vmcnt(1)
	v_cvt_f32_f16_e32 v3, v11
	s_waitcnt vmcnt(0)
	v_cvt_f32_f16_e32 v11, v15
	v_mov_b32_e32 v15, v2
.LBB92_10:                              ;   in Loop: Header=BB92_3 Depth=1
	s_or_b64 exec, exec, s[8:9]
	v_add_co_u32_e32 v58, vcc, 0xffffff02, v54
	v_addc_co_u32_e32 v59, vcc, -1, v55, vcc
	v_cmp_gt_i64_e32 vcc, s[12:13], v[58:59]
	s_and_b64 s[34:35], s[2:3], vcc
	s_and_saveexec_b64 s[8:9], s[34:35]
	s_cbranch_execz .LBB92_12
; %bb.11:                               ;   in Loop: Header=BB92_3 Depth=1
	v_add_co_u32_e32 v58, vcc, v48, v19
	v_addc_co_u32_e32 v59, vcc, v49, v20, vcc
	global_load_ushort v4, v[58:59], off
	v_add_co_u32_e32 v58, vcc, v50, v19
	v_addc_co_u32_e32 v59, vcc, v51, v20, vcc
	global_load_ushort v12, v[58:59], off
	s_waitcnt vmcnt(1)
	v_cvt_f32_f16_e32 v4, v4
	s_waitcnt vmcnt(0)
	v_cvt_f32_f16_e32 v12, v12
.LBB92_12:                              ;   in Loop: Header=BB92_3 Depth=1
	s_or_b64 exec, exec, s[8:9]
	v_add_co_u32_e32 v58, vcc, 0xffffff03, v54
	v_addc_co_u32_e32 v59, vcc, -1, v55, vcc
	v_cmp_gt_i64_e32 vcc, s[12:13], v[58:59]
	s_and_b64 s[34:35], s[2:3], vcc
	s_and_saveexec_b64 s[8:9], s[34:35]
	s_cbranch_execz .LBB92_14
; %bb.13:                               ;   in Loop: Header=BB92_3 Depth=1
	v_add_co_u32_e32 v58, vcc, v44, v19
	v_addc_co_u32_e32 v59, vcc, v45, v20, vcc
	global_load_ushort v5, v[58:59], off
	v_add_co_u32_e32 v58, vcc, v46, v19
	v_addc_co_u32_e32 v59, vcc, v47, v20, vcc
	global_load_ushort v13, v[58:59], off
	s_waitcnt vmcnt(1)
	v_cvt_f32_f16_e32 v5, v5
	s_waitcnt vmcnt(0)
	v_cvt_f32_f16_e32 v13, v13
.LBB92_14:                              ;   in Loop: Header=BB92_3 Depth=1
	;; [unrolled: 19-line block ×7, first 2 shown]
	s_or_b64 exec, exec, s[8:9]
	s_waitcnt vmcnt(1)
	ds_bpermute_b32 v59, v52, v57
	s_waitcnt vmcnt(0)
	ds_bpermute_b32 v58, v52, v56
	s_mov_b64 s[8:9], 0
	s_waitcnt lgkmcnt(1)
	v_sub_f32_e32 v11, v11, v59
	ds_bpermute_b32 v59, v52, v57 offset:4
	v_mul_f32_e32 v11, v3, v11
	s_waitcnt lgkmcnt(1)
	v_fma_f32 v11, v11, v58, v53
	ds_bpermute_b32 v58, v52, v56 offset:4
	v_add_f32_e32 v3, v60, v3
	s_waitcnt lgkmcnt(1)
	v_sub_f32_e32 v12, v12, v59
	v_mul_f32_e32 v12, v4, v12
	v_add_f32_e32 v3, v4, v3
	s_waitcnt lgkmcnt(0)
	v_fmac_f32_e32 v11, v12, v58
	ds_bpermute_b32 v12, v52, v57 offset:8
	ds_bpermute_b32 v4, v52, v56 offset:8
	v_add_f32_e32 v3, v5, v3
	v_add_f32_e32 v3, v6, v3
	;; [unrolled: 1-line block ×3, first 2 shown]
	s_waitcnt lgkmcnt(1)
	v_sub_f32_e32 v12, v13, v12
	v_mul_f32_e32 v12, v5, v12
	ds_bpermute_b32 v5, v52, v57 offset:12
	s_waitcnt lgkmcnt(1)
	v_fmac_f32_e32 v11, v12, v4
	ds_bpermute_b32 v4, v52, v56 offset:12
	v_add_f32_e32 v3, v8, v3
	v_add_f32_e32 v3, v9, v3
	s_waitcnt lgkmcnt(1)
	v_sub_f32_e32 v5, v14, v5
	v_mul_f32_e32 v5, v6, v5
	s_waitcnt lgkmcnt(0)
	v_fmac_f32_e32 v11, v5, v4
	ds_bpermute_b32 v5, v52, v57 offset:16
	ds_bpermute_b32 v4, v52, v56 offset:16
	s_waitcnt lgkmcnt(1)
	v_sub_f32_e32 v5, v15, v5
	v_mul_f32_e32 v5, v7, v5
	s_waitcnt lgkmcnt(0)
	v_fmac_f32_e32 v11, v5, v4
	ds_bpermute_b32 v5, v52, v57 offset:20
	ds_bpermute_b32 v4, v52, v56 offset:20
	;; [unrolled: 7-line block ×3, first 2 shown]
	ds_bpermute_b32 v56, v52, v56 offset:28
	s_waitcnt lgkmcnt(2)
	v_sub_f32_e32 v5, v17, v5
	v_mul_f32_e32 v5, v9, v5
	s_waitcnt lgkmcnt(1)
	v_fmac_f32_e32 v11, v5, v4
	ds_bpermute_b32 v4, v52, v57 offset:28
.LBB92_25:                              ;   in Loop: Header=BB92_3 Depth=1
	s_and_b64 vcc, exec, s[8:9]
	s_cbranch_vccz .LBB92_40
; %bb.26:                               ;   in Loop: Header=BB92_3 Depth=1
	s_load_dword s8, s[10:11], 0x0
	s_waitcnt lgkmcnt(0)
	v_mov_b32_e32 v56, 0
	v_mov_b32_e32 v57, 0
	s_cmp_lt_u32 s6, s8
	s_cselect_b32 s8, 12, 18
	s_add_u32 s8, s10, s8
	s_addc_u32 s9, s11, 0
	global_load_ushort v3, v2, s[8:9]
	s_waitcnt vmcnt(0)
	v_mad_u32_u24 v3, v1, v3, v61
	v_and_b32_e32 v3, 63, v3
	v_cmp_gt_u32_e32 vcc, 8, v3
	s_and_saveexec_b64 s[8:9], vcc
	s_cbranch_execz .LBB92_30
; %bb.27:                               ;   in Loop: Header=BB92_3 Depth=1
	v_add_co_u32_e32 v3, vcc, v54, v3
	v_addc_co_u32_e32 v4, vcc, 0, v55, vcc
	v_add_co_u32_e32 v3, vcc, 0xffffff01, v3
	v_addc_co_u32_e32 v4, vcc, -1, v4, vcc
	v_cmp_gt_i64_e32 vcc, s[12:13], v[3:4]
	v_mov_b32_e32 v57, 0
	v_mov_b32_e32 v56, 0
	s_and_saveexec_b64 s[34:35], vcc
	s_cbranch_execz .LBB92_29
; %bb.28:                               ;   in Loop: Header=BB92_3 Depth=1
	v_lshlrev_b64 v[3:4], 2, v[3:4]
	v_mov_b32_e32 v6, s23
	v_add_co_u32_e32 v5, vcc, s22, v3
	v_addc_co_u32_e32 v6, vcc, v6, v4, vcc
	v_mov_b32_e32 v7, s21
	v_add_co_u32_e32 v3, vcc, s20, v3
	v_addc_co_u32_e32 v4, vcc, v7, v4, vcc
	global_load_dword v57, v[3:4], off
	global_load_dword v56, v[5:6], off
.LBB92_29:                              ;   in Loop: Header=BB92_3 Depth=1
	s_or_b64 exec, exec, s[34:35]
.LBB92_30:                              ;   in Loop: Header=BB92_3 Depth=1
	s_or_b64 exec, exec, s[8:9]
	v_mov_b32_e32 v9, v2
	v_mov_b32_e32 v3, v2
	;; [unrolled: 1-line block ×23, first 2 shown]
	s_and_saveexec_b64 s[8:9], s[2:3]
	s_cbranch_execnz .LBB92_42
; %bb.31:                               ;   in Loop: Header=BB92_3 Depth=1
	s_or_b64 exec, exec, s[8:9]
	s_and_saveexec_b64 s[8:9], s[2:3]
	s_cbranch_execnz .LBB92_43
.LBB92_32:                              ;   in Loop: Header=BB92_3 Depth=1
	s_or_b64 exec, exec, s[8:9]
	s_and_saveexec_b64 s[8:9], s[2:3]
	s_cbranch_execnz .LBB92_44
.LBB92_33:                              ;   in Loop: Header=BB92_3 Depth=1
	s_or_b64 exec, exec, s[8:9]
	s_and_saveexec_b64 s[8:9], s[2:3]
	s_cbranch_execnz .LBB92_45
.LBB92_34:                              ;   in Loop: Header=BB92_3 Depth=1
	s_or_b64 exec, exec, s[8:9]
	s_and_saveexec_b64 s[8:9], s[2:3]
	s_cbranch_execnz .LBB92_46
.LBB92_35:                              ;   in Loop: Header=BB92_3 Depth=1
	s_or_b64 exec, exec, s[8:9]
	s_and_saveexec_b64 s[8:9], s[2:3]
	s_cbranch_execnz .LBB92_47
.LBB92_36:                              ;   in Loop: Header=BB92_3 Depth=1
	s_or_b64 exec, exec, s[8:9]
	s_and_saveexec_b64 s[8:9], s[2:3]
	s_cbranch_execnz .LBB92_48
.LBB92_37:                              ;   in Loop: Header=BB92_3 Depth=1
	s_or_b64 exec, exec, s[8:9]
	s_and_saveexec_b64 s[8:9], s[2:3]
	s_cbranch_execz .LBB92_39
.LBB92_38:                              ;   in Loop: Header=BB92_3 Depth=1
	v_add_co_u32_e32 v54, vcc, v24, v19
	v_addc_co_u32_e32 v55, vcc, v25, v20, vcc
	global_load_ushort v10, v[54:55], off
	v_add_co_u32_e32 v54, vcc, v26, v19
	v_addc_co_u32_e32 v55, vcc, v27, v20, vcc
	global_load_ushort v18, v[54:55], off
	s_waitcnt vmcnt(1)
	v_cvt_f32_f16_e32 v10, v10
	s_waitcnt vmcnt(0)
	v_cvt_f32_f16_e32 v18, v18
.LBB92_39:                              ;   in Loop: Header=BB92_3 Depth=1
	s_or_b64 exec, exec, s[8:9]
	s_waitcnt vmcnt(1)
	ds_bpermute_b32 v54, v52, v57
	s_waitcnt vmcnt(0)
	ds_bpermute_b32 v55, v52, v56
	ds_bpermute_b32 v59, v52, v57 offset:4
	v_add_f32_e32 v58, v60, v3
	ds_bpermute_b32 v60, v52, v56 offset:4
	s_waitcnt lgkmcnt(3)
	v_sub_f32_e32 v11, v11, v54
	v_mul_f32_e32 v3, v3, v11
	s_waitcnt lgkmcnt(2)
	v_fmac_f32_e32 v53, v3, v55
	s_waitcnt lgkmcnt(1)
	v_sub_f32_e32 v3, v12, v59
	ds_bpermute_b32 v11, v52, v57 offset:8
	v_mul_f32_e32 v3, v4, v3
	s_waitcnt lgkmcnt(1)
	v_fmac_f32_e32 v53, v3, v60
	ds_bpermute_b32 v3, v52, v56 offset:8
	ds_bpermute_b32 v12, v52, v57 offset:12
	s_waitcnt lgkmcnt(2)
	v_sub_f32_e32 v11, v13, v11
	v_mul_f32_e32 v11, v5, v11
	v_add_f32_e32 v4, v4, v58
	s_waitcnt lgkmcnt(1)
	v_fmac_f32_e32 v53, v11, v3
	ds_bpermute_b32 v3, v52, v56 offset:12
	v_add_f32_e32 v4, v5, v4
	s_waitcnt lgkmcnt(1)
	v_sub_f32_e32 v5, v14, v12
	ds_bpermute_b32 v11, v52, v57 offset:16
	v_mul_f32_e32 v5, v6, v5
	s_waitcnt lgkmcnt(1)
	v_fmac_f32_e32 v53, v5, v3
	ds_bpermute_b32 v3, v52, v56 offset:16
	v_add_f32_e32 v4, v6, v4
	s_waitcnt lgkmcnt(1)
	v_sub_f32_e32 v5, v15, v11
	ds_bpermute_b32 v6, v52, v57 offset:20
	v_mul_f32_e32 v5, v7, v5
	;; [unrolled: 8-line block ×3, first 2 shown]
	s_waitcnt lgkmcnt(1)
	v_fmac_f32_e32 v53, v5, v3
	ds_bpermute_b32 v5, v52, v56 offset:24
	v_add_f32_e32 v3, v8, v4
	ds_bpermute_b32 v56, v52, v56 offset:28
	ds_bpermute_b32 v4, v52, v57 offset:28
	s_waitcnt lgkmcnt(3)
	v_sub_f32_e32 v6, v17, v6
	v_mul_f32_e32 v6, v9, v6
	s_waitcnt lgkmcnt(2)
	v_fmac_f32_e32 v53, v6, v5
	v_add_f32_e32 v3, v9, v3
	v_mov_b32_e32 v11, v53
.LBB92_40:                              ;   in Loop: Header=BB92_3 Depth=1
	v_add_f32_e32 v60, v3, v10
	v_mov_b32_e32 v3, s27
	v_add_co_u32_e32 v62, vcc, s26, v62
	v_addc_co_u32_e32 v21, vcc, v21, v3, vcc
	v_add_co_u32_e32 v22, vcc, s26, v22
	v_addc_co_u32_e32 v23, vcc, v23, v3, vcc
	;; [unrolled: 2-line block ×14, first 2 shown]
	v_add_co_u32_e32 v48, vcc, s26, v48
	s_waitcnt lgkmcnt(0)
	v_sub_f32_e32 v4, v18, v4
	v_addc_co_u32_e32 v49, vcc, v49, v3, vcc
	v_mul_f32_e32 v4, v10, v4
	v_add_co_u32_e32 v50, vcc, s26, v50
	v_fmac_f32_e32 v11, v4, v56
	s_add_u32 s30, s30, s7
	v_addc_co_u32_e32 v51, vcc, v51, v3, vcc
	v_mov_b32_e32 v3, s12
	s_addc_u32 s31, s31, 0
	v_mov_b32_e32 v4, s13
	v_cmp_lt_i64_e32 vcc, s[30:31], v[3:4]
	s_add_u32 s28, s28, s7
	s_addc_u32 s29, s29, 0
	s_cbranch_vccz .LBB92_50
; %bb.41:                               ;   in Loop: Header=BB92_3 Depth=1
	v_mov_b32_e32 v53, v11
	s_branch .LBB92_3
.LBB92_42:                              ;   in Loop: Header=BB92_3 Depth=1
	v_add_co_u32_e32 v3, vcc, v62, v19
	v_addc_co_u32_e32 v4, vcc, v21, v20, vcc
	global_load_ushort v11, v[3:4], off
	v_add_co_u32_e32 v3, vcc, v22, v19
	v_addc_co_u32_e32 v4, vcc, v23, v20, vcc
	global_load_ushort v15, v[3:4], off
	v_mov_b32_e32 v4, v2
	v_mov_b32_e32 v5, v2
	;; [unrolled: 1-line block ×13, first 2 shown]
	s_waitcnt vmcnt(1)
	v_cvt_f32_f16_e32 v3, v11
	s_waitcnt vmcnt(0)
	v_cvt_f32_f16_e32 v11, v15
	v_mov_b32_e32 v15, v2
	s_or_b64 exec, exec, s[8:9]
	s_and_saveexec_b64 s[8:9], s[2:3]
	s_cbranch_execz .LBB92_32
.LBB92_43:                              ;   in Loop: Header=BB92_3 Depth=1
	v_add_co_u32_e32 v54, vcc, v48, v19
	v_addc_co_u32_e32 v55, vcc, v49, v20, vcc
	global_load_ushort v4, v[54:55], off
	v_add_co_u32_e32 v54, vcc, v50, v19
	v_addc_co_u32_e32 v55, vcc, v51, v20, vcc
	global_load_ushort v12, v[54:55], off
	s_waitcnt vmcnt(1)
	v_cvt_f32_f16_e32 v4, v4
	s_waitcnt vmcnt(0)
	v_cvt_f32_f16_e32 v12, v12
	s_or_b64 exec, exec, s[8:9]
	s_and_saveexec_b64 s[8:9], s[2:3]
	s_cbranch_execz .LBB92_33
.LBB92_44:                              ;   in Loop: Header=BB92_3 Depth=1
	v_add_co_u32_e32 v54, vcc, v44, v19
	v_addc_co_u32_e32 v55, vcc, v45, v20, vcc
	global_load_ushort v5, v[54:55], off
	v_add_co_u32_e32 v54, vcc, v46, v19
	v_addc_co_u32_e32 v55, vcc, v47, v20, vcc
	global_load_ushort v13, v[54:55], off
	s_waitcnt vmcnt(1)
	v_cvt_f32_f16_e32 v5, v5
	s_waitcnt vmcnt(0)
	v_cvt_f32_f16_e32 v13, v13
	s_or_b64 exec, exec, s[8:9]
	s_and_saveexec_b64 s[8:9], s[2:3]
	s_cbranch_execz .LBB92_34
.LBB92_45:                              ;   in Loop: Header=BB92_3 Depth=1
	v_add_co_u32_e32 v54, vcc, v40, v19
	v_addc_co_u32_e32 v55, vcc, v41, v20, vcc
	global_load_ushort v6, v[54:55], off
	v_add_co_u32_e32 v54, vcc, v42, v19
	v_addc_co_u32_e32 v55, vcc, v43, v20, vcc
	global_load_ushort v14, v[54:55], off
	s_waitcnt vmcnt(1)
	v_cvt_f32_f16_e32 v6, v6
	s_waitcnt vmcnt(0)
	v_cvt_f32_f16_e32 v14, v14
	s_or_b64 exec, exec, s[8:9]
	s_and_saveexec_b64 s[8:9], s[2:3]
	s_cbranch_execz .LBB92_35
.LBB92_46:                              ;   in Loop: Header=BB92_3 Depth=1
	v_add_co_u32_e32 v54, vcc, v36, v19
	v_addc_co_u32_e32 v55, vcc, v37, v20, vcc
	global_load_ushort v7, v[54:55], off
	v_add_co_u32_e32 v54, vcc, v38, v19
	v_addc_co_u32_e32 v55, vcc, v39, v20, vcc
	global_load_ushort v15, v[54:55], off
	s_waitcnt vmcnt(1)
	v_cvt_f32_f16_e32 v7, v7
	s_waitcnt vmcnt(0)
	v_cvt_f32_f16_e32 v15, v15
	s_or_b64 exec, exec, s[8:9]
	s_and_saveexec_b64 s[8:9], s[2:3]
	s_cbranch_execz .LBB92_36
.LBB92_47:                              ;   in Loop: Header=BB92_3 Depth=1
	v_add_co_u32_e32 v54, vcc, v32, v19
	v_addc_co_u32_e32 v55, vcc, v33, v20, vcc
	global_load_ushort v8, v[54:55], off
	v_add_co_u32_e32 v54, vcc, v34, v19
	v_addc_co_u32_e32 v55, vcc, v35, v20, vcc
	global_load_ushort v16, v[54:55], off
	s_waitcnt vmcnt(1)
	v_cvt_f32_f16_e32 v8, v8
	s_waitcnt vmcnt(0)
	v_cvt_f32_f16_e32 v16, v16
	s_or_b64 exec, exec, s[8:9]
	s_and_saveexec_b64 s[8:9], s[2:3]
	s_cbranch_execz .LBB92_37
.LBB92_48:                              ;   in Loop: Header=BB92_3 Depth=1
	v_add_co_u32_e32 v54, vcc, v28, v19
	v_addc_co_u32_e32 v55, vcc, v29, v20, vcc
	global_load_ushort v9, v[54:55], off
	v_add_co_u32_e32 v54, vcc, v30, v19
	v_addc_co_u32_e32 v55, vcc, v31, v20, vcc
	global_load_ushort v17, v[54:55], off
	s_waitcnt vmcnt(1)
	v_cvt_f32_f16_e32 v9, v9
	s_waitcnt vmcnt(0)
	v_cvt_f32_f16_e32 v17, v17
	s_or_b64 exec, exec, s[8:9]
	s_and_saveexec_b64 s[8:9], s[2:3]
	s_cbranch_execnz .LBB92_38
	s_branch .LBB92_39
.LBB92_49:
                                        ; implicit-def: $vgpr11
                                        ; implicit-def: $vgpr60
	s_branch .LBB92_51
.LBB92_50:
	s_cbranch_execnz .LBB92_84
.LBB92_51:
	v_mov_b32_e32 v11, 0
	s_and_b64 vcc, exec, s[0:1]
	v_mov_b32_e32 v60, 0
	s_cbranch_vccnz .LBB92_84
; %bb.52:
	v_lshlrev_b32_e32 v0, 3, v1
	buffer_store_dword v0, off, s[36:39], 0 offset:104 ; 4-byte Folded Spill
	v_add_co_u32_e32 v0, vcc, s24, v0
	v_addc_co_u32_e64 v17, s[0:1], 0, 0, vcc
	v_mul_lo_u32 v2, s15, v0
	v_mul_lo_u32 v3, s14, v17
	v_mad_u64_u32 v[4:5], s[0:1], s14, v0, 0
	s_load_dword s2, s[4:5], 0x44
	s_add_u32 s26, s4, 64
	v_add3_u32 v5, v5, v3, v2
	v_lshlrev_b64 v[2:3], 1, v[4:5]
	s_addc_u32 s27, s5, 0
	s_waitcnt lgkmcnt(0)
	s_lshl_b32 s7, s2, 8
	v_mov_b32_e32 v6, s17
	v_add_co_u32_e32 v7, vcc, s16, v2
	s_mul_i32 s0, s15, s7
	s_mul_hi_u32 s1, s14, s7
	v_addc_co_u32_e32 v6, vcc, v6, v3, vcc
	s_add_i32 s1, s1, s0
	s_mul_i32 s0, s14, s7
	buffer_store_dword v6, off, s[36:39], 0 offset:4 ; 4-byte Folded Spill
	s_lshl_b64 s[28:29], s[0:1], 1
	v_mov_b32_e32 v6, s19
	v_add_co_u32_e32 v2, vcc, s18, v2
	buffer_store_dword v2, off, s[36:39], 0 offset:8 ; 4-byte Folded Spill
	v_addc_co_u32_e32 v2, vcc, v6, v3, vcc
	s_add_u32 s30, s24, 0xff
	buffer_store_dword v2, off, s[36:39], 0 offset:12 ; 4-byte Folded Spill
	s_addc_u32 s31, 0, 0
	v_lshlrev_b32_e32 v2, 4, v1
	s_lshl_b64 s[0:1], s[24:25], 1
	v_mov_b32_e32 v3, s1
	v_add_co_u32_e32 v6, vcc, s0, v2
	buffer_store_dword v7, off, s[36:39], 0 ; 4-byte Folded Spill
	v_addc_co_u32_e32 v7, vcc, 0, v3, vcc
	v_add_co_u32_e32 v8, vcc, 2, v6
	v_addc_co_u32_e32 v9, vcc, 0, v7, vcc
	v_mov_b32_e32 v2, s16
	v_mul_lo_u32 v12, s14, v9
	v_mov_b32_e32 v9, s18
	v_mov_b32_e32 v3, s17
	;; [unrolled: 1-line block ×3, first 2 shown]
	v_mad_u64_u32 v[19:20], s[0:1], s14, v8, v[2:3]
	v_mul_lo_u32 v13, s15, v8
	v_mad_u64_u32 v[21:22], s[0:1], s14, v8, v[9:10]
	v_add_co_u32_e32 v8, vcc, 4, v6
	v_addc_co_u32_e32 v14, vcc, 0, v7, vcc
	v_mov_b32_e32 v11, s15
	v_add_co_u32_e32 v4, vcc, s14, v4
	v_addc_co_u32_e32 v5, vcc, v5, v11, vcc
	v_mul_lo_u32 v15, s15, v8
	v_mad_u64_u32 v[23:24], s[0:1], s14, v8, v[2:3]
	v_mad_u64_u32 v[25:26], s[0:1], s14, v8, v[9:10]
	v_add_co_u32_e32 v8, vcc, 6, v6
	v_addc_co_u32_e32 v11, vcc, 0, v7, vcc
	v_add3_u32 v20, v13, v20, v12
	v_add3_u32 v22, v13, v22, v12
	v_mul_lo_u32 v11, s14, v11
	v_mul_lo_u32 v12, s15, v8
	v_mad_u64_u32 v[27:28], s[0:1], s14, v8, v[2:3]
	v_mad_u64_u32 v[29:30], s[0:1], s14, v8, v[9:10]
	v_add_co_u32_e32 v8, vcc, 8, v6
	v_mul_lo_u32 v14, s14, v14
	v_addc_co_u32_e32 v13, vcc, 0, v7, vcc
	v_mul_lo_u32 v16, s15, v8
	v_mad_u64_u32 v[31:32], s[0:1], s14, v8, v[2:3]
	v_mad_u64_u32 v[33:34], s[0:1], s14, v8, v[9:10]
	v_add_co_u32_e32 v8, vcc, 10, v6
	v_add3_u32 v28, v12, v28, v11
	v_add3_u32 v30, v12, v30, v11
	v_addc_co_u32_e32 v11, vcc, 0, v7, vcc
	v_mul_lo_u32 v12, s15, v8
	v_mad_u64_u32 v[35:36], s[0:1], s14, v8, v[2:3]
	v_mad_u64_u32 v[37:38], s[0:1], s14, v8, v[9:10]
	v_add_co_u32_e32 v8, vcc, 12, v6
	v_add3_u32 v24, v15, v24, v14
	v_add3_u32 v26, v15, v26, v14
	v_addc_co_u32_e32 v14, vcc, 0, v7, vcc
	v_add_co_u32_e32 v6, vcc, 14, v6
	v_addc_co_u32_e32 v7, vcc, 0, v7, vcc
	v_mad_u64_u32 v[39:40], s[0:1], s14, v8, v[2:3]
	v_mad_u64_u32 v[43:44], s[0:1], s14, v6, v[2:3]
	v_add_co_u32_e32 v2, vcc, 7, v0
	v_addc_co_u32_e32 v3, vcc, 0, v17, vcc
	v_mul_lo_u32 v15, s15, v8
	v_mad_u64_u32 v[41:42], s[0:1], s14, v8, v[9:10]
	v_mad_u64_u32 v[45:46], s[0:1], s14, v6, v[9:10]
	v_mul_lo_u32 v8, s14, v3
	v_mul_lo_u32 v9, s15, v2
	v_mad_u64_u32 v[2:3], s[0:1], s14, v2, 0
	v_mul_lo_u32 v7, s14, v7
	v_mul_lo_u32 v6, s15, v6
	v_add3_u32 v3, v3, v8, v9
	v_lshlrev_b64 v[2:3], 1, v[2:3]
	buffer_store_dword v1, off, s[36:39], 0 offset:100 ; 4-byte Folded Spill
	v_add3_u32 v44, v6, v44, v7
	v_add3_u32 v46, v6, v46, v7
	v_mov_b32_e32 v6, s17
	v_add_co_u32_e32 v1, vcc, s16, v2
	buffer_store_dword v1, off, s[36:39], 0 offset:16 ; 4-byte Folded Spill
	v_addc_co_u32_e32 v1, vcc, v6, v3, vcc
	v_add_co_u32_e32 v6, vcc, 6, v0
	v_addc_co_u32_e32 v7, vcc, 0, v17, vcc
	v_mul_lo_u32 v9, s14, v7
	v_mul_lo_u32 v10, s15, v6
	v_mad_u64_u32 v[6:7], s[0:1], s14, v6, 0
	buffer_store_dword v1, off, s[36:39], 0 offset:20 ; 4-byte Folded Spill
	v_mov_b32_e32 v8, s19
	v_add_co_u32_e32 v1, vcc, s18, v2
	v_add3_u32 v7, v7, v9, v10
	buffer_store_dword v1, off, s[36:39], 0 offset:24 ; 4-byte Folded Spill
	v_addc_co_u32_e32 v1, vcc, v8, v3, vcc
	v_lshlrev_b64 v[2:3], 1, v[6:7]
	buffer_store_dword v1, off, s[36:39], 0 offset:28 ; 4-byte Folded Spill
	v_mov_b32_e32 v6, s17
	v_add_co_u32_e32 v1, vcc, s16, v2
	buffer_store_dword v1, off, s[36:39], 0 offset:32 ; 4-byte Folded Spill
	v_addc_co_u32_e32 v1, vcc, v6, v3, vcc
	v_add_co_u32_e32 v6, vcc, 5, v0
	v_addc_co_u32_e32 v7, vcc, 0, v17, vcc
	v_mul_lo_u32 v9, s14, v7
	v_mul_lo_u32 v10, s15, v6
	v_mad_u64_u32 v[6:7], s[0:1], s14, v6, 0
	buffer_store_dword v1, off, s[36:39], 0 offset:36 ; 4-byte Folded Spill
	v_add_co_u32_e32 v1, vcc, s18, v2
	v_add3_u32 v7, v7, v9, v10
	buffer_store_dword v1, off, s[36:39], 0 offset:40 ; 4-byte Folded Spill
	v_addc_co_u32_e32 v1, vcc, v8, v3, vcc
	v_lshlrev_b64 v[2:3], 1, v[6:7]
	buffer_store_dword v1, off, s[36:39], 0 offset:44 ; 4-byte Folded Spill
	v_mov_b32_e32 v6, s17
	v_add_co_u32_e32 v1, vcc, s16, v2
	buffer_store_dword v1, off, s[36:39], 0 offset:48 ; 4-byte Folded Spill
	v_addc_co_u32_e32 v1, vcc, v6, v3, vcc
	v_add_co_u32_e32 v6, vcc, 4, v0
	v_addc_co_u32_e32 v7, vcc, 0, v17, vcc
	v_mul_lo_u32 v9, s14, v7
	v_mul_lo_u32 v10, s15, v6
	v_mad_u64_u32 v[6:7], s[0:1], s14, v6, 0
	buffer_store_dword v1, off, s[36:39], 0 offset:52 ; 4-byte Folded Spill
	v_add_co_u32_e32 v1, vcc, s18, v2
	v_add3_u32 v7, v7, v9, v10
	buffer_store_dword v1, off, s[36:39], 0 offset:56 ; 4-byte Folded Spill
	v_addc_co_u32_e32 v1, vcc, v8, v3, vcc
	v_lshlrev_b64 v[2:3], 1, v[6:7]
	buffer_store_dword v1, off, s[36:39], 0 offset:60 ; 4-byte Folded Spill
	v_mov_b32_e32 v6, s17
	v_add_co_u32_e32 v1, vcc, s16, v2
	buffer_store_dword v1, off, s[36:39], 0 offset:64 ; 4-byte Folded Spill
	v_addc_co_u32_e32 v1, vcc, v6, v3, vcc
	buffer_store_dword v1, off, s[36:39], 0 offset:68 ; 4-byte Folded Spill
	v_mov_b32_e32 v6, s19
	v_add_co_u32_e32 v1, vcc, s18, v2
	buffer_store_dword v1, off, s[36:39], 0 offset:72 ; 4-byte Folded Spill
	v_addc_co_u32_e32 v1, vcc, v6, v3, vcc
	v_add_co_u32_e32 v2, vcc, 3, v0
	v_addc_co_u32_e32 v3, vcc, 0, v17, vcc
	v_mul_lo_u32 v6, s14, v3
	v_mul_lo_u32 v7, s15, v2
	v_mad_u64_u32 v[2:3], s[0:1], s14, v2, 0
	buffer_store_dword v1, off, s[36:39], 0 offset:76 ; 4-byte Folded Spill
	v_mul_lo_u32 v13, s14, v13
	v_add3_u32 v3, v3, v6, v7
	v_lshlrev_b64 v[2:3], 1, v[2:3]
	v_mov_b32_e32 v6, s17
	v_add_co_u32_e32 v1, vcc, s16, v2
	buffer_store_dword v1, off, s[36:39], 0 offset:80 ; 4-byte Folded Spill
	v_addc_co_u32_e32 v1, vcc, v6, v3, vcc
	buffer_store_dword v1, off, s[36:39], 0 offset:84 ; 4-byte Folded Spill
	v_mov_b32_e32 v6, s19
	v_add_co_u32_e32 v1, vcc, s18, v2
	buffer_store_dword v1, off, s[36:39], 0 offset:92 ; 4-byte Folded Spill
	v_addc_co_u32_e32 v1, vcc, v6, v3, vcc
	v_add_co_u32_e32 v0, vcc, 2, v0
	buffer_store_dword v1, off, s[36:39], 0 offset:88 ; 4-byte Folded Spill
	v_addc_co_u32_e32 v1, vcc, 0, v17, vcc
	v_mul_lo_u32 v2, s14, v1
	v_mul_lo_u32 v3, s15, v0
	v_mad_u64_u32 v[0:1], s[0:1], s14, v0, 0
	v_mul_lo_u32 v11, s14, v11
	v_mul_lo_u32 v14, s14, v14
	v_add3_u32 v1, v1, v2, v3
	v_lshlrev_b64 v[0:1], 1, v[0:1]
	v_mov_b32_e32 v2, s17
	v_add_co_u32_e32 v58, vcc, s16, v0
	v_addc_co_u32_e32 v59, vcc, v2, v1, vcc
	v_mov_b32_e32 v2, s19
	v_add_co_u32_e32 v60, vcc, s18, v0
	v_mov_b32_e32 v3, v61
	v_addc_co_u32_e32 v61, vcc, v2, v1, vcc
	v_lshlrev_b64 v[0:1], 1, v[4:5]
	v_mov_b32_e32 v2, s17
	v_add_co_u32_e32 v62, vcc, s16, v0
	v_addc_co_u32_e32 v63, vcc, v2, v1, vcc
	v_mov_b32_e32 v2, s19
	v_add_co_u32_e32 v49, vcc, s18, v0
	v_addc_co_u32_e32 v50, vcc, v2, v1, vcc
	v_mov_b32_e32 v2, 0
	v_add_u32_e32 v0, s33, v3
	v_mov_b32_e32 v1, v2
	v_lshlrev_b64 v[47:48], 1, v[0:1]
	v_mbcnt_lo_u32_b32 v0, -1, 0
	v_mbcnt_hi_u32_b32 v0, -1, v0
	v_lshlrev_b32_e32 v0, 2, v0
	v_add3_u32 v32, v16, v32, v13
	v_add3_u32 v34, v16, v34, v13
	;; [unrolled: 1-line block ×6, first 2 shown]
	v_and_b32_e32 v0, 0x100, v0
	v_mov_b32_e32 v54, 0
	v_mov_b32_e32 v1, 0
	buffer_store_dword v3, off, s[36:39], 0 offset:96 ; 4-byte Folded Spill
.LBB92_53:                              ; =>This Inner Loop Header: Depth=1
	v_mov_b32_e32 v3, s12
	v_mov_b32_e32 v4, s13
	v_cmp_ge_i64_e32 vcc, s[30:31], v[3:4]
	buffer_load_dword v4, off, s[36:39], 0 offset:104 ; 4-byte Folded Reload
	v_mov_b32_e32 v3, s31
	s_and_b64 vcc, exec, vcc
                                        ; implicit-def: $vgpr5
                                        ; implicit-def: $vgpr11
	s_waitcnt vmcnt(0)
	v_add_co_u32_e64 v51, s[0:1], s30, v4
	v_addc_co_u32_e64 v52, s[0:1], 0, v3, s[0:1]
	s_mov_b64 s[0:1], -1
	s_cbranch_vccz .LBB92_75
; %bb.54:                               ;   in Loop: Header=BB92_53 Depth=1
	buffer_store_dword v54, off, s[36:39], 0 offset:108 ; 4-byte Folded Spill
	s_load_dword s0, s[26:27], 0xc
	buffer_load_dword v3, off, s[36:39], 0 offset:96 ; 4-byte Folded Reload
	buffer_load_dword v4, off, s[36:39], 0 offset:100 ; 4-byte Folded Reload
	v_mov_b32_e32 v55, 0
	v_mov_b32_e32 v53, 0
	s_waitcnt lgkmcnt(0)
	s_and_b32 s0, s0, 0xffff
	s_waitcnt vmcnt(0)
	v_mad_u32_u24 v3, v4, s0, v3
	v_and_b32_e32 v3, 63, v3
	v_cmp_gt_u32_e32 vcc, 8, v3
	s_and_saveexec_b64 s[0:1], vcc
	s_cbranch_execz .LBB92_58
; %bb.55:                               ;   in Loop: Header=BB92_53 Depth=1
	v_add_co_u32_e32 v3, vcc, v51, v3
	v_addc_co_u32_e32 v4, vcc, 0, v52, vcc
	v_add_co_u32_e32 v3, vcc, 0xffffff01, v3
	v_addc_co_u32_e32 v4, vcc, -1, v4, vcc
	v_cmp_gt_i64_e32 vcc, s[12:13], v[3:4]
	v_mov_b32_e32 v53, 0
	v_mov_b32_e32 v55, 0
	s_and_saveexec_b64 s[2:3], vcc
	s_cbranch_execz .LBB92_57
; %bb.56:                               ;   in Loop: Header=BB92_53 Depth=1
	v_lshlrev_b64 v[3:4], 2, v[3:4]
	v_mov_b32_e32 v6, s23
	v_add_co_u32_e32 v5, vcc, s22, v3
	v_addc_co_u32_e32 v6, vcc, v6, v4, vcc
	v_mov_b32_e32 v7, s21
	v_add_co_u32_e32 v3, vcc, s20, v3
	v_addc_co_u32_e32 v4, vcc, v7, v4, vcc
	global_load_dword v53, v[3:4], off
	global_load_dword v55, v[5:6], off
.LBB92_57:                              ;   in Loop: Header=BB92_53 Depth=1
	s_or_b64 exec, exec, s[2:3]
.LBB92_58:                              ;   in Loop: Header=BB92_53 Depth=1
	s_or_b64 exec, exec, s[0:1]
	v_add_co_u32_e32 v3, vcc, 0xffffff01, v51
	v_addc_co_u32_e32 v4, vcc, -1, v52, vcc
	v_mov_b32_e32 v9, v2
	v_cmp_gt_i64_e32 vcc, s[12:13], v[3:4]
	v_mov_b32_e32 v3, v2
	v_mov_b32_e32 v4, v2
	;; [unrolled: 1-line block ×22, first 2 shown]
	s_and_saveexec_b64 s[0:1], vcc
	s_cbranch_execz .LBB92_60
; %bb.59:                               ;   in Loop: Header=BB92_53 Depth=1
	buffer_load_dword v3, off, s[36:39], 0  ; 4-byte Folded Reload
	buffer_load_dword v4, off, s[36:39], 0 offset:4 ; 4-byte Folded Reload
	v_mov_b32_e32 v5, v2
	v_mov_b32_e32 v6, v2
	v_mov_b32_e32 v7, v2
	v_mov_b32_e32 v8, v2
	v_mov_b32_e32 v9, v2
	v_mov_b32_e32 v10, v2
	v_mov_b32_e32 v12, v2
	v_mov_b32_e32 v13, v2
	v_mov_b32_e32 v14, v2
	v_mov_b32_e32 v16, v2
	v_mov_b32_e32 v17, v2
	v_mov_b32_e32 v18, v2
	s_waitcnt vmcnt(1)
	v_add_co_u32_e32 v3, vcc, v3, v47
	s_waitcnt vmcnt(0)
	v_addc_co_u32_e32 v4, vcc, v4, v48, vcc
	global_load_ushort v11, v[3:4], off
	s_nop 0
	buffer_load_dword v3, off, s[36:39], 0 offset:8 ; 4-byte Folded Reload
	buffer_load_dword v4, off, s[36:39], 0 offset:12 ; 4-byte Folded Reload
	s_waitcnt vmcnt(1)
	v_add_co_u32_e32 v3, vcc, v3, v47
	s_waitcnt vmcnt(0)
	v_addc_co_u32_e32 v4, vcc, v4, v48, vcc
	global_load_ushort v15, v[3:4], off
	v_cvt_f32_f16_e32 v3, v11
	v_mov_b32_e32 v4, v2
	s_waitcnt vmcnt(0)
	v_cvt_f32_f16_e32 v11, v15
	v_mov_b32_e32 v15, v2
.LBB92_60:                              ;   in Loop: Header=BB92_53 Depth=1
	s_or_b64 exec, exec, s[0:1]
	v_add_co_u32_e32 v56, vcc, 0xffffff02, v51
	v_addc_co_u32_e32 v57, vcc, -1, v52, vcc
	v_cmp_gt_i64_e32 vcc, s[12:13], v[56:57]
	s_and_saveexec_b64 s[0:1], vcc
	s_cbranch_execz .LBB92_62
; %bb.61:                               ;   in Loop: Header=BB92_53 Depth=1
	v_add_co_u32_e32 v56, vcc, v62, v47
	v_addc_co_u32_e32 v57, vcc, v63, v48, vcc
	global_load_ushort v4, v[56:57], off
	v_add_co_u32_e32 v56, vcc, v49, v47
	v_addc_co_u32_e32 v57, vcc, v50, v48, vcc
	global_load_ushort v12, v[56:57], off
	s_waitcnt vmcnt(1)
	v_cvt_f32_f16_e32 v4, v4
	s_waitcnt vmcnt(0)
	v_cvt_f32_f16_e32 v12, v12
.LBB92_62:                              ;   in Loop: Header=BB92_53 Depth=1
	s_or_b64 exec, exec, s[0:1]
	v_add_co_u32_e32 v56, vcc, 0xffffff03, v51
	v_addc_co_u32_e32 v57, vcc, -1, v52, vcc
	v_cmp_gt_i64_e32 vcc, s[12:13], v[56:57]
	s_and_saveexec_b64 s[0:1], vcc
	s_cbranch_execz .LBB92_64
; %bb.63:                               ;   in Loop: Header=BB92_53 Depth=1
	v_add_co_u32_e32 v56, vcc, v58, v47
	v_addc_co_u32_e32 v57, vcc, v59, v48, vcc
	global_load_ushort v5, v[56:57], off
	v_add_co_u32_e32 v56, vcc, v60, v47
	v_addc_co_u32_e32 v57, vcc, v61, v48, vcc
	global_load_ushort v13, v[56:57], off
	s_waitcnt vmcnt(1)
	v_cvt_f32_f16_e32 v5, v5
	s_waitcnt vmcnt(0)
	v_cvt_f32_f16_e32 v13, v13
.LBB92_64:                              ;   in Loop: Header=BB92_53 Depth=1
	s_or_b64 exec, exec, s[0:1]
	v_add_co_u32_e32 v56, vcc, 0xffffff04, v51
	v_addc_co_u32_e32 v57, vcc, -1, v52, vcc
	v_cmp_gt_i64_e32 vcc, s[12:13], v[56:57]
	s_and_saveexec_b64 s[0:1], vcc
	s_cbranch_execz .LBB92_66
; %bb.65:                               ;   in Loop: Header=BB92_53 Depth=1
	buffer_load_dword v6, off, s[36:39], 0 offset:80 ; 4-byte Folded Reload
	buffer_load_dword v14, off, s[36:39], 0 offset:92 ; 4-byte Folded Reload
	s_waitcnt vmcnt(1)
	v_add_co_u32_e32 v56, vcc, v6, v47
	buffer_load_dword v6, off, s[36:39], 0 offset:84 ; 4-byte Folded Reload
	s_waitcnt vmcnt(0)
	v_addc_co_u32_e32 v57, vcc, v6, v48, vcc
	global_load_ushort v6, v[56:57], off
	v_add_co_u32_e32 v56, vcc, v14, v47
	buffer_load_dword v14, off, s[36:39], 0 offset:88 ; 4-byte Folded Reload
	s_waitcnt vmcnt(1)
	v_cvt_f32_f16_e32 v6, v6
	s_waitcnt vmcnt(0)
	v_addc_co_u32_e32 v57, vcc, v14, v48, vcc
	global_load_ushort v14, v[56:57], off
	s_waitcnt vmcnt(0)
	v_cvt_f32_f16_e32 v14, v14
.LBB92_66:                              ;   in Loop: Header=BB92_53 Depth=1
	s_or_b64 exec, exec, s[0:1]
	v_add_co_u32_e32 v56, vcc, 0xffffff05, v51
	v_addc_co_u32_e32 v57, vcc, -1, v52, vcc
	v_cmp_gt_i64_e32 vcc, s[12:13], v[56:57]
	s_and_saveexec_b64 s[0:1], vcc
	s_cbranch_execz .LBB92_68
; %bb.67:                               ;   in Loop: Header=BB92_53 Depth=1
	buffer_load_dword v7, off, s[36:39], 0 offset:64 ; 4-byte Folded Reload
	buffer_load_dword v15, off, s[36:39], 0 offset:72 ; 4-byte Folded Reload
	s_waitcnt vmcnt(1)
	v_add_co_u32_e32 v56, vcc, v7, v47
	buffer_load_dword v7, off, s[36:39], 0 offset:68 ; 4-byte Folded Reload
	s_waitcnt vmcnt(0)
	v_addc_co_u32_e32 v57, vcc, v7, v48, vcc
	global_load_ushort v7, v[56:57], off
	v_add_co_u32_e32 v56, vcc, v15, v47
	buffer_load_dword v15, off, s[36:39], 0 offset:76 ; 4-byte Folded Reload
	s_waitcnt vmcnt(1)
	v_cvt_f32_f16_e32 v7, v7
	s_waitcnt vmcnt(0)
	v_addc_co_u32_e32 v57, vcc, v15, v48, vcc
	global_load_ushort v15, v[56:57], off
	s_waitcnt vmcnt(0)
	v_cvt_f32_f16_e32 v15, v15
.LBB92_68:                              ;   in Loop: Header=BB92_53 Depth=1
	;; [unrolled: 25-line block ×5, first 2 shown]
	s_or_b64 exec, exec, s[0:1]
	buffer_load_dword v54, off, s[36:39], 0 offset:108 ; 4-byte Folded Reload
	s_waitcnt vmcnt(2)
	ds_bpermute_b32 v57, v0, v53
	s_waitcnt vmcnt(1)
	ds_bpermute_b32 v56, v0, v55
	s_mov_b64 s[0:1], 0
	s_waitcnt lgkmcnt(1)
	v_sub_f32_e32 v11, v11, v57
	ds_bpermute_b32 v57, v0, v53 offset:4
	v_mul_f32_e32 v11, v3, v11
	s_waitcnt lgkmcnt(1)
	v_fma_f32 v11, v11, v56, v1
	ds_bpermute_b32 v56, v0, v55 offset:4
	s_waitcnt lgkmcnt(1)
	v_sub_f32_e32 v12, v12, v57
	v_mul_f32_e32 v12, v4, v12
	s_waitcnt lgkmcnt(0)
	v_fmac_f32_e32 v11, v12, v56
	ds_bpermute_b32 v12, v0, v53 offset:8
	s_waitcnt lgkmcnt(0)
	v_sub_f32_e32 v12, v13, v12
	v_mul_f32_e32 v12, v5, v12
	s_waitcnt vmcnt(0)
	v_add_f32_e32 v3, v54, v3
	v_add_f32_e32 v3, v4, v3
	ds_bpermute_b32 v4, v0, v55 offset:8
	v_add_f32_e32 v3, v5, v3
	ds_bpermute_b32 v5, v0, v53 offset:12
	v_add_f32_e32 v3, v6, v3
	v_add_f32_e32 v3, v7, v3
	s_waitcnt lgkmcnt(1)
	v_fmac_f32_e32 v11, v12, v4
	ds_bpermute_b32 v4, v0, v55 offset:12
	s_waitcnt lgkmcnt(1)
	v_sub_f32_e32 v5, v14, v5
	v_mul_f32_e32 v5, v6, v5
	v_add_f32_e32 v3, v8, v3
	v_add_f32_e32 v3, v9, v3
	s_waitcnt lgkmcnt(0)
	v_fmac_f32_e32 v11, v5, v4
	ds_bpermute_b32 v5, v0, v53 offset:16
	ds_bpermute_b32 v4, v0, v55 offset:16
	s_waitcnt lgkmcnt(1)
	v_sub_f32_e32 v5, v15, v5
	v_mul_f32_e32 v5, v7, v5
	s_waitcnt lgkmcnt(0)
	v_fmac_f32_e32 v11, v5, v4
	ds_bpermute_b32 v5, v0, v53 offset:20
	ds_bpermute_b32 v4, v0, v55 offset:20
	s_waitcnt lgkmcnt(1)
	v_sub_f32_e32 v5, v16, v5
	v_mul_f32_e32 v5, v8, v5
	;; [unrolled: 7-line block ×4, first 2 shown]
	s_waitcnt lgkmcnt(0)
	v_fmac_f32_e32 v11, v5, v4
	v_add_f32_e32 v5, v10, v3
.LBB92_75:                              ;   in Loop: Header=BB92_53 Depth=1
	s_and_b64 vcc, exec, s[0:1]
	s_cbranch_vccz .LBB92_81
; %bb.76:                               ;   in Loop: Header=BB92_53 Depth=1
	s_load_dword s0, s[26:27], 0x0
	v_mov_b32_e32 v5, 0
	s_waitcnt lgkmcnt(0)
	s_cmp_lt_u32 s6, s0
	s_cselect_b32 s0, 12, 18
	s_add_u32 s0, s26, s0
	s_addc_u32 s1, s27, 0
	global_load_ushort v3, v2, s[0:1]
	buffer_load_dword v4, off, s[36:39], 0 offset:96 ; 4-byte Folded Reload
	buffer_load_dword v6, off, s[36:39], 0 offset:100 ; 4-byte Folded Reload
	s_waitcnt vmcnt(0)
	v_mad_u32_u24 v3, v6, v3, v4
	v_and_b32_e32 v3, 63, v3
	v_cmp_gt_u32_e32 vcc, 8, v3
	v_mov_b32_e32 v6, 0
	s_and_saveexec_b64 s[0:1], vcc
	s_cbranch_execz .LBB92_80
; %bb.77:                               ;   in Loop: Header=BB92_53 Depth=1
	v_add_co_u32_e32 v3, vcc, v51, v3
	v_addc_co_u32_e32 v4, vcc, 0, v52, vcc
	v_add_co_u32_e32 v3, vcc, 0xffffff01, v3
	v_addc_co_u32_e32 v4, vcc, -1, v4, vcc
	v_cmp_gt_i64_e32 vcc, s[12:13], v[3:4]
	v_mov_b32_e32 v6, 0
	v_mov_b32_e32 v5, 0
	s_and_saveexec_b64 s[2:3], vcc
	s_cbranch_execz .LBB92_79
; %bb.78:                               ;   in Loop: Header=BB92_53 Depth=1
	v_lshlrev_b64 v[3:4], 2, v[3:4]
	v_mov_b32_e32 v5, s23
	v_add_co_u32_e32 v7, vcc, s22, v3
	v_addc_co_u32_e32 v8, vcc, v5, v4, vcc
	v_mov_b32_e32 v5, s21
	v_add_co_u32_e32 v3, vcc, s20, v3
	v_addc_co_u32_e32 v4, vcc, v5, v4, vcc
	global_load_dword v6, v[3:4], off
	global_load_dword v5, v[7:8], off
.LBB92_79:                              ;   in Loop: Header=BB92_53 Depth=1
	s_or_b64 exec, exec, s[2:3]
.LBB92_80:                              ;   in Loop: Header=BB92_53 Depth=1
	s_or_b64 exec, exec, s[0:1]
	buffer_load_dword v3, off, s[36:39], 0 offset:8 ; 4-byte Folded Reload
	buffer_load_dword v4, off, s[36:39], 0 offset:12 ; 4-byte Folded Reload
	v_add_co_u32_e64 v9, s[0:1], v25, v47
	v_add_co_u32_e64 v11, s[2:3], v27, v47
	;; [unrolled: 1-line block ×4, first 2 shown]
	s_waitcnt vmcnt(1)
	v_add_co_u32_e32 v3, vcc, v3, v47
	s_waitcnt vmcnt(0)
	v_addc_co_u32_e32 v4, vcc, v4, v48, vcc
	global_load_ushort v51, v[3:4], off
	s_nop 0
	buffer_load_dword v3, off, s[36:39], 0  ; 4-byte Folded Reload
	buffer_load_dword v4, off, s[36:39], 0 offset:4 ; 4-byte Folded Reload
	s_waitcnt vmcnt(1)
	v_add_co_u32_e32 v3, vcc, v3, v47
	s_waitcnt vmcnt(0)
	v_addc_co_u32_e32 v4, vcc, v4, v48, vcc
	global_load_ushort v52, v[3:4], off
	v_add_co_u32_e32 v3, vcc, v21, v47
	v_addc_co_u32_e32 v4, vcc, v22, v48, vcc
	global_load_ushort v8, v[3:4], off
	v_add_co_u32_e32 v3, vcc, v19, v47
	;; [unrolled: 3-line block ×3, first 2 shown]
	v_addc_co_u32_e32 v4, vcc, v24, v48, vcc
	v_addc_co_u32_e64 v10, vcc, v26, v48, s[0:1]
	v_add_co_u32_e32 v17, vcc, v33, v47
	v_addc_co_u32_e64 v12, s[0:1], v28, v48, s[2:3]
	v_addc_co_u32_e64 v14, s[0:1], v30, v48, s[8:9]
	;; [unrolled: 1-line block ×3, first 2 shown]
	v_addc_co_u32_e32 v18, vcc, v34, v48, vcc
	global_load_ushort v3, v[3:4], off
	s_nop 0
	global_load_ushort v4, v[9:10], off
	s_nop 0
	global_load_ushort v9, v[11:12], off
	global_load_ushort v10, v[13:14], off
	v_add_co_u32_e64 v13, s[0:1], v35, v47
	global_load_ushort v11, v[15:16], off
	global_load_ushort v12, v[17:18], off
	v_add_co_u32_e32 v15, vcc, v37, v47
	v_addc_co_u32_e64 v14, s[0:1], v36, v48, s[0:1]
	v_addc_co_u32_e32 v16, vcc, v38, v48, vcc
	global_load_ushort v17, v[13:14], off
	s_nop 0
	global_load_ushort v15, v[15:16], off
	v_add_co_u32_e32 v13, vcc, v39, v47
	v_addc_co_u32_e32 v14, vcc, v40, v48, vcc
	global_load_ushort v16, v[13:14], off
	ds_bpermute_b32 v13, v0, v6
	v_cvt_f32_f16_e32 v14, v51
	s_waitcnt lgkmcnt(0)
	v_sub_f32_e32 v13, v14, v13
	ds_bpermute_b32 v14, v0, v5
	s_waitcnt vmcnt(11)
	v_cvt_f32_f16_e32 v18, v52
	v_mul_f32_e32 v13, v13, v18
	s_waitcnt lgkmcnt(0)
	v_fmac_f32_e32 v1, v13, v14
	v_add_co_u32_e32 v13, vcc, v41, v47
	v_addc_co_u32_e32 v14, vcc, v42, v48, vcc
	global_load_ushort v13, v[13:14], off
	ds_bpermute_b32 v14, v0, v6 offset:4
	s_waitcnt vmcnt(11)
	v_cvt_f32_f16_e32 v8, v8
	s_waitcnt vmcnt(10)
	v_cvt_f32_f16_e32 v51, v7
	s_waitcnt lgkmcnt(0)
	v_sub_f32_e32 v8, v8, v14
	ds_bpermute_b32 v14, v0, v5 offset:4
	v_mul_f32_e32 v7, v8, v51
	s_waitcnt lgkmcnt(0)
	v_fmac_f32_e32 v1, v7, v14
	v_add_co_u32_e32 v7, vcc, v43, v47
	v_addc_co_u32_e32 v8, vcc, v44, v48, vcc
	global_load_ushort v14, v[7:8], off
	v_add_co_u32_e32 v7, vcc, v45, v47
	v_addc_co_u32_e32 v8, vcc, v46, v48, vcc
	global_load_ushort v7, v[7:8], off
	s_waitcnt vmcnt(9)
	v_cvt_f32_f16_e32 v8, v9
	s_waitcnt vmcnt(8)
	v_cvt_f32_f16_e32 v9, v10
	;; [unrolled: 2-line block ×5, first 2 shown]
	v_add_f32_e32 v17, v54, v18
	ds_bpermute_b32 v18, v0, v6 offset:8
	v_cvt_f32_f16_e32 v4, v4
	v_cvt_f32_f16_e32 v3, v3
	v_add_f32_e32 v17, v17, v51
	ds_bpermute_b32 v51, v0, v5 offset:8
	s_waitcnt lgkmcnt(1)
	v_sub_f32_e32 v4, v4, v18
	ds_bpermute_b32 v18, v0, v6 offset:12
	v_mul_f32_e32 v4, v4, v3
	v_add_f32_e32 v3, v17, v3
	s_waitcnt lgkmcnt(1)
	v_fmac_f32_e32 v1, v4, v51
	ds_bpermute_b32 v4, v0, v5 offset:12
	s_waitcnt lgkmcnt(1)
	v_sub_f32_e32 v9, v9, v18
	ds_bpermute_b32 v17, v0, v6 offset:16
	v_mul_f32_e32 v9, v9, v8
	v_add_f32_e32 v3, v3, v8
	s_waitcnt lgkmcnt(1)
	v_fmac_f32_e32 v1, v9, v4
	ds_bpermute_b32 v4, v0, v5 offset:16
	s_waitcnt lgkmcnt(1)
	v_sub_f32_e32 v8, v11, v17
	ds_bpermute_b32 v9, v0, v6 offset:20
	s_waitcnt vmcnt(4)
	v_cvt_f32_f16_e32 v15, v15
	v_mul_f32_e32 v8, v8, v10
	s_waitcnt lgkmcnt(1)
	v_fmac_f32_e32 v1, v8, v4
	ds_bpermute_b32 v4, v0, v5 offset:20
	s_waitcnt lgkmcnt(1)
	v_sub_f32_e32 v8, v15, v9
	ds_bpermute_b32 v9, v0, v6 offset:24
	v_mul_f32_e32 v8, v8, v12
	s_waitcnt vmcnt(3)
	v_cvt_f32_f16_e32 v16, v16
	s_waitcnt lgkmcnt(1)
	v_fmac_f32_e32 v1, v8, v4
	ds_bpermute_b32 v4, v0, v5 offset:24
	ds_bpermute_b32 v6, v0, v6 offset:28
	ds_bpermute_b32 v5, v0, v5 offset:28
	v_add_f32_e32 v3, v3, v10
	v_add_f32_e32 v3, v3, v12
	;; [unrolled: 1-line block ×3, first 2 shown]
	s_waitcnt vmcnt(2)
	v_cvt_f32_f16_e32 v13, v13
	s_waitcnt lgkmcnt(3)
	v_sub_f32_e32 v8, v13, v9
	v_mul_f32_e32 v8, v8, v16
	s_waitcnt lgkmcnt(2)
	v_fmac_f32_e32 v1, v8, v4
	s_waitcnt vmcnt(1)
	v_cvt_f32_f16_e32 v14, v14
	s_waitcnt vmcnt(0)
	v_cvt_f32_f16_e32 v7, v7
	s_waitcnt lgkmcnt(1)
	v_sub_f32_e32 v4, v7, v6
	v_mul_f32_e32 v4, v4, v14
	s_waitcnt lgkmcnt(0)
	v_fmac_f32_e32 v1, v4, v5
	v_add_f32_e32 v5, v3, v14
	v_mov_b32_e32 v11, v1
.LBB92_81:                              ;   in Loop: Header=BB92_53 Depth=1
	buffer_load_dword v1, off, s[36:39], 0  ; 4-byte Folded Reload
	buffer_load_dword v3, off, s[36:39], 0 offset:4 ; 4-byte Folded Reload
	s_add_u32 s24, s24, s7
	s_addc_u32 s25, s25, 0
	s_add_u32 s30, s30, s7
	s_addc_u32 s31, s31, 0
	s_waitcnt vmcnt(1)
	v_add_co_u32_e32 v1, vcc, s28, v1
	buffer_store_dword v1, off, s[36:39], 0 ; 4-byte Folded Spill
	v_mov_b32_e32 v1, s29
	s_waitcnt vmcnt(1)
	v_addc_co_u32_e32 v3, vcc, v3, v1, vcc
	buffer_store_dword v3, off, s[36:39], 0 offset:4 ; 4-byte Folded Spill
	buffer_load_dword v3, off, s[36:39], 0 offset:8 ; 4-byte Folded Reload
	s_waitcnt vmcnt(0)
	v_add_co_u32_e32 v3, vcc, s28, v3
	buffer_store_dword v3, off, s[36:39], 0 offset:8 ; 4-byte Folded Spill
	buffer_load_dword v3, off, s[36:39], 0 offset:12 ; 4-byte Folded Reload
	s_waitcnt vmcnt(0)
	v_addc_co_u32_e32 v3, vcc, v3, v1, vcc
	buffer_store_dword v3, off, s[36:39], 0 offset:12 ; 4-byte Folded Spill
	buffer_load_dword v3, off, s[36:39], 0 offset:16 ; 4-byte Folded Reload
	v_add_co_u32_e32 v19, vcc, s28, v19
	v_addc_co_u32_e32 v20, vcc, v20, v1, vcc
	v_add_co_u32_e32 v23, vcc, s28, v23
	v_addc_co_u32_e32 v24, vcc, v24, v1, vcc
	;; [unrolled: 2-line block ×14, first 2 shown]
	s_waitcnt vmcnt(0)
	v_add_co_u32_e32 v3, vcc, s28, v3
	buffer_store_dword v3, off, s[36:39], 0 offset:16 ; 4-byte Folded Spill
	buffer_load_dword v3, off, s[36:39], 0 offset:20 ; 4-byte Folded Reload
	s_waitcnt vmcnt(0)
	v_addc_co_u32_e32 v3, vcc, v3, v1, vcc
	buffer_store_dword v3, off, s[36:39], 0 offset:20 ; 4-byte Folded Spill
	buffer_load_dword v3, off, s[36:39], 0 offset:24 ; 4-byte Folded Reload
	s_waitcnt vmcnt(0)
	v_add_co_u32_e32 v3, vcc, s28, v3
	buffer_store_dword v3, off, s[36:39], 0 offset:24 ; 4-byte Folded Spill
	buffer_load_dword v3, off, s[36:39], 0 offset:28 ; 4-byte Folded Reload
	s_waitcnt vmcnt(0)
	v_addc_co_u32_e32 v3, vcc, v3, v1, vcc
	buffer_store_dword v3, off, s[36:39], 0 offset:28 ; 4-byte Folded Spill
	buffer_load_dword v3, off, s[36:39], 0 offset:32 ; 4-byte Folded Reload
	;; [unrolled: 8-line block ×9, first 2 shown]
	s_waitcnt vmcnt(0)
	v_add_co_u32_e32 v3, vcc, s28, v3
	buffer_store_dword v3, off, s[36:39], 0 offset:92 ; 4-byte Folded Spill
	buffer_load_dword v3, off, s[36:39], 0 offset:88 ; 4-byte Folded Reload
	s_waitcnt vmcnt(0)
	v_addc_co_u32_e32 v3, vcc, v3, v1, vcc
	v_add_co_u32_e32 v58, vcc, s28, v58
	v_addc_co_u32_e32 v59, vcc, v59, v1, vcc
	v_add_co_u32_e32 v60, vcc, s28, v60
	;; [unrolled: 2-line block ×3, first 2 shown]
	v_addc_co_u32_e32 v63, vcc, v63, v1, vcc
	buffer_store_dword v3, off, s[36:39], 0 offset:88 ; 4-byte Folded Spill
	v_add_co_u32_e32 v49, vcc, s28, v49
	v_mov_b32_e32 v3, s12
	v_addc_co_u32_e32 v50, vcc, v50, v1, vcc
	v_mov_b32_e32 v4, s13
	v_cmp_ge_i64_e32 vcc, s[24:25], v[3:4]
	s_cbranch_vccnz .LBB92_83
; %bb.82:                               ;   in Loop: Header=BB92_53 Depth=1
	v_mov_b32_e32 v54, v5
	v_mov_b32_e32 v1, v11
	s_branch .LBB92_53
.LBB92_83:
	buffer_load_dword v61, off, s[36:39], 0 offset:96 ; 4-byte Folded Reload
	buffer_load_dword v1, off, s[36:39], 0 offset:100 ; 4-byte Folded Reload
	v_mov_b32_e32 v60, v5
.LBB92_84:
	s_waitcnt vmcnt(0)
	v_mad_u32_u24 v0, v1, 33, v61
	v_sub_u32_e32 v3, v0, v1
	s_movk_i32 s0, 0x800
	v_lshl_add_u32 v2, v0, 2, 0
	v_cmp_gt_u32_e32 vcc, s0, v3
	ds_write_b32 v2, v11
	ds_write_b32 v2, v60 offset:4224
	s_waitcnt lgkmcnt(0)
	s_barrier
	s_and_saveexec_b64 s[0:1], vcc
	s_cbranch_execz .LBB92_100
; %bb.85:
	s_load_dwordx4 s[8:11], s[4:5], 0x30
	v_and_b32_e32 v0, 63, v3
	v_lshrrev_b32_e32 v2, 6, v3
	v_cmp_gt_u32_e64 s[0:1], 32, v0
	v_mul_u32_u24_e32 v4, 33, v0
                                        ; implicit-def: $vgpr0
                                        ; implicit-def: $vgpr1
	s_and_saveexec_b64 s[2:3], s[0:1]
	s_cbranch_execz .LBB92_87
; %bb.86:
	v_add_u32_e32 v0, v2, v4
	v_lshl_add_u32 v0, v0, 2, 0
	ds_read_b32 v1, v0
	ds_read_b32 v0, v0 offset:4224
.LBB92_87:
	s_or_b64 exec, exec, s[2:3]
	v_mbcnt_lo_u32_b32 v5, -1, 0
	v_mbcnt_hi_u32_b32 v9, -1, v5
	v_and_b32_e32 v5, 64, v9
	v_add_u32_e32 v10, 64, v5
	v_xor_b32_e32 v5, 16, v9
	v_cmp_lt_i32_e32 vcc, v5, v10
	v_cndmask_b32_e32 v5, v9, v5, vcc
	v_lshlrev_b32_e32 v5, 2, v5
	s_waitcnt lgkmcnt(0)
	ds_bpermute_b32 v6, v5, v1
	v_xor_b32_e32 v7, 8, v9
	v_cmp_lt_i32_e32 vcc, v7, v10
	ds_bpermute_b32 v8, v5, v0
	s_mov_b32 s7, 0
	s_waitcnt lgkmcnt(1)
	v_add_f32_e32 v1, v1, v6
	v_cndmask_b32_e32 v6, v9, v7, vcc
	v_lshlrev_b32_e32 v6, 2, v6
	ds_bpermute_b32 v7, v6, v1
	s_waitcnt lgkmcnt(1)
	v_add_f32_e32 v0, v0, v8
	ds_bpermute_b32 v8, v6, v0
	s_lshl_b64 s[4:5], s[6:7], 5
	s_cmp_lg_u64 s[8:9], 0
	s_waitcnt lgkmcnt(1)
	v_add_f32_e32 v1, v1, v7
	v_xor_b32_e32 v7, 4, v9
	v_cmp_lt_i32_e32 vcc, v7, v10
	v_cndmask_b32_e32 v7, v9, v7, vcc
	v_lshlrev_b32_e32 v7, 2, v7
	ds_bpermute_b32 v11, v7, v1
	s_waitcnt lgkmcnt(1)
	v_add_f32_e32 v0, v0, v8
	v_xor_b32_e32 v8, 2, v9
	v_cmp_lt_i32_e32 vcc, v8, v10
	v_cndmask_b32_e32 v8, v9, v8, vcc
	s_waitcnt lgkmcnt(0)
	v_add_f32_e32 v1, v1, v11
	v_lshlrev_b32_e32 v8, 2, v8
	ds_bpermute_b32 v11, v7, v0
	ds_bpermute_b32 v12, v8, v1
	v_cmp_eq_u32_e64 s[2:3], 0, v61
	s_cselect_b64 s[12:13], -1, 0
	s_cmp_lg_u64 s[10:11], 0
	s_waitcnt lgkmcnt(1)
	v_add_f32_e32 v0, v0, v11
	s_waitcnt lgkmcnt(0)
	v_add_f32_e32 v1, v1, v12
	v_xor_b32_e32 v12, 1, v9
	ds_bpermute_b32 v11, v8, v0
	v_cmp_lt_i32_e32 vcc, v12, v10
	v_cndmask_b32_e32 v9, v9, v12, vcc
	v_lshlrev_b32_e32 v9, 2, v9
	ds_bpermute_b32 v10, v9, v1
	s_waitcnt lgkmcnt(1)
	v_add_f32_e32 v11, v0, v11
	ds_bpermute_b32 v12, v9, v11
	v_or_b32_e32 v0, s4, v2
	s_cselect_b64 s[6:7], -1, 0
	s_waitcnt lgkmcnt(1)
	v_add_f32_e32 v10, v1, v10
	v_mov_b32_e32 v1, s5
	v_cmp_gt_i64_e32 vcc, s[14:15], v[0:1]
	s_waitcnt lgkmcnt(0)
	v_add_f32_e32 v11, v11, v12
	s_and_b64 s[18:19], s[2:3], vcc
	s_and_saveexec_b64 s[16:17], s[18:19]
	s_cbranch_execz .LBB92_92
; %bb.88:
	v_lshlrev_b64 v[0:1], 1, v[0:1]
	s_andn2_b64 vcc, exec, s[12:13]
	s_cbranch_vccnz .LBB92_90
; %bb.89:
	v_cvt_f16_f32_e32 v14, v10
	v_mov_b32_e32 v13, s9
	v_add_co_u32_e32 v12, vcc, s8, v0
	v_addc_co_u32_e32 v13, vcc, v13, v1, vcc
	global_store_short v[12:13], v14, off
.LBB92_90:
	s_andn2_b64 vcc, exec, s[6:7]
	s_cbranch_vccnz .LBB92_92
; %bb.91:
	v_cvt_f16_f32_e32 v13, v11
	v_mov_b32_e32 v12, s11
	v_add_co_u32_e32 v0, vcc, s10, v0
	v_addc_co_u32_e32 v1, vcc, v12, v1, vcc
	global_store_short v[0:1], v13, off
.LBB92_92:
	s_or_b64 exec, exec, s[16:17]
	s_movk_i32 s16, 0x400
	v_cmp_gt_u32_e32 vcc, s16, v3
	s_and_b64 exec, exec, vcc
	s_cbranch_execz .LBB92_100
; %bb.93:
	s_and_saveexec_b64 s[16:17], s[0:1]
	s_cbranch_execz .LBB92_95
; %bb.94:
	v_add_u32_e32 v0, v2, v4
	v_lshl_add_u32 v0, v0, 2, 0
	ds_read_b32 v10, v0 offset:64
	ds_read_b32 v11, v0 offset:4288
.LBB92_95:
	s_or_b64 exec, exec, s[16:17]
	s_waitcnt lgkmcnt(1)
	ds_bpermute_b32 v0, v5, v10
	s_waitcnt lgkmcnt(1)
	ds_bpermute_b32 v1, v5, v11
	v_add_u32_e32 v5, 16, v2
	v_or_b32_e32 v5, s4, v5
	s_waitcnt lgkmcnt(1)
	v_add_f32_e32 v0, v10, v0
	s_waitcnt lgkmcnt(0)
	v_add_f32_e32 v1, v11, v1
	ds_bpermute_b32 v3, v6, v0
	ds_bpermute_b32 v4, v6, v1
	v_mov_b32_e32 v6, s5
	v_cmp_gt_i64_e32 vcc, s[14:15], v[5:6]
	s_waitcnt lgkmcnt(1)
	v_add_f32_e32 v0, v0, v3
	s_waitcnt lgkmcnt(0)
	v_add_f32_e32 v1, v1, v4
	ds_bpermute_b32 v3, v7, v0
	ds_bpermute_b32 v4, v7, v1
	s_and_b64 s[0:1], s[2:3], vcc
	s_waitcnt lgkmcnt(1)
	v_add_f32_e32 v0, v0, v3
	s_waitcnt lgkmcnt(0)
	v_add_f32_e32 v1, v1, v4
	ds_bpermute_b32 v3, v8, v0
	ds_bpermute_b32 v4, v8, v1
	s_waitcnt lgkmcnt(1)
	v_add_f32_e32 v3, v0, v3
	s_waitcnt lgkmcnt(0)
	v_add_f32_e32 v0, v1, v4
	ds_bpermute_b32 v4, v9, v3
	ds_bpermute_b32 v1, v9, v0
	s_and_b64 exec, exec, s[0:1]
	s_cbranch_execz .LBB92_100
; %bb.96:
	s_andn2_b64 vcc, exec, s[12:13]
	s_cbranch_vccnz .LBB92_98
; %bb.97:
	s_waitcnt lgkmcnt(1)
	v_add_f32_e32 v5, v3, v4
	v_mov_b32_e32 v4, s5
	v_add_co_u32_e32 v3, vcc, s4, v2
	v_addc_co_u32_e32 v4, vcc, 0, v4, vcc
	v_lshlrev_b64 v[3:4], 1, v[3:4]
	v_cvt_f16_f32_e32 v5, v5
	v_mov_b32_e32 v6, s9
	v_add_co_u32_e32 v3, vcc, s8, v3
	v_addc_co_u32_e32 v4, vcc, v6, v4, vcc
	global_store_short v[3:4], v5, off offset:32
.LBB92_98:
	s_andn2_b64 vcc, exec, s[6:7]
	s_cbranch_vccnz .LBB92_100
; %bb.99:
	s_waitcnt lgkmcnt(0)
	v_add_f32_e32 v3, v0, v1
	v_mov_b32_e32 v1, s5
	v_add_co_u32_e32 v0, vcc, s4, v2
	v_addc_co_u32_e32 v1, vcc, 0, v1, vcc
	v_lshlrev_b64 v[0:1], 1, v[0:1]
	v_cvt_f16_f32_e32 v3, v3
	v_mov_b32_e32 v2, s11
	v_add_co_u32_e32 v0, vcc, s10, v0
	v_addc_co_u32_e32 v1, vcc, v2, v1, vcc
	global_store_short v[0:1], v3, off offset:32
.LBB92_100:
	s_endpgm
	.section	.rodata,"a",@progbits
	.p2align	6, 0x0
	.amdhsa_kernel _ZN2at6native12_GLOBAL__N_135GammaBetaBackwardCUDAKernelTemplateIN3c104HalfEfLj32ELj32ELj256ELb0ELb0ELb0EEEvllPKT_S7_PKT0_SA_PS5_SB_
		.amdhsa_group_segment_fixed_size 0
		.amdhsa_private_segment_fixed_size 116
		.amdhsa_kernarg_size 320
		.amdhsa_user_sgpr_count 6
		.amdhsa_user_sgpr_private_segment_buffer 1
		.amdhsa_user_sgpr_dispatch_ptr 0
		.amdhsa_user_sgpr_queue_ptr 0
		.amdhsa_user_sgpr_kernarg_segment_ptr 1
		.amdhsa_user_sgpr_dispatch_id 0
		.amdhsa_user_sgpr_flat_scratch_init 0
		.amdhsa_user_sgpr_private_segment_size 0
		.amdhsa_uses_dynamic_stack 0
		.amdhsa_system_sgpr_private_segment_wavefront_offset 1
		.amdhsa_system_sgpr_workgroup_id_x 1
		.amdhsa_system_sgpr_workgroup_id_y 1
		.amdhsa_system_sgpr_workgroup_id_z 0
		.amdhsa_system_sgpr_workgroup_info 0
		.amdhsa_system_vgpr_workitem_id 1
		.amdhsa_next_free_vgpr 64
		.amdhsa_next_free_sgpr 40
		.amdhsa_reserve_vcc 1
		.amdhsa_reserve_flat_scratch 0
		.amdhsa_float_round_mode_32 0
		.amdhsa_float_round_mode_16_64 0
		.amdhsa_float_denorm_mode_32 3
		.amdhsa_float_denorm_mode_16_64 3
		.amdhsa_dx10_clamp 1
		.amdhsa_ieee_mode 1
		.amdhsa_fp16_overflow 0
		.amdhsa_exception_fp_ieee_invalid_op 0
		.amdhsa_exception_fp_denorm_src 0
		.amdhsa_exception_fp_ieee_div_zero 0
		.amdhsa_exception_fp_ieee_overflow 0
		.amdhsa_exception_fp_ieee_underflow 0
		.amdhsa_exception_fp_ieee_inexact 0
		.amdhsa_exception_int_div_zero 0
	.end_amdhsa_kernel
	.section	.text._ZN2at6native12_GLOBAL__N_135GammaBetaBackwardCUDAKernelTemplateIN3c104HalfEfLj32ELj32ELj256ELb0ELb0ELb0EEEvllPKT_S7_PKT0_SA_PS5_SB_,"axG",@progbits,_ZN2at6native12_GLOBAL__N_135GammaBetaBackwardCUDAKernelTemplateIN3c104HalfEfLj32ELj32ELj256ELb0ELb0ELb0EEEvllPKT_S7_PKT0_SA_PS5_SB_,comdat
.Lfunc_end92:
	.size	_ZN2at6native12_GLOBAL__N_135GammaBetaBackwardCUDAKernelTemplateIN3c104HalfEfLj32ELj32ELj256ELb0ELb0ELb0EEEvllPKT_S7_PKT0_SA_PS5_SB_, .Lfunc_end92-_ZN2at6native12_GLOBAL__N_135GammaBetaBackwardCUDAKernelTemplateIN3c104HalfEfLj32ELj32ELj256ELb0ELb0ELb0EEEvllPKT_S7_PKT0_SA_PS5_SB_
                                        ; -- End function
	.set _ZN2at6native12_GLOBAL__N_135GammaBetaBackwardCUDAKernelTemplateIN3c104HalfEfLj32ELj32ELj256ELb0ELb0ELb0EEEvllPKT_S7_PKT0_SA_PS5_SB_.num_vgpr, 64
	.set _ZN2at6native12_GLOBAL__N_135GammaBetaBackwardCUDAKernelTemplateIN3c104HalfEfLj32ELj32ELj256ELb0ELb0ELb0EEEvllPKT_S7_PKT0_SA_PS5_SB_.num_agpr, 0
	.set _ZN2at6native12_GLOBAL__N_135GammaBetaBackwardCUDAKernelTemplateIN3c104HalfEfLj32ELj32ELj256ELb0ELb0ELb0EEEvllPKT_S7_PKT0_SA_PS5_SB_.numbered_sgpr, 40
	.set _ZN2at6native12_GLOBAL__N_135GammaBetaBackwardCUDAKernelTemplateIN3c104HalfEfLj32ELj32ELj256ELb0ELb0ELb0EEEvllPKT_S7_PKT0_SA_PS5_SB_.num_named_barrier, 0
	.set _ZN2at6native12_GLOBAL__N_135GammaBetaBackwardCUDAKernelTemplateIN3c104HalfEfLj32ELj32ELj256ELb0ELb0ELb0EEEvllPKT_S7_PKT0_SA_PS5_SB_.private_seg_size, 116
	.set _ZN2at6native12_GLOBAL__N_135GammaBetaBackwardCUDAKernelTemplateIN3c104HalfEfLj32ELj32ELj256ELb0ELb0ELb0EEEvllPKT_S7_PKT0_SA_PS5_SB_.uses_vcc, 1
	.set _ZN2at6native12_GLOBAL__N_135GammaBetaBackwardCUDAKernelTemplateIN3c104HalfEfLj32ELj32ELj256ELb0ELb0ELb0EEEvllPKT_S7_PKT0_SA_PS5_SB_.uses_flat_scratch, 0
	.set _ZN2at6native12_GLOBAL__N_135GammaBetaBackwardCUDAKernelTemplateIN3c104HalfEfLj32ELj32ELj256ELb0ELb0ELb0EEEvllPKT_S7_PKT0_SA_PS5_SB_.has_dyn_sized_stack, 0
	.set _ZN2at6native12_GLOBAL__N_135GammaBetaBackwardCUDAKernelTemplateIN3c104HalfEfLj32ELj32ELj256ELb0ELb0ELb0EEEvllPKT_S7_PKT0_SA_PS5_SB_.has_recursion, 0
	.set _ZN2at6native12_GLOBAL__N_135GammaBetaBackwardCUDAKernelTemplateIN3c104HalfEfLj32ELj32ELj256ELb0ELb0ELb0EEEvllPKT_S7_PKT0_SA_PS5_SB_.has_indirect_call, 0
	.section	.AMDGPU.csdata,"",@progbits
; Kernel info:
; codeLenInByte = 9072
; TotalNumSgprs: 44
; NumVgprs: 64
; ScratchSize: 116
; MemoryBound: 0
; FloatMode: 240
; IeeeMode: 1
; LDSByteSize: 0 bytes/workgroup (compile time only)
; SGPRBlocks: 5
; VGPRBlocks: 15
; NumSGPRsForWavesPerEU: 44
; NumVGPRsForWavesPerEU: 64
; Occupancy: 4
; WaveLimiterHint : 0
; COMPUTE_PGM_RSRC2:SCRATCH_EN: 1
; COMPUTE_PGM_RSRC2:USER_SGPR: 6
; COMPUTE_PGM_RSRC2:TRAP_HANDLER: 0
; COMPUTE_PGM_RSRC2:TGID_X_EN: 1
; COMPUTE_PGM_RSRC2:TGID_Y_EN: 1
; COMPUTE_PGM_RSRC2:TGID_Z_EN: 0
; COMPUTE_PGM_RSRC2:TIDIG_COMP_CNT: 1
	.section	.text._ZN2at6native12_GLOBAL__N_118cuComputeGradInputIN3c108BFloat16EfLb0EEEvPKT_S7_llPKT0_SA_S7_PS5_,"axG",@progbits,_ZN2at6native12_GLOBAL__N_118cuComputeGradInputIN3c108BFloat16EfLb0EEEvPKT_S7_llPKT0_SA_S7_PS5_,comdat
	.globl	_ZN2at6native12_GLOBAL__N_118cuComputeGradInputIN3c108BFloat16EfLb0EEEvPKT_S7_llPKT0_SA_S7_PS5_ ; -- Begin function _ZN2at6native12_GLOBAL__N_118cuComputeGradInputIN3c108BFloat16EfLb0EEEvPKT_S7_llPKT0_SA_S7_PS5_
	.p2align	8
	.type	_ZN2at6native12_GLOBAL__N_118cuComputeGradInputIN3c108BFloat16EfLb0EEEvPKT_S7_llPKT0_SA_S7_PS5_,@function
_ZN2at6native12_GLOBAL__N_118cuComputeGradInputIN3c108BFloat16EfLb0EEEvPKT_S7_llPKT0_SA_S7_PS5_: ; @_ZN2at6native12_GLOBAL__N_118cuComputeGradInputIN3c108BFloat16EfLb0EEEvPKT_S7_llPKT0_SA_S7_PS5_
; %bb.0:
	s_load_dwordx4 s[24:27], s[4:5], 0x10
	s_mov_b32 s14, s7
	s_ashr_i32 s15, s7, 31
	v_mov_b32_e32 v2, s14
	v_mov_b32_e32 v3, s15
	s_waitcnt lgkmcnt(0)
	v_cmp_le_i64_e32 vcc, s[24:25], v[2:3]
	s_cbranch_vccnz .LBB93_49
; %bb.1:
	s_load_dword s0, s[4:5], 0x4c
	s_load_dwordx8 s[16:23], s[4:5], 0x20
	s_load_dword s41, s[4:5], 0x44
	s_load_dwordx4 s[28:31], s[4:5], 0x0
	v_cmp_gt_i64_e64 s[4:5], s[26:27], 0
	v_lshlrev_b32_e32 v6, 3, v0
	s_waitcnt lgkmcnt(0)
	s_lshr_b32 s33, s0, 16
	s_and_b32 s40, s0, 0xffff
	s_cmp_lg_u64 s[20:21], 0
	s_cselect_b64 s[8:9], -1, 0
	s_cmp_gt_u32 s40, 1
	s_cselect_b64 s[34:35], -1, 0
	s_cmp_gt_u32 s33, 1
	s_cselect_b64 s[36:37], -1, 0
	s_xor_b32 s1, s26, s27
	s_flbit_i32 s0, s27
	s_ashr_i32 s1, s1, 31
	s_add_i32 s0, s0, -1
	s_add_i32 s1, s1, 32
	s_min_u32 s2, s0, s1
	s_lshl_b64 s[0:1], s[26:27], s2
	s_min_u32 s0, s0, 1
	s_or_b32 s0, s1, s0
	v_cvt_f32_i32_e32 v2, s0
	s_sub_i32 s0, 32, s2
	v_add_u32_e32 v14, 0, v6
	s_mul_i32 s43, s33, s40
	v_ldexp_f32 v12, v2, s0
	v_div_scale_f32 v3, s[0:1], v12, v12, 1.0
	v_div_scale_f32 v4, vcc, 1.0, v12, 1.0
	v_mov_b32_e32 v2, 0
	v_cmp_eq_u32_e64 s[0:1], 0, v1
	v_cmp_ne_u32_e64 s[2:3], 0, v1
	s_movk_i32 s42, 0x7fff
	v_mov_b32_e32 v18, 0x7fc0
	v_rcp_f32_e32 v5, v3
	v_fma_f32 v7, -v3, v5, 1.0
	v_fmac_f32_e32 v5, v7, v5
	v_mul_f32_e32 v7, v4, v5
	v_fma_f32 v8, -v3, v7, v4
	v_fmac_f32_e32 v7, v8, v5
	v_fma_f32 v3, -v3, v7, v4
	v_div_fmas_f32 v3, v3, v5, v7
	v_cndmask_b32_e64 v4, 0, 1, s[4:5]
	v_mbcnt_lo_u32_b32 v7, -1, 0
	v_mov_b32_e32 v5, v2
	v_cmp_ne_u32_e64 s[4:5], 1, v4
	v_mad_u32_u24 v4, v1, s40, v0
	v_mbcnt_hi_u32_b32 v13, -1, v7
	v_lshlrev_b32_e32 v6, 3, v4
	v_cmp_gt_i64_e64 s[6:7], s[26:27], v[4:5]
	v_cndmask_b32_e64 v7, 0, 1, s[8:9]
	v_add_u32_e32 v15, s43, v4
	v_cmp_ne_u32_e64 s[8:9], 1, v7
	v_add_u32_e32 v16, 0, v6
	v_div_fixup_f32 v17, v3, v12, 1.0
	s_branch .LBB93_4
.LBB93_2:                               ;   in Loop: Header=BB93_4 Depth=1
	s_or_b64 exec, exec, s[10:11]
.LBB93_3:                               ;   in Loop: Header=BB93_4 Depth=1
	s_add_i32 s14, s41, s14
	s_ashr_i32 s15, s14, 31
	v_mov_b32_e32 v6, s14
	v_mov_b32_e32 v7, s15
	v_cmp_le_i64_e32 vcc, s[24:25], v[6:7]
	s_waitcnt vmcnt(0)
	s_barrier
	s_cbranch_vccnz .LBB93_49
.LBB93_4:                               ; =>This Loop Header: Depth=1
                                        ;     Child Loop BB93_8 Depth 2
                                        ;     Child Loop BB93_20 Depth 2
	;; [unrolled: 1-line block ×6, first 2 shown]
	s_mul_i32 s10, s14, s27
	s_mul_hi_u32 s11, s14, s26
	s_add_i32 s10, s11, s10
	s_mul_i32 s11, s15, s26
	s_add_i32 s11, s10, s11
	s_lshl_b64 s[12:13], s[14:15], 2
	s_add_u32 s38, s16, s12
	s_addc_u32 s39, s17, s13
	s_add_u32 s12, s18, s12
	s_mul_i32 s10, s14, s26
	s_addc_u32 s13, s19, s13
	s_load_dword s15, s[38:39], 0x0
	s_load_dword s48, s[12:13], 0x0
	s_lshl_b64 s[38:39], s[10:11], 1
	s_add_u32 s44, s30, s38
	s_addc_u32 s45, s31, s39
	s_add_u32 s46, s28, s38
	s_addc_u32 s47, s29, s39
	s_and_b64 vcc, exec, s[8:9]
	s_cbranch_vccnz .LBB93_14
; %bb.5:                                ;   in Loop: Header=BB93_4 Depth=1
	s_and_b64 vcc, exec, s[4:5]
	s_cbranch_vccnz .LBB93_15
; %bb.6:                                ;   in Loop: Header=BB93_4 Depth=1
	v_mov_b32_e32 v6, 0
	s_mov_b32 s49, 0
	v_mov_b32_e32 v7, 0
	s_branch .LBB93_8
.LBB93_7:                               ;   in Loop: Header=BB93_8 Depth=2
	s_or_b64 exec, exec, s[10:11]
	s_add_i32 s49, s49, s43
	s_waitcnt lgkmcnt(0)
	v_subrev_f32_e32 v8, s15, v11
	v_mul_f32_e32 v9, v3, v10
	s_ashr_i32 s10, s49, 31
	v_mul_f32_e32 v11, v8, v9
	v_mov_b32_e32 v8, s49
	v_mov_b32_e32 v9, s10
	v_cmp_le_i64_e32 vcc, s[26:27], v[8:9]
	v_fmac_f32_e32 v6, v3, v10
	v_fmac_f32_e32 v7, s48, v11
	s_cbranch_vccnz .LBB93_16
.LBB93_8:                               ;   Parent Loop BB93_4 Depth=1
                                        ; =>  This Inner Loop Header: Depth=2
	v_add_u32_e32 v8, s49, v4
	v_ashrrev_i32_e32 v9, 31, v8
	v_cmp_gt_i64_e32 vcc, s[26:27], v[8:9]
	v_lshlrev_b64 v[8:9], 1, v[8:9]
	v_mov_b32_e32 v3, 0
	s_and_saveexec_b64 s[12:13], vcc
	s_cbranch_execz .LBB93_10
; %bb.9:                                ;   in Loop: Header=BB93_8 Depth=2
	v_mov_b32_e32 v3, s21
	v_add_co_u32_e64 v10, s[10:11], s20, v8
	v_addc_co_u32_e64 v11, s[10:11], v3, v9, s[10:11]
	global_load_ushort v3, v[10:11], off
	s_waitcnt vmcnt(0)
	v_lshlrev_b32_e32 v3, 16, v3
.LBB93_10:                              ;   in Loop: Header=BB93_8 Depth=2
	s_or_b64 exec, exec, s[12:13]
	v_mov_b32_e32 v10, 0
	v_mov_b32_e32 v11, 0
	s_and_saveexec_b64 s[12:13], vcc
	s_cbranch_execz .LBB93_12
; %bb.11:                               ;   in Loop: Header=BB93_8 Depth=2
	v_mov_b32_e32 v11, s45
	v_add_co_u32_e64 v19, s[10:11], s44, v8
	v_addc_co_u32_e64 v20, s[10:11], v11, v9, s[10:11]
	global_load_ushort v11, v[19:20], off
	s_waitcnt vmcnt(0)
	v_lshlrev_b32_e32 v11, 16, v11
.LBB93_12:                              ;   in Loop: Header=BB93_8 Depth=2
	s_or_b64 exec, exec, s[12:13]
	s_and_saveexec_b64 s[10:11], vcc
	s_cbranch_execz .LBB93_7
; %bb.13:                               ;   in Loop: Header=BB93_8 Depth=2
	v_mov_b32_e32 v10, s47
	v_add_co_u32_e32 v8, vcc, s46, v8
	v_addc_co_u32_e32 v9, vcc, v10, v9, vcc
	global_load_ushort v8, v[8:9], off
	s_waitcnt vmcnt(0)
	v_lshlrev_b32_e32 v10, 16, v8
	s_branch .LBB93_7
.LBB93_14:                              ;   in Loop: Header=BB93_4 Depth=1
                                        ; implicit-def: $vgpr6_vgpr7
	s_branch .LBB93_17
.LBB93_15:                              ;   in Loop: Header=BB93_4 Depth=1
	v_mov_b32_e32 v3, v2
	v_mov_b32_e32 v7, v3
	;; [unrolled: 1-line block ×3, first 2 shown]
.LBB93_16:                              ;   in Loop: Header=BB93_4 Depth=1
	s_cbranch_execnz .LBB93_25
.LBB93_17:                              ;   in Loop: Header=BB93_4 Depth=1
	s_and_b64 vcc, exec, s[4:5]
	s_cbranch_vccnz .LBB93_24
; %bb.18:                               ;   in Loop: Header=BB93_4 Depth=1
	v_mov_b32_e32 v6, 0
	s_mov_b32 s49, 0
	v_mov_b32_e32 v7, 0
	s_branch .LBB93_20
.LBB93_19:                              ;   in Loop: Header=BB93_20 Depth=2
	s_or_b64 exec, exec, s[10:11]
	s_add_i32 s49, s49, s43
	s_ashr_i32 s10, s49, 31
	v_mov_b32_e32 v8, s49
	v_mov_b32_e32 v9, s10
	s_waitcnt lgkmcnt(0)
	v_subrev_f32_e32 v3, s15, v3
	v_cmp_le_i64_e32 vcc, s[26:27], v[8:9]
	v_mul_f32_e32 v3, v3, v10
	v_fmac_f32_e32 v7, s48, v3
	v_add_f32_e32 v6, v6, v10
	s_cbranch_vccnz .LBB93_25
.LBB93_20:                              ;   Parent Loop BB93_4 Depth=1
                                        ; =>  This Inner Loop Header: Depth=2
	v_add_u32_e32 v8, s49, v4
	v_ashrrev_i32_e32 v9, 31, v8
	v_cmp_gt_i64_e32 vcc, s[26:27], v[8:9]
	v_lshlrev_b64 v[8:9], 1, v[8:9]
	v_mov_b32_e32 v3, 0
	s_and_saveexec_b64 s[12:13], vcc
	s_cbranch_execz .LBB93_22
; %bb.21:                               ;   in Loop: Header=BB93_20 Depth=2
	v_mov_b32_e32 v3, s45
	v_add_co_u32_e64 v10, s[10:11], s44, v8
	v_addc_co_u32_e64 v11, s[10:11], v3, v9, s[10:11]
	global_load_ushort v3, v[10:11], off
	s_waitcnt vmcnt(0)
	v_lshlrev_b32_e32 v3, 16, v3
.LBB93_22:                              ;   in Loop: Header=BB93_20 Depth=2
	s_or_b64 exec, exec, s[12:13]
	v_mov_b32_e32 v10, 0
	s_and_saveexec_b64 s[10:11], vcc
	s_cbranch_execz .LBB93_19
; %bb.23:                               ;   in Loop: Header=BB93_20 Depth=2
	v_mov_b32_e32 v10, s47
	v_add_co_u32_e32 v8, vcc, s46, v8
	v_addc_co_u32_e32 v9, vcc, v10, v9, vcc
	global_load_ushort v8, v[8:9], off
	s_waitcnt vmcnt(0)
	v_lshlrev_b32_e32 v10, 16, v8
	s_branch .LBB93_19
.LBB93_24:                              ;   in Loop: Header=BB93_4 Depth=1
	v_mov_b32_e32 v3, v2
	v_mov_b32_e32 v7, v3
	;; [unrolled: 1-line block ×3, first 2 shown]
.LBB93_25:                              ;   in Loop: Header=BB93_4 Depth=1
	s_andn2_b64 vcc, exec, s[34:35]
	s_cbranch_vccnz .LBB93_28
; %bb.26:                               ;   in Loop: Header=BB93_4 Depth=1
	v_and_b32_e32 v3, 64, v13
	v_add_u32_e32 v3, 64, v3
	s_mov_b32 s10, s40
.LBB93_27:                              ;   Parent Loop BB93_4 Depth=1
                                        ; =>  This Inner Loop Header: Depth=2
	s_lshr_b32 s11, s10, 1
	v_xor_b32_e32 v8, s11, v13
	v_cmp_lt_i32_e32 vcc, v8, v3
	v_cndmask_b32_e32 v8, v13, v8, vcc
	v_lshlrev_b32_e32 v8, 2, v8
	ds_bpermute_b32 v9, v8, v7
	ds_bpermute_b32 v8, v8, v6
	s_cmp_lt_u32 s10, 4
	s_mov_b32 s10, s11
	s_waitcnt lgkmcnt(0)
	v_add_f32_e32 v7, v7, v9
	v_add_f32_e32 v6, v6, v8
	s_cbranch_scc0 .LBB93_27
.LBB93_28:                              ;   in Loop: Header=BB93_4 Depth=1
	s_andn2_b64 vcc, exec, s[36:37]
	s_mov_b32 s49, s33
	s_cbranch_vccnz .LBB93_40
.LBB93_29:                              ;   Parent Loop BB93_4 Depth=1
                                        ; =>  This Inner Loop Header: Depth=2
	s_lshr_b32 s50, s49, 1
	s_and_b32 s12, s49, 0xfffe
	v_cmp_le_u32_e64 s[10:11], s50, v1
	v_cmp_gt_u32_e64 s[12:13], s12, v1
	v_cmp_gt_u32_e32 vcc, s50, v1
	s_and_b64 s[12:13], s[10:11], s[12:13]
	s_and_saveexec_b64 s[10:11], s[12:13]
; %bb.30:                               ;   in Loop: Header=BB93_29 Depth=2
	v_subrev_u32_e32 v3, s50, v1
	v_mad_u32_u24 v3, v3, s40, v0
	v_lshl_add_u32 v3, v3, 3, 0
	ds_write_b64 v3, v[6:7]
; %bb.31:                               ;   in Loop: Header=BB93_29 Depth=2
	s_or_b64 exec, exec, s[10:11]
	s_waitcnt lgkmcnt(0)
	s_barrier
	s_and_saveexec_b64 s[10:11], vcc
	s_cbranch_execz .LBB93_33
; %bb.32:                               ;   in Loop: Header=BB93_29 Depth=2
	ds_read_b64 v[8:9], v16
	s_waitcnt lgkmcnt(0)
	v_add_f32_e32 v7, v7, v9
	v_add_f32_e32 v6, v6, v8
.LBB93_33:                              ;   in Loop: Header=BB93_29 Depth=2
	s_or_b64 exec, exec, s[10:11]
	s_cmp_lt_u32 s49, 4
	s_barrier
	s_cbranch_scc1 .LBB93_35
; %bb.34:                               ;   in Loop: Header=BB93_29 Depth=2
	s_mov_b32 s49, s50
	s_branch .LBB93_29
.LBB93_35:                              ;   in Loop: Header=BB93_4 Depth=1
	s_and_saveexec_b64 s[10:11], s[0:1]
; %bb.36:                               ;   in Loop: Header=BB93_4 Depth=1
	ds_write_b64 v14, v[6:7]
; %bb.37:                               ;   in Loop: Header=BB93_4 Depth=1
	s_or_b64 exec, exec, s[10:11]
	s_waitcnt lgkmcnt(0)
	s_barrier
	s_and_saveexec_b64 s[10:11], s[2:3]
; %bb.38:                               ;   in Loop: Header=BB93_4 Depth=1
	ds_read_b64 v[6:7], v14
; %bb.39:                               ;   in Loop: Header=BB93_4 Depth=1
	s_or_b64 exec, exec, s[10:11]
.LBB93_40:                              ;   in Loop: Header=BB93_4 Depth=1
	s_add_u32 s38, s22, s38
	s_addc_u32 s39, s23, s39
	s_and_b64 vcc, exec, s[8:9]
	s_waitcnt lgkmcnt(0)
	v_mul_f32_e32 v3, s48, v17
	s_cbranch_vccnz .LBB93_45
; %bb.41:                               ;   in Loop: Header=BB93_4 Depth=1
	s_and_saveexec_b64 s[10:11], s[6:7]
	s_cbranch_execz .LBB93_44
; %bb.42:                               ;   in Loop: Header=BB93_4 Depth=1
	v_mov_b32_e32 v11, v5
	s_mov_b64 s[12:13], 0
	v_mov_b32_e32 v8, v15
	v_mov_b32_e32 v10, v4
.LBB93_43:                              ;   Parent Loop BB93_4 Depth=1
                                        ; =>  This Inner Loop Header: Depth=2
	v_lshlrev_b64 v[9:10], 1, v[10:11]
	v_mov_b32_e32 v11, s45
	v_add_co_u32_e32 v19, vcc, s44, v9
	v_addc_co_u32_e32 v20, vcc, v11, v10, vcc
	global_load_ushort v11, v[19:20], off
	v_add_co_u32_e32 v19, vcc, s46, v9
	v_mov_b32_e32 v20, s47
	v_addc_co_u32_e32 v20, vcc, v20, v10, vcc
	global_load_ushort v19, v[19:20], off
	v_mov_b32_e32 v20, s21
	s_waitcnt vmcnt(1)
	v_lshlrev_b32_e32 v11, 16, v11
	v_subrev_f32_e32 v11, s15, v11
	v_mul_f32_e32 v11, s48, v11
	s_waitcnt vmcnt(0)
	v_lshlrev_b32_e32 v19, 16, v19
	v_mul_f32_e32 v21, v12, v19
	v_add_co_u32_e32 v19, vcc, s20, v9
	v_addc_co_u32_e32 v20, vcc, v20, v10, vcc
	global_load_ushort v19, v[19:20], off
	s_waitcnt vmcnt(0)
	v_lshlrev_b32_e32 v19, 16, v19
	v_fma_f32 v19, v21, v19, -v6
	v_fma_f32 v11, -v7, v11, v19
	v_mul_f32_e32 v11, v3, v11
	v_bfe_u32 v19, v11, 16, 1
	v_add3_u32 v19, v11, v19, s42
	v_lshrrev_b32_e32 v19, 16, v19
	v_cmp_o_f32_e32 vcc, v11, v11
	v_cndmask_b32_e32 v11, v18, v19, vcc
	v_add_co_u32_e32 v9, vcc, s38, v9
	v_mov_b32_e32 v19, s39
	v_addc_co_u32_e32 v10, vcc, v19, v10, vcc
	global_store_short v[9:10], v11, off
	v_ashrrev_i32_e32 v9, 31, v8
	v_cmp_le_i64_e32 vcc, s[26:27], v[8:9]
	v_mov_b32_e32 v11, v9
	v_mov_b32_e32 v10, v8
	v_add_u32_e32 v8, s43, v8
	s_or_b64 s[12:13], vcc, s[12:13]
	s_andn2_b64 exec, exec, s[12:13]
	s_cbranch_execnz .LBB93_43
.LBB93_44:                              ;   in Loop: Header=BB93_4 Depth=1
	s_or_b64 exec, exec, s[10:11]
	s_cbranch_execnz .LBB93_3
	s_branch .LBB93_46
.LBB93_45:                              ;   in Loop: Header=BB93_4 Depth=1
.LBB93_46:                              ;   in Loop: Header=BB93_4 Depth=1
	s_and_saveexec_b64 s[10:11], s[6:7]
	s_cbranch_execz .LBB93_2
; %bb.47:                               ;   in Loop: Header=BB93_4 Depth=1
	v_mov_b32_e32 v11, v5
	v_mov_b32_e32 v19, s48
	s_mov_b64 s[12:13], 0
	v_mov_b32_e32 v8, v15
	v_mov_b32_e32 v10, v4
.LBB93_48:                              ;   Parent Loop BB93_4 Depth=1
                                        ; =>  This Inner Loop Header: Depth=2
	v_lshlrev_b64 v[9:10], 1, v[10:11]
	v_mov_b32_e32 v11, s45
	v_add_co_u32_e32 v20, vcc, s44, v9
	v_addc_co_u32_e32 v21, vcc, v11, v10, vcc
	global_load_ushort v11, v[20:21], off
	v_add_co_u32_e32 v20, vcc, s46, v9
	v_mov_b32_e32 v21, s47
	v_addc_co_u32_e32 v21, vcc, v21, v10, vcc
	global_load_ushort v20, v[20:21], off
	s_waitcnt vmcnt(1)
	v_lshlrev_b32_e32 v11, 16, v11
	v_subrev_f32_e32 v11, s15, v11
	v_mul_f32_e32 v11, v19, v11
	s_waitcnt vmcnt(0)
	v_lshlrev_b32_e32 v20, 16, v20
	v_fma_f32 v20, v12, v20, -v6
	v_fma_f32 v11, -v11, v7, v20
	v_mul_f32_e32 v11, v3, v11
	v_bfe_u32 v20, v11, 16, 1
	v_add3_u32 v20, v11, v20, s42
	v_lshrrev_b32_e32 v20, 16, v20
	v_cmp_o_f32_e32 vcc, v11, v11
	v_cndmask_b32_e32 v11, v18, v20, vcc
	v_add_co_u32_e32 v9, vcc, s38, v9
	v_mov_b32_e32 v20, s39
	v_addc_co_u32_e32 v10, vcc, v20, v10, vcc
	global_store_short v[9:10], v11, off
	v_ashrrev_i32_e32 v9, 31, v8
	v_cmp_le_i64_e32 vcc, s[26:27], v[8:9]
	v_mov_b32_e32 v11, v9
	v_mov_b32_e32 v10, v8
	v_add_u32_e32 v8, s43, v8
	s_or_b64 s[12:13], vcc, s[12:13]
	s_andn2_b64 exec, exec, s[12:13]
	s_cbranch_execnz .LBB93_48
	s_branch .LBB93_2
.LBB93_49:
	s_endpgm
	.section	.rodata,"a",@progbits
	.p2align	6, 0x0
	.amdhsa_kernel _ZN2at6native12_GLOBAL__N_118cuComputeGradInputIN3c108BFloat16EfLb0EEEvPKT_S7_llPKT0_SA_S7_PS5_
		.amdhsa_group_segment_fixed_size 0
		.amdhsa_private_segment_fixed_size 0
		.amdhsa_kernarg_size 320
		.amdhsa_user_sgpr_count 6
		.amdhsa_user_sgpr_private_segment_buffer 1
		.amdhsa_user_sgpr_dispatch_ptr 0
		.amdhsa_user_sgpr_queue_ptr 0
		.amdhsa_user_sgpr_kernarg_segment_ptr 1
		.amdhsa_user_sgpr_dispatch_id 0
		.amdhsa_user_sgpr_flat_scratch_init 0
		.amdhsa_user_sgpr_private_segment_size 0
		.amdhsa_uses_dynamic_stack 0
		.amdhsa_system_sgpr_private_segment_wavefront_offset 0
		.amdhsa_system_sgpr_workgroup_id_x 1
		.amdhsa_system_sgpr_workgroup_id_y 1
		.amdhsa_system_sgpr_workgroup_id_z 0
		.amdhsa_system_sgpr_workgroup_info 0
		.amdhsa_system_vgpr_workitem_id 1
		.amdhsa_next_free_vgpr 22
		.amdhsa_next_free_sgpr 51
		.amdhsa_reserve_vcc 1
		.amdhsa_reserve_flat_scratch 0
		.amdhsa_float_round_mode_32 0
		.amdhsa_float_round_mode_16_64 0
		.amdhsa_float_denorm_mode_32 3
		.amdhsa_float_denorm_mode_16_64 3
		.amdhsa_dx10_clamp 1
		.amdhsa_ieee_mode 1
		.amdhsa_fp16_overflow 0
		.amdhsa_exception_fp_ieee_invalid_op 0
		.amdhsa_exception_fp_denorm_src 0
		.amdhsa_exception_fp_ieee_div_zero 0
		.amdhsa_exception_fp_ieee_overflow 0
		.amdhsa_exception_fp_ieee_underflow 0
		.amdhsa_exception_fp_ieee_inexact 0
		.amdhsa_exception_int_div_zero 0
	.end_amdhsa_kernel
	.section	.text._ZN2at6native12_GLOBAL__N_118cuComputeGradInputIN3c108BFloat16EfLb0EEEvPKT_S7_llPKT0_SA_S7_PS5_,"axG",@progbits,_ZN2at6native12_GLOBAL__N_118cuComputeGradInputIN3c108BFloat16EfLb0EEEvPKT_S7_llPKT0_SA_S7_PS5_,comdat
.Lfunc_end93:
	.size	_ZN2at6native12_GLOBAL__N_118cuComputeGradInputIN3c108BFloat16EfLb0EEEvPKT_S7_llPKT0_SA_S7_PS5_, .Lfunc_end93-_ZN2at6native12_GLOBAL__N_118cuComputeGradInputIN3c108BFloat16EfLb0EEEvPKT_S7_llPKT0_SA_S7_PS5_
                                        ; -- End function
	.set _ZN2at6native12_GLOBAL__N_118cuComputeGradInputIN3c108BFloat16EfLb0EEEvPKT_S7_llPKT0_SA_S7_PS5_.num_vgpr, 22
	.set _ZN2at6native12_GLOBAL__N_118cuComputeGradInputIN3c108BFloat16EfLb0EEEvPKT_S7_llPKT0_SA_S7_PS5_.num_agpr, 0
	.set _ZN2at6native12_GLOBAL__N_118cuComputeGradInputIN3c108BFloat16EfLb0EEEvPKT_S7_llPKT0_SA_S7_PS5_.numbered_sgpr, 51
	.set _ZN2at6native12_GLOBAL__N_118cuComputeGradInputIN3c108BFloat16EfLb0EEEvPKT_S7_llPKT0_SA_S7_PS5_.num_named_barrier, 0
	.set _ZN2at6native12_GLOBAL__N_118cuComputeGradInputIN3c108BFloat16EfLb0EEEvPKT_S7_llPKT0_SA_S7_PS5_.private_seg_size, 0
	.set _ZN2at6native12_GLOBAL__N_118cuComputeGradInputIN3c108BFloat16EfLb0EEEvPKT_S7_llPKT0_SA_S7_PS5_.uses_vcc, 1
	.set _ZN2at6native12_GLOBAL__N_118cuComputeGradInputIN3c108BFloat16EfLb0EEEvPKT_S7_llPKT0_SA_S7_PS5_.uses_flat_scratch, 0
	.set _ZN2at6native12_GLOBAL__N_118cuComputeGradInputIN3c108BFloat16EfLb0EEEvPKT_S7_llPKT0_SA_S7_PS5_.has_dyn_sized_stack, 0
	.set _ZN2at6native12_GLOBAL__N_118cuComputeGradInputIN3c108BFloat16EfLb0EEEvPKT_S7_llPKT0_SA_S7_PS5_.has_recursion, 0
	.set _ZN2at6native12_GLOBAL__N_118cuComputeGradInputIN3c108BFloat16EfLb0EEEvPKT_S7_llPKT0_SA_S7_PS5_.has_indirect_call, 0
	.section	.AMDGPU.csdata,"",@progbits
; Kernel info:
; codeLenInByte = 1692
; TotalNumSgprs: 55
; NumVgprs: 22
; ScratchSize: 0
; MemoryBound: 0
; FloatMode: 240
; IeeeMode: 1
; LDSByteSize: 0 bytes/workgroup (compile time only)
; SGPRBlocks: 6
; VGPRBlocks: 5
; NumSGPRsForWavesPerEU: 55
; NumVGPRsForWavesPerEU: 22
; Occupancy: 10
; WaveLimiterHint : 0
; COMPUTE_PGM_RSRC2:SCRATCH_EN: 0
; COMPUTE_PGM_RSRC2:USER_SGPR: 6
; COMPUTE_PGM_RSRC2:TRAP_HANDLER: 0
; COMPUTE_PGM_RSRC2:TGID_X_EN: 1
; COMPUTE_PGM_RSRC2:TGID_Y_EN: 1
; COMPUTE_PGM_RSRC2:TGID_Z_EN: 0
; COMPUTE_PGM_RSRC2:TIDIG_COMP_CNT: 1
	.section	.text._ZN2at6native12_GLOBAL__N_128layer_norm_grad_input_kernelIN3c108BFloat16EfLb0EEEvPKT_S7_PKT0_SA_S7_PS5_i,"axG",@progbits,_ZN2at6native12_GLOBAL__N_128layer_norm_grad_input_kernelIN3c108BFloat16EfLb0EEEvPKT_S7_PKT0_SA_S7_PS5_i,comdat
	.globl	_ZN2at6native12_GLOBAL__N_128layer_norm_grad_input_kernelIN3c108BFloat16EfLb0EEEvPKT_S7_PKT0_SA_S7_PS5_i ; -- Begin function _ZN2at6native12_GLOBAL__N_128layer_norm_grad_input_kernelIN3c108BFloat16EfLb0EEEvPKT_S7_PKT0_SA_S7_PS5_i
	.p2align	8
	.type	_ZN2at6native12_GLOBAL__N_128layer_norm_grad_input_kernelIN3c108BFloat16EfLb0EEEvPKT_S7_PKT0_SA_S7_PS5_i,@function
_ZN2at6native12_GLOBAL__N_128layer_norm_grad_input_kernelIN3c108BFloat16EfLb0EEEvPKT_S7_PKT0_SA_S7_PS5_i: ; @_ZN2at6native12_GLOBAL__N_128layer_norm_grad_input_kernelIN3c108BFloat16EfLb0EEEvPKT_S7_PKT0_SA_S7_PS5_i
; %bb.0:
	s_load_dword s18, s[4:5], 0x30
	s_load_dwordx2 s[16:17], s[4:5], 0x20
	s_load_dwordx8 s[8:15], s[4:5], 0x0
	s_mov_b32 s7, 0
	s_lshl_b64 s[2:3], s[6:7], 2
	s_waitcnt lgkmcnt(0)
	s_ashr_i32 s0, s18, 31
	s_mul_hi_u32 s1, s18, s6
	s_mul_i32 s0, s0, s6
	s_add_i32 s1, s1, s0
	s_mul_i32 s0, s18, s6
	s_add_u32 s6, s12, s2
	s_addc_u32 s7, s13, s3
	s_add_u32 s2, s14, s2
	s_addc_u32 s3, s15, s3
	s_load_dword s19, s[6:7], 0x0
	s_load_dword s20, s[2:3], 0x0
	s_lshl_b64 s[6:7], s[0:1], 1
	s_add_u32 s21, s10, s6
	v_lshlrev_b32_e32 v1, 2, v0
	s_addc_u32 s23, s11, s7
	s_add_u32 s22, s8, s6
	v_or_b32_e32 v2, 3, v1
	s_addc_u32 s24, s9, s7
	v_cmp_gt_u32_e32 vcc, s18, v2
	v_mov_b32_e32 v10, 0
	v_mov_b32_e32 v9, 0
	s_and_saveexec_b64 s[2:3], vcc
	s_cbranch_execz .LBB94_12
; %bb.1:
	s_load_dword s0, s[4:5], 0x44
	s_cmp_lg_u64 s[16:17], 0
	s_cselect_b64 s[14:15], -1, 0
	v_cndmask_b32_e64 v3, 0, 1, s[14:15]
	s_mov_b64 s[12:13], 0
	s_waitcnt lgkmcnt(0)
	s_and_b32 s0, s0, 0xffff
	v_mov_b32_e32 v2, 0
	s_lshl_b32 s25, s0, 2
	v_mov_b32_e32 v11, s23
	v_mov_b32_e32 v12, s24
	v_cmp_ne_u32_e64 s[0:1], 1, v3
	v_mov_b32_e32 v10, 0
	v_mov_b32_e32 v9, 0
	s_branch .LBB94_3
.LBB94_2:                               ;   in Loop: Header=BB94_3 Depth=1
	global_load_ushort v7, v[3:4], off offset:6
	global_load_ushort v8, v[5:6], off offset:6
	s_waitcnt vmcnt(7)
	v_lshlrev_b32_e32 v3, 16, v16
	s_waitcnt vmcnt(6)
	v_lshlrev_b32_e32 v4, 16, v17
	;; [unrolled: 2-line block ×4, first 2 shown]
	v_mul_f32_e32 v19, v14, v4
	v_subrev_f32_e32 v3, s19, v3
	s_waitcnt vmcnt(3)
	v_lshlrev_b32_e32 v16, 16, v21
	s_waitcnt vmcnt(2)
	v_lshlrev_b32_e32 v17, 16, v22
	v_fmac_f32_e32 v10, v14, v4
	v_mul_f32_e32 v4, v13, v6
	v_subrev_f32_e32 v5, s19, v5
	v_mul_f32_e32 v3, v3, v19
	v_mul_f32_e32 v14, v18, v17
	v_subrev_f32_e32 v16, s19, v16
	v_mul_f32_e32 v4, v5, v4
	v_fmac_f32_e32 v9, s20, v3
	v_add_u32_e32 v1, s25, v1
	v_mul_f32_e32 v5, v16, v14
	v_fmac_f32_e32 v9, s20, v4
	v_add_u32_e32 v20, 3, v1
	v_fmac_f32_e32 v10, v13, v6
	v_fmac_f32_e32 v9, s20, v5
	v_cmp_le_u32_e32 vcc, s18, v20
	v_fmac_f32_e32 v10, v18, v17
	s_or_b64 s[12:13], vcc, s[12:13]
	s_waitcnt vmcnt(1)
	v_lshlrev_b32_e32 v3, 16, v7
	s_waitcnt vmcnt(0)
	v_lshlrev_b32_e32 v4, 16, v8
	v_mul_f32_e32 v5, v15, v4
	v_subrev_f32_e32 v3, s19, v3
	v_mul_f32_e32 v3, v3, v5
	v_fmac_f32_e32 v10, v15, v4
	v_fmac_f32_e32 v9, s20, v3
	s_andn2_b64 exec, exec, s[12:13]
	s_cbranch_execz .LBB94_11
.LBB94_3:                               ; =>This Inner Loop Header: Depth=1
	v_lshlrev_b64 v[7:8], 1, v[1:2]
	v_mov_b32_e32 v13, 1.0
	s_and_b64 vcc, exec, s[14:15]
	v_mov_b32_e32 v14, 1.0
	s_cbranch_vccz .LBB94_5
; %bb.4:                                ;   in Loop: Header=BB94_3 Depth=1
	v_mov_b32_e32 v4, s17
	v_add_co_u32_e32 v3, vcc, s16, v7
	v_addc_co_u32_e32 v4, vcc, v4, v8, vcc
	global_load_ushort v3, v[3:4], off
	s_waitcnt vmcnt(0)
	v_lshlrev_b32_e32 v14, 16, v3
.LBB94_5:                               ;   in Loop: Header=BB94_3 Depth=1
	v_add_co_u32_e32 v3, vcc, s21, v7
	v_addc_co_u32_e32 v4, vcc, v11, v8, vcc
	v_add_co_u32_e32 v5, vcc, s22, v7
	v_addc_co_u32_e32 v6, vcc, v12, v8, vcc
	global_load_ushort v16, v[3:4], off
	global_load_ushort v17, v[5:6], off
	s_and_b64 vcc, exec, s[0:1]
	s_cbranch_vccnz .LBB94_7
; %bb.6:                                ;   in Loop: Header=BB94_3 Depth=1
	v_mov_b32_e32 v13, s17
	v_add_co_u32_e32 v18, vcc, s16, v7
	v_addc_co_u32_e32 v19, vcc, v13, v8, vcc
	global_load_ushort v13, v[18:19], off offset:2
	s_waitcnt vmcnt(0)
	v_lshlrev_b32_e32 v13, 16, v13
.LBB94_7:                               ;   in Loop: Header=BB94_3 Depth=1
	global_load_ushort v19, v[3:4], off offset:2
	global_load_ushort v20, v[5:6], off offset:2
	v_mov_b32_e32 v15, 1.0
	s_and_b64 vcc, exec, s[0:1]
	v_mov_b32_e32 v18, 1.0
	s_cbranch_vccnz .LBB94_9
; %bb.8:                                ;   in Loop: Header=BB94_3 Depth=1
	v_mov_b32_e32 v18, s17
	v_add_co_u32_e32 v21, vcc, s16, v7
	v_addc_co_u32_e32 v22, vcc, v18, v8, vcc
	global_load_ushort v18, v[21:22], off offset:4
	s_waitcnt vmcnt(0)
	v_lshlrev_b32_e32 v18, 16, v18
.LBB94_9:                               ;   in Loop: Header=BB94_3 Depth=1
	global_load_ushort v21, v[3:4], off offset:4
	global_load_ushort v22, v[5:6], off offset:4
	s_and_b64 vcc, exec, s[0:1]
	s_cbranch_vccnz .LBB94_2
; %bb.10:                               ;   in Loop: Header=BB94_3 Depth=1
	v_mov_b32_e32 v15, s17
	v_add_co_u32_e32 v7, vcc, s16, v7
	v_addc_co_u32_e32 v8, vcc, v15, v8, vcc
	global_load_ushort v7, v[7:8], off offset:6
	s_waitcnt vmcnt(0)
	v_lshlrev_b32_e32 v15, 16, v7
	s_branch .LBB94_2
.LBB94_11:
	s_or_b64 exec, exec, s[12:13]
.LBB94_12:
	s_or_b64 exec, exec, s[2:3]
	v_cmp_gt_u32_e32 vcc, s18, v1
	s_and_saveexec_b64 s[2:3], vcc
	s_cbranch_execz .LBB94_19
; %bb.13:
	v_mov_b32_e32 v2, 0
	v_lshlrev_b64 v[4:5], 1, v[1:2]
	v_mov_b32_e32 v3, s17
	v_add_co_u32_e32 v2, vcc, s16, v4
	v_addc_co_u32_e32 v3, vcc, v3, v5, vcc
	v_mov_b32_e32 v6, s7
	v_add_co_u32_e32 v7, vcc, s6, v4
	v_addc_co_u32_e32 v8, vcc, v6, v5, vcc
	v_mov_b32_e32 v5, s11
	v_add_co_u32_e32 v4, vcc, s10, v7
	s_cmp_lg_u64 s[16:17], 0
	v_addc_co_u32_e32 v5, vcc, v5, v8, vcc
	v_mov_b32_e32 v11, s9
	v_add_co_u32_e32 v6, vcc, s8, v7
	s_cselect_b64 s[0:1], -1, 0
	v_addc_co_u32_e32 v7, vcc, v11, v8, vcc
	v_cndmask_b32_e64 v8, 0, 1, s[0:1]
	s_mov_b64 s[12:13], 0
	v_cmp_ne_u32_e64 s[0:1], 1, v8
	s_branch .LBB94_16
.LBB94_14:                              ;   in Loop: Header=BB94_16 Depth=1
	global_load_ushort v8, v[2:3], off
	s_waitcnt vmcnt(0)
	v_lshlrev_b32_e32 v8, 16, v8
.LBB94_15:                              ;   in Loop: Header=BB94_16 Depth=1
	global_load_ushort v11, v[4:5], off
	global_load_ushort v12, v[6:7], off
	v_add_co_u32_e32 v2, vcc, 2, v2
	v_addc_co_u32_e32 v3, vcc, 0, v3, vcc
	v_add_co_u32_e32 v4, vcc, 2, v4
	v_add_u32_e32 v1, 1, v1
	v_addc_co_u32_e32 v5, vcc, 0, v5, vcc
	v_cmp_le_u32_e32 vcc, s18, v1
	s_or_b64 s[12:13], vcc, s[12:13]
	v_add_co_u32_e32 v6, vcc, 2, v6
	v_addc_co_u32_e32 v7, vcc, 0, v7, vcc
	s_waitcnt vmcnt(1)
	v_lshlrev_b32_e32 v11, 16, v11
	s_waitcnt vmcnt(0)
	v_lshlrev_b32_e32 v12, 16, v12
	v_mul_f32_e32 v13, v8, v12
	v_fmac_f32_e32 v10, v8, v12
	s_waitcnt lgkmcnt(0)
	v_subrev_f32_e32 v8, s19, v11
	v_mul_f32_e32 v8, v8, v13
	v_fmac_f32_e32 v9, s20, v8
	s_andn2_b64 exec, exec, s[12:13]
	s_cbranch_execz .LBB94_18
.LBB94_16:                              ; =>This Inner Loop Header: Depth=1
	s_and_b64 vcc, exec, s[0:1]
	s_cbranch_vccz .LBB94_14
; %bb.17:                               ;   in Loop: Header=BB94_16 Depth=1
	v_mov_b32_e32 v8, 1.0
	s_branch .LBB94_15
.LBB94_18:
	s_or_b64 exec, exec, s[12:13]
.LBB94_19:
	s_or_b64 exec, exec, s[2:3]
	v_mbcnt_lo_u32_b32 v1, -1, 0
	v_mbcnt_hi_u32_b32 v1, -1, v1
	v_mov_b32_e32 v2, 0x80
	v_lshl_or_b32 v3, v1, 2, v2
	ds_bpermute_b32 v2, v3, v10
	v_and_b32_e32 v8, 63, v1
	v_cmp_gt_u32_e32 vcc, 48, v8
	v_cndmask_b32_e64 v4, 0, 16, vcc
	v_add_lshl_u32 v4, v4, v1, 2
	s_waitcnt lgkmcnt(0)
	v_add_f32_e32 v2, v10, v2
	ds_bpermute_b32 v6, v4, v2
	v_cmp_gt_u32_e32 vcc, 56, v8
	v_cndmask_b32_e64 v5, 0, 8, vcc
	v_add_lshl_u32 v5, v5, v1, 2
	v_cmp_gt_u32_e32 vcc, 60, v8
	s_waitcnt lgkmcnt(0)
	v_add_f32_e32 v2, v2, v6
	ds_bpermute_b32 v7, v5, v2
	v_cndmask_b32_e64 v6, 0, 4, vcc
	v_add_lshl_u32 v6, v6, v1, 2
	v_cmp_gt_u32_e32 vcc, 62, v8
	v_and_b32_e32 v10, 63, v0
	s_waitcnt lgkmcnt(0)
	v_add_f32_e32 v2, v2, v7
	ds_bpermute_b32 v11, v6, v2
	v_cndmask_b32_e64 v7, 0, 2, vcc
	v_add_lshl_u32 v7, v7, v1, 2
	v_cmp_ne_u32_e32 vcc, 63, v8
	v_addc_co_u32_e32 v1, vcc, 0, v1, vcc
	s_waitcnt lgkmcnt(0)
	v_add_f32_e32 v2, v2, v11
	ds_bpermute_b32 v11, v7, v2
	v_lshlrev_b32_e32 v8, 2, v1
	v_cmp_eq_u32_e32 vcc, 0, v10
	s_waitcnt lgkmcnt(0)
	s_barrier
	v_add_f32_e32 v1, v2, v11
	ds_bpermute_b32 v11, v8, v1
	v_lshrrev_b32_e32 v2, 4, v0
	s_waitcnt lgkmcnt(0)
	s_and_saveexec_b64 s[0:1], vcc
; %bb.20:
	v_add_u32_e32 v12, 0, v2
	v_add_f32_e32 v1, v1, v11
	ds_write_b32 v12, v1
; %bb.21:
	s_or_b64 exec, exec, s[0:1]
	s_waitcnt lgkmcnt(0)
	s_barrier
	s_load_dword s10, s[4:5], 0x44
	v_mov_b32_e32 v1, 0
	v_lshl_add_u32 v10, v10, 2, 0
	s_waitcnt lgkmcnt(0)
	s_bfe_u32 s0, s10, 0xa0006
	v_cmp_gt_u32_e64 s[0:1], s0, v0
	s_and_saveexec_b64 s[2:3], s[0:1]
; %bb.22:
	ds_read_b32 v1, v10
; %bb.23:
	s_or_b64 exec, exec, s[2:3]
	v_cmp_gt_u32_e64 s[2:3], 64, v0
	s_and_saveexec_b64 s[8:9], s[2:3]
	s_cbranch_execz .LBB94_25
; %bb.24:
	s_waitcnt lgkmcnt(0)
	ds_bpermute_b32 v11, v3, v1
	s_waitcnt lgkmcnt(0)
	v_add_f32_e32 v1, v1, v11
	ds_bpermute_b32 v11, v4, v1
	s_waitcnt lgkmcnt(0)
	v_add_f32_e32 v1, v1, v11
	;; [unrolled: 3-line block ×6, first 2 shown]
.LBB94_25:
	s_or_b64 exec, exec, s[8:9]
	ds_bpermute_b32 v11, v3, v9
	s_waitcnt lgkmcnt(0)
	s_barrier
	v_add_f32_e32 v9, v9, v11
	ds_bpermute_b32 v11, v4, v9
	s_waitcnt lgkmcnt(0)
	v_add_f32_e32 v9, v9, v11
	ds_bpermute_b32 v11, v5, v9
	s_waitcnt lgkmcnt(0)
	;; [unrolled: 3-line block ×4, first 2 shown]
	v_add_f32_e32 v9, v9, v11
	ds_bpermute_b32 v11, v8, v9
	s_and_saveexec_b64 s[8:9], vcc
	s_cbranch_execz .LBB94_27
; %bb.26:
	v_add_u32_e32 v2, 0, v2
	s_waitcnt lgkmcnt(0)
	v_add_f32_e32 v9, v9, v11
	ds_write_b32 v2, v9
.LBB94_27:
	s_or_b64 exec, exec, s[8:9]
	v_mov_b32_e32 v2, 0
	s_waitcnt lgkmcnt(0)
	s_barrier
	s_and_saveexec_b64 s[8:9], s[0:1]
	s_cbranch_execnz .LBB94_38
; %bb.28:
	s_or_b64 exec, exec, s[8:9]
	s_and_saveexec_b64 s[0:1], s[2:3]
	s_cbranch_execnz .LBB94_39
.LBB94_29:
	s_or_b64 exec, exec, s[0:1]
	v_cmp_eq_u32_e32 vcc, 0, v0
	s_and_saveexec_b64 s[0:1], vcc
	s_cbranch_execz .LBB94_31
.LBB94_30:
	v_mov_b32_e32 v3, 0
	s_waitcnt lgkmcnt(0)
	ds_write_b64 v3, v[1:2]
.LBB94_31:
	s_or_b64 exec, exec, s[0:1]
	v_cmp_gt_i32_e32 vcc, s18, v0
	s_waitcnt lgkmcnt(0)
	s_barrier
	s_and_saveexec_b64 s[0:1], vcc
	s_cbranch_execz .LBB94_37
; %bb.32:
	v_cvt_f32_i32_e32 v6, s18
	s_and_b32 s8, 0xffff, s10
	s_mov_b64 s[2:3], 0
	v_mov_b32_e32 v7, s23
	v_div_scale_f32 v1, s[0:1], v6, v6, 1.0
	v_div_scale_f32 v2, vcc, 1.0, v6, 1.0
	s_load_dwordx2 s[0:1], s[4:5], 0x28
	v_mov_b32_e32 v8, s24
	s_movk_i32 s4, 0x7fff
	v_mov_b32_e32 v9, 0x7fc0
	s_waitcnt lgkmcnt(0)
	s_add_u32 s5, s0, s6
	s_addc_u32 s6, s1, s7
	s_cmp_lg_u64 s[16:17], 0
	s_cselect_b64 s[0:1], -1, 0
	v_mov_b32_e32 v11, s6
	v_rcp_f32_e32 v3, v1
	v_fma_f32 v4, -v1, v3, 1.0
	v_fmac_f32_e32 v3, v4, v3
	v_mul_f32_e32 v4, v2, v3
	v_fma_f32 v5, -v1, v4, v2
	v_fmac_f32_e32 v4, v5, v3
	v_fma_f32 v1, -v1, v4, v2
	v_div_fmas_f32 v1, v1, v3, v4
	v_mov_b32_e32 v2, 0
	ds_read_b64 v[2:3], v2
	v_cndmask_b32_e64 v4, 0, 1, s[0:1]
	v_cmp_ne_u32_e64 s[0:1], 1, v4
	v_div_fixup_f32 v1, v1, v6, 1.0
	v_mul_f32_e32 v10, s20, v1
	s_branch .LBB94_35
.LBB94_33:                              ;   in Loop: Header=BB94_35 Depth=1
	v_mov_b32_e32 v14, s17
	v_add_co_u32_e32 v13, vcc, s16, v4
	v_addc_co_u32_e32 v14, vcc, v14, v5, vcc
	global_load_ushort v13, v[13:14], off
	s_waitcnt vmcnt(0)
	v_lshlrev_b32_e32 v13, 16, v13
.LBB94_34:                              ;   in Loop: Header=BB94_35 Depth=1
	s_waitcnt vmcnt(1)
	v_lshlrev_b32_e32 v1, 16, v1
	v_subrev_f32_e32 v1, s19, v1
	v_mul_f32_e32 v1, s20, v1
	v_mul_f32_e32 v13, v13, v6
	s_waitcnt vmcnt(0)
	v_lshlrev_b32_e32 v12, 16, v12
	s_waitcnt lgkmcnt(0)
	v_mul_f32_e32 v1, v3, v1
	v_fma_f32 v1, v13, v12, -v1
	v_sub_f32_e32 v1, v1, v2
	v_mul_f32_e32 v1, v10, v1
	v_bfe_u32 v12, v1, 16, 1
	v_add3_u32 v12, v1, v12, s4
	v_cmp_o_f32_e32 vcc, v1, v1
	v_cndmask_b32_sdwa v1, v9, v12, vcc dst_sel:DWORD dst_unused:UNUSED_PAD src0_sel:DWORD src1_sel:WORD_1
	v_add_co_u32_e32 v4, vcc, s5, v4
	v_addc_co_u32_e32 v5, vcc, v11, v5, vcc
	v_add_u32_e32 v0, s8, v0
	v_cmp_le_i32_e32 vcc, s18, v0
	s_or_b64 s[2:3], vcc, s[2:3]
	global_store_short v[4:5], v1, off
	s_andn2_b64 exec, exec, s[2:3]
	s_cbranch_execz .LBB94_37
.LBB94_35:                              ; =>This Inner Loop Header: Depth=1
	v_ashrrev_i32_e32 v1, 31, v0
	v_lshlrev_b64 v[4:5], 1, v[0:1]
	v_add_co_u32_e32 v12, vcc, s21, v4
	v_addc_co_u32_e32 v13, vcc, v7, v5, vcc
	global_load_ushort v1, v[12:13], off
	v_add_co_u32_e32 v12, vcc, s22, v4
	v_addc_co_u32_e32 v13, vcc, v8, v5, vcc
	global_load_ushort v12, v[12:13], off
	s_and_b64 vcc, exec, s[0:1]
	s_cbranch_vccz .LBB94_33
; %bb.36:                               ;   in Loop: Header=BB94_35 Depth=1
	v_mov_b32_e32 v13, 1.0
	s_branch .LBB94_34
.LBB94_37:
	s_endpgm
.LBB94_38:
	ds_read_b32 v2, v10
	s_or_b64 exec, exec, s[8:9]
	s_and_saveexec_b64 s[0:1], s[2:3]
	s_cbranch_execz .LBB94_29
.LBB94_39:
	s_waitcnt lgkmcnt(0)
	ds_bpermute_b32 v3, v3, v2
	s_waitcnt lgkmcnt(0)
	v_add_f32_e32 v2, v2, v3
	ds_bpermute_b32 v3, v4, v2
	s_waitcnt lgkmcnt(0)
	v_add_f32_e32 v2, v2, v3
	;; [unrolled: 3-line block ×6, first 2 shown]
	s_or_b64 exec, exec, s[0:1]
	v_cmp_eq_u32_e32 vcc, 0, v0
	s_and_saveexec_b64 s[0:1], vcc
	s_cbranch_execnz .LBB94_30
	s_branch .LBB94_31
	.section	.rodata,"a",@progbits
	.p2align	6, 0x0
	.amdhsa_kernel _ZN2at6native12_GLOBAL__N_128layer_norm_grad_input_kernelIN3c108BFloat16EfLb0EEEvPKT_S7_PKT0_SA_S7_PS5_i
		.amdhsa_group_segment_fixed_size 0
		.amdhsa_private_segment_fixed_size 0
		.amdhsa_kernarg_size 312
		.amdhsa_user_sgpr_count 6
		.amdhsa_user_sgpr_private_segment_buffer 1
		.amdhsa_user_sgpr_dispatch_ptr 0
		.amdhsa_user_sgpr_queue_ptr 0
		.amdhsa_user_sgpr_kernarg_segment_ptr 1
		.amdhsa_user_sgpr_dispatch_id 0
		.amdhsa_user_sgpr_flat_scratch_init 0
		.amdhsa_user_sgpr_private_segment_size 0
		.amdhsa_uses_dynamic_stack 0
		.amdhsa_system_sgpr_private_segment_wavefront_offset 0
		.amdhsa_system_sgpr_workgroup_id_x 1
		.amdhsa_system_sgpr_workgroup_id_y 0
		.amdhsa_system_sgpr_workgroup_id_z 0
		.amdhsa_system_sgpr_workgroup_info 0
		.amdhsa_system_vgpr_workitem_id 0
		.amdhsa_next_free_vgpr 23
		.amdhsa_next_free_sgpr 26
		.amdhsa_reserve_vcc 1
		.amdhsa_reserve_flat_scratch 0
		.amdhsa_float_round_mode_32 0
		.amdhsa_float_round_mode_16_64 0
		.amdhsa_float_denorm_mode_32 3
		.amdhsa_float_denorm_mode_16_64 3
		.amdhsa_dx10_clamp 1
		.amdhsa_ieee_mode 1
		.amdhsa_fp16_overflow 0
		.amdhsa_exception_fp_ieee_invalid_op 0
		.amdhsa_exception_fp_denorm_src 0
		.amdhsa_exception_fp_ieee_div_zero 0
		.amdhsa_exception_fp_ieee_overflow 0
		.amdhsa_exception_fp_ieee_underflow 0
		.amdhsa_exception_fp_ieee_inexact 0
		.amdhsa_exception_int_div_zero 0
	.end_amdhsa_kernel
	.section	.text._ZN2at6native12_GLOBAL__N_128layer_norm_grad_input_kernelIN3c108BFloat16EfLb0EEEvPKT_S7_PKT0_SA_S7_PS5_i,"axG",@progbits,_ZN2at6native12_GLOBAL__N_128layer_norm_grad_input_kernelIN3c108BFloat16EfLb0EEEvPKT_S7_PKT0_SA_S7_PS5_i,comdat
.Lfunc_end94:
	.size	_ZN2at6native12_GLOBAL__N_128layer_norm_grad_input_kernelIN3c108BFloat16EfLb0EEEvPKT_S7_PKT0_SA_S7_PS5_i, .Lfunc_end94-_ZN2at6native12_GLOBAL__N_128layer_norm_grad_input_kernelIN3c108BFloat16EfLb0EEEvPKT_S7_PKT0_SA_S7_PS5_i
                                        ; -- End function
	.set _ZN2at6native12_GLOBAL__N_128layer_norm_grad_input_kernelIN3c108BFloat16EfLb0EEEvPKT_S7_PKT0_SA_S7_PS5_i.num_vgpr, 23
	.set _ZN2at6native12_GLOBAL__N_128layer_norm_grad_input_kernelIN3c108BFloat16EfLb0EEEvPKT_S7_PKT0_SA_S7_PS5_i.num_agpr, 0
	.set _ZN2at6native12_GLOBAL__N_128layer_norm_grad_input_kernelIN3c108BFloat16EfLb0EEEvPKT_S7_PKT0_SA_S7_PS5_i.numbered_sgpr, 26
	.set _ZN2at6native12_GLOBAL__N_128layer_norm_grad_input_kernelIN3c108BFloat16EfLb0EEEvPKT_S7_PKT0_SA_S7_PS5_i.num_named_barrier, 0
	.set _ZN2at6native12_GLOBAL__N_128layer_norm_grad_input_kernelIN3c108BFloat16EfLb0EEEvPKT_S7_PKT0_SA_S7_PS5_i.private_seg_size, 0
	.set _ZN2at6native12_GLOBAL__N_128layer_norm_grad_input_kernelIN3c108BFloat16EfLb0EEEvPKT_S7_PKT0_SA_S7_PS5_i.uses_vcc, 1
	.set _ZN2at6native12_GLOBAL__N_128layer_norm_grad_input_kernelIN3c108BFloat16EfLb0EEEvPKT_S7_PKT0_SA_S7_PS5_i.uses_flat_scratch, 0
	.set _ZN2at6native12_GLOBAL__N_128layer_norm_grad_input_kernelIN3c108BFloat16EfLb0EEEvPKT_S7_PKT0_SA_S7_PS5_i.has_dyn_sized_stack, 0
	.set _ZN2at6native12_GLOBAL__N_128layer_norm_grad_input_kernelIN3c108BFloat16EfLb0EEEvPKT_S7_PKT0_SA_S7_PS5_i.has_recursion, 0
	.set _ZN2at6native12_GLOBAL__N_128layer_norm_grad_input_kernelIN3c108BFloat16EfLb0EEEvPKT_S7_PKT0_SA_S7_PS5_i.has_indirect_call, 0
	.section	.AMDGPU.csdata,"",@progbits
; Kernel info:
; codeLenInByte = 2064
; TotalNumSgprs: 30
; NumVgprs: 23
; ScratchSize: 0
; MemoryBound: 0
; FloatMode: 240
; IeeeMode: 1
; LDSByteSize: 0 bytes/workgroup (compile time only)
; SGPRBlocks: 3
; VGPRBlocks: 5
; NumSGPRsForWavesPerEU: 30
; NumVGPRsForWavesPerEU: 23
; Occupancy: 10
; WaveLimiterHint : 0
; COMPUTE_PGM_RSRC2:SCRATCH_EN: 0
; COMPUTE_PGM_RSRC2:USER_SGPR: 6
; COMPUTE_PGM_RSRC2:TRAP_HANDLER: 0
; COMPUTE_PGM_RSRC2:TGID_X_EN: 1
; COMPUTE_PGM_RSRC2:TGID_Y_EN: 0
; COMPUTE_PGM_RSRC2:TGID_Z_EN: 0
; COMPUTE_PGM_RSRC2:TIDIG_COMP_CNT: 0
	.section	.text._ZN2at6native12_GLOBAL__N_133GammaBetaBackwardSimpleCUDAKernelIN3c108BFloat16EfLb0EEEvllPKT_S7_PKT0_SA_PS5_SB_,"axG",@progbits,_ZN2at6native12_GLOBAL__N_133GammaBetaBackwardSimpleCUDAKernelIN3c108BFloat16EfLb0EEEvllPKT_S7_PKT0_SA_PS5_SB_,comdat
	.globl	_ZN2at6native12_GLOBAL__N_133GammaBetaBackwardSimpleCUDAKernelIN3c108BFloat16EfLb0EEEvllPKT_S7_PKT0_SA_PS5_SB_ ; -- Begin function _ZN2at6native12_GLOBAL__N_133GammaBetaBackwardSimpleCUDAKernelIN3c108BFloat16EfLb0EEEvllPKT_S7_PKT0_SA_PS5_SB_
	.p2align	8
	.type	_ZN2at6native12_GLOBAL__N_133GammaBetaBackwardSimpleCUDAKernelIN3c108BFloat16EfLb0EEEvllPKT_S7_PKT0_SA_PS5_SB_,@function
_ZN2at6native12_GLOBAL__N_133GammaBetaBackwardSimpleCUDAKernelIN3c108BFloat16EfLb0EEEvllPKT_S7_PKT0_SA_PS5_SB_: ; @_ZN2at6native12_GLOBAL__N_133GammaBetaBackwardSimpleCUDAKernelIN3c108BFloat16EfLb0EEEvllPKT_S7_PKT0_SA_PS5_SB_
; %bb.0:
	s_load_dword s0, s[4:5], 0x4c
	v_mov_b32_e32 v1, 0
	s_load_dwordx16 s[8:23], s[4:5], 0x0
	v_mov_b32_e32 v2, s6
	s_waitcnt lgkmcnt(0)
	s_and_b32 s0, s0, 0xffff
	v_mad_u64_u32 v[2:3], s[0:1], s0, v2, v[0:1]
	v_cmp_gt_i64_e32 vcc, s[10:11], v[2:3]
	s_and_saveexec_b64 s[0:1], vcc
	s_cbranch_execz .LBB95_13
; %bb.1:
	v_cmp_lt_i64_e64 s[0:1], s[8:9], 1
	v_lshlrev_b64 v[2:3], 1, v[2:3]
	s_and_b64 vcc, exec, s[0:1]
	v_mov_b32_e32 v0, 0
	s_cbranch_vccnz .LBB95_9
; %bb.2:
	s_cmp_lg_u64 s[20:21], 0
	s_cselect_b64 s[0:1], -1, 0
	s_cmp_lg_u64 s[22:23], 0
	s_cselect_b64 s[2:3], -1, 0
	v_cndmask_b32_e64 v0, 0, 1, s[0:1]
	s_lshl_b64 s[4:5], s[10:11], 1
	v_cmp_ne_u32_e64 s[0:1], 1, v0
	v_cndmask_b32_e64 v0, 0, 1, s[2:3]
	v_mov_b32_e32 v5, v3
	v_mov_b32_e32 v1, 0
	v_cmp_ne_u32_e64 s[2:3], 1, v0
	v_mov_b32_e32 v6, s5
	v_mov_b32_e32 v4, v2
	;; [unrolled: 1-line block ×3, first 2 shown]
	s_branch .LBB95_5
.LBB95_3:                               ;   in Loop: Header=BB95_5 Depth=1
	v_mov_b32_e32 v9, s13
	v_add_co_u32_e32 v8, vcc, s12, v4
	v_addc_co_u32_e32 v9, vcc, v9, v5, vcc
	global_load_ushort v8, v[8:9], off
	s_waitcnt vmcnt(0)
	v_lshlrev_b32_e32 v8, 16, v8
.LBB95_4:                               ;   in Loop: Header=BB95_5 Depth=1
	s_add_u32 s8, s8, -1
	s_addc_u32 s9, s9, -1
	s_add_u32 s18, s18, 4
	s_addc_u32 s19, s19, 0
	s_add_u32 s16, s16, 4
	s_addc_u32 s17, s17, 0
	v_add_co_u32_e32 v4, vcc, s4, v4
	v_add_f32_e32 v1, v1, v7
	v_add_f32_e32 v0, v0, v8
	s_cmp_eq_u64 s[8:9], 0
	v_addc_co_u32_e32 v5, vcc, v5, v6, vcc
	s_cbranch_scc1 .LBB95_9
.LBB95_5:                               ; =>This Inner Loop Header: Depth=1
	s_and_b64 vcc, exec, s[0:1]
	v_mov_b32_e32 v7, 0
	s_cbranch_vccnz .LBB95_7
; %bb.6:                                ;   in Loop: Header=BB95_5 Depth=1
	v_mov_b32_e32 v8, s13
	v_add_co_u32_e32 v7, vcc, s12, v4
	v_addc_co_u32_e32 v8, vcc, v8, v5, vcc
	global_load_ushort v9, v[7:8], off
	v_mov_b32_e32 v8, s15
	v_add_co_u32_e32 v7, vcc, s14, v4
	v_addc_co_u32_e32 v8, vcc, v8, v5, vcc
	global_load_ushort v7, v[7:8], off
	s_load_dword s5, s[16:17], 0x0
	s_load_dword s6, s[18:19], 0x0
	s_waitcnt vmcnt(1)
	v_lshlrev_b32_e32 v8, 16, v9
	s_waitcnt vmcnt(0)
	v_lshlrev_b32_e32 v7, 16, v7
	s_waitcnt lgkmcnt(0)
	v_subrev_f32_e32 v7, s5, v7
	v_mul_f32_e32 v7, v7, v8
	v_mul_f32_e32 v7, s6, v7
.LBB95_7:                               ;   in Loop: Header=BB95_5 Depth=1
	s_and_b64 vcc, exec, s[2:3]
	s_cbranch_vccz .LBB95_3
; %bb.8:                                ;   in Loop: Header=BB95_5 Depth=1
	v_mov_b32_e32 v8, 0
	s_branch .LBB95_4
.LBB95_9:
	s_cmp_lg_u64 s[20:21], 0
	s_cbranch_scc0 .LBB95_11
; %bb.10:
	v_bfe_u32 v4, v1, 16, 1
	s_movk_i32 s0, 0x7fff
	v_add3_u32 v4, v1, v4, s0
	v_cmp_o_f32_e32 vcc, v1, v1
	v_mov_b32_e32 v1, 0x7fc0
	v_cndmask_b32_sdwa v1, v1, v4, vcc dst_sel:DWORD dst_unused:UNUSED_PAD src0_sel:DWORD src1_sel:WORD_1
	v_mov_b32_e32 v5, s21
	v_add_co_u32_e32 v4, vcc, s20, v2
	v_addc_co_u32_e32 v5, vcc, v5, v3, vcc
	global_store_short v[4:5], v1, off
.LBB95_11:
	s_cmp_eq_u64 s[22:23], 0
	s_cbranch_scc1 .LBB95_13
; %bb.12:
	v_bfe_u32 v1, v0, 16, 1
	s_movk_i32 s0, 0x7fff
	v_add3_u32 v1, v0, v1, s0
	v_cmp_o_f32_e32 vcc, v0, v0
	v_mov_b32_e32 v0, 0x7fc0
	v_cndmask_b32_sdwa v4, v0, v1, vcc dst_sel:DWORD dst_unused:UNUSED_PAD src0_sel:DWORD src1_sel:WORD_1
	v_mov_b32_e32 v1, s23
	v_add_co_u32_e32 v0, vcc, s22, v2
	v_addc_co_u32_e32 v1, vcc, v1, v3, vcc
	global_store_short v[0:1], v4, off
.LBB95_13:
	s_endpgm
	.section	.rodata,"a",@progbits
	.p2align	6, 0x0
	.amdhsa_kernel _ZN2at6native12_GLOBAL__N_133GammaBetaBackwardSimpleCUDAKernelIN3c108BFloat16EfLb0EEEvllPKT_S7_PKT0_SA_PS5_SB_
		.amdhsa_group_segment_fixed_size 0
		.amdhsa_private_segment_fixed_size 0
		.amdhsa_kernarg_size 320
		.amdhsa_user_sgpr_count 6
		.amdhsa_user_sgpr_private_segment_buffer 1
		.amdhsa_user_sgpr_dispatch_ptr 0
		.amdhsa_user_sgpr_queue_ptr 0
		.amdhsa_user_sgpr_kernarg_segment_ptr 1
		.amdhsa_user_sgpr_dispatch_id 0
		.amdhsa_user_sgpr_flat_scratch_init 0
		.amdhsa_user_sgpr_private_segment_size 0
		.amdhsa_uses_dynamic_stack 0
		.amdhsa_system_sgpr_private_segment_wavefront_offset 0
		.amdhsa_system_sgpr_workgroup_id_x 1
		.amdhsa_system_sgpr_workgroup_id_y 0
		.amdhsa_system_sgpr_workgroup_id_z 0
		.amdhsa_system_sgpr_workgroup_info 0
		.amdhsa_system_vgpr_workitem_id 0
		.amdhsa_next_free_vgpr 10
		.amdhsa_next_free_sgpr 24
		.amdhsa_reserve_vcc 1
		.amdhsa_reserve_flat_scratch 0
		.amdhsa_float_round_mode_32 0
		.amdhsa_float_round_mode_16_64 0
		.amdhsa_float_denorm_mode_32 3
		.amdhsa_float_denorm_mode_16_64 3
		.amdhsa_dx10_clamp 1
		.amdhsa_ieee_mode 1
		.amdhsa_fp16_overflow 0
		.amdhsa_exception_fp_ieee_invalid_op 0
		.amdhsa_exception_fp_denorm_src 0
		.amdhsa_exception_fp_ieee_div_zero 0
		.amdhsa_exception_fp_ieee_overflow 0
		.amdhsa_exception_fp_ieee_underflow 0
		.amdhsa_exception_fp_ieee_inexact 0
		.amdhsa_exception_int_div_zero 0
	.end_amdhsa_kernel
	.section	.text._ZN2at6native12_GLOBAL__N_133GammaBetaBackwardSimpleCUDAKernelIN3c108BFloat16EfLb0EEEvllPKT_S7_PKT0_SA_PS5_SB_,"axG",@progbits,_ZN2at6native12_GLOBAL__N_133GammaBetaBackwardSimpleCUDAKernelIN3c108BFloat16EfLb0EEEvllPKT_S7_PKT0_SA_PS5_SB_,comdat
.Lfunc_end95:
	.size	_ZN2at6native12_GLOBAL__N_133GammaBetaBackwardSimpleCUDAKernelIN3c108BFloat16EfLb0EEEvllPKT_S7_PKT0_SA_PS5_SB_, .Lfunc_end95-_ZN2at6native12_GLOBAL__N_133GammaBetaBackwardSimpleCUDAKernelIN3c108BFloat16EfLb0EEEvllPKT_S7_PKT0_SA_PS5_SB_
                                        ; -- End function
	.set _ZN2at6native12_GLOBAL__N_133GammaBetaBackwardSimpleCUDAKernelIN3c108BFloat16EfLb0EEEvllPKT_S7_PKT0_SA_PS5_SB_.num_vgpr, 10
	.set _ZN2at6native12_GLOBAL__N_133GammaBetaBackwardSimpleCUDAKernelIN3c108BFloat16EfLb0EEEvllPKT_S7_PKT0_SA_PS5_SB_.num_agpr, 0
	.set _ZN2at6native12_GLOBAL__N_133GammaBetaBackwardSimpleCUDAKernelIN3c108BFloat16EfLb0EEEvllPKT_S7_PKT0_SA_PS5_SB_.numbered_sgpr, 24
	.set _ZN2at6native12_GLOBAL__N_133GammaBetaBackwardSimpleCUDAKernelIN3c108BFloat16EfLb0EEEvllPKT_S7_PKT0_SA_PS5_SB_.num_named_barrier, 0
	.set _ZN2at6native12_GLOBAL__N_133GammaBetaBackwardSimpleCUDAKernelIN3c108BFloat16EfLb0EEEvllPKT_S7_PKT0_SA_PS5_SB_.private_seg_size, 0
	.set _ZN2at6native12_GLOBAL__N_133GammaBetaBackwardSimpleCUDAKernelIN3c108BFloat16EfLb0EEEvllPKT_S7_PKT0_SA_PS5_SB_.uses_vcc, 1
	.set _ZN2at6native12_GLOBAL__N_133GammaBetaBackwardSimpleCUDAKernelIN3c108BFloat16EfLb0EEEvllPKT_S7_PKT0_SA_PS5_SB_.uses_flat_scratch, 0
	.set _ZN2at6native12_GLOBAL__N_133GammaBetaBackwardSimpleCUDAKernelIN3c108BFloat16EfLb0EEEvllPKT_S7_PKT0_SA_PS5_SB_.has_dyn_sized_stack, 0
	.set _ZN2at6native12_GLOBAL__N_133GammaBetaBackwardSimpleCUDAKernelIN3c108BFloat16EfLb0EEEvllPKT_S7_PKT0_SA_PS5_SB_.has_recursion, 0
	.set _ZN2at6native12_GLOBAL__N_133GammaBetaBackwardSimpleCUDAKernelIN3c108BFloat16EfLb0EEEvllPKT_S7_PKT0_SA_PS5_SB_.has_indirect_call, 0
	.section	.AMDGPU.csdata,"",@progbits
; Kernel info:
; codeLenInByte = 492
; TotalNumSgprs: 28
; NumVgprs: 10
; ScratchSize: 0
; MemoryBound: 0
; FloatMode: 240
; IeeeMode: 1
; LDSByteSize: 0 bytes/workgroup (compile time only)
; SGPRBlocks: 3
; VGPRBlocks: 2
; NumSGPRsForWavesPerEU: 28
; NumVGPRsForWavesPerEU: 10
; Occupancy: 10
; WaveLimiterHint : 0
; COMPUTE_PGM_RSRC2:SCRATCH_EN: 0
; COMPUTE_PGM_RSRC2:USER_SGPR: 6
; COMPUTE_PGM_RSRC2:TRAP_HANDLER: 0
; COMPUTE_PGM_RSRC2:TGID_X_EN: 1
; COMPUTE_PGM_RSRC2:TGID_Y_EN: 0
; COMPUTE_PGM_RSRC2:TGID_Z_EN: 0
; COMPUTE_PGM_RSRC2:TIDIG_COMP_CNT: 0
	.section	.text._ZN2at6native12_GLOBAL__N_135GammaBetaBackwardCUDAKernelTemplateIN3c108BFloat16EfLj64ELj1ELj32ELb1ELb1ELb0EEEvllPKT_S7_PKT0_SA_PS5_SB_,"axG",@progbits,_ZN2at6native12_GLOBAL__N_135GammaBetaBackwardCUDAKernelTemplateIN3c108BFloat16EfLj64ELj1ELj32ELb1ELb1ELb0EEEvllPKT_S7_PKT0_SA_PS5_SB_,comdat
	.globl	_ZN2at6native12_GLOBAL__N_135GammaBetaBackwardCUDAKernelTemplateIN3c108BFloat16EfLj64ELj1ELj32ELb1ELb1ELb0EEEvllPKT_S7_PKT0_SA_PS5_SB_ ; -- Begin function _ZN2at6native12_GLOBAL__N_135GammaBetaBackwardCUDAKernelTemplateIN3c108BFloat16EfLj64ELj1ELj32ELb1ELb1ELb0EEEvllPKT_S7_PKT0_SA_PS5_SB_
	.p2align	8
	.type	_ZN2at6native12_GLOBAL__N_135GammaBetaBackwardCUDAKernelTemplateIN3c108BFloat16EfLj64ELj1ELj32ELb1ELb1ELb0EEEvllPKT_S7_PKT0_SA_PS5_SB_,@function
_ZN2at6native12_GLOBAL__N_135GammaBetaBackwardCUDAKernelTemplateIN3c108BFloat16EfLj64ELj1ELj32ELb1ELb1ELb0EEEvllPKT_S7_PKT0_SA_PS5_SB_: ; @_ZN2at6native12_GLOBAL__N_135GammaBetaBackwardCUDAKernelTemplateIN3c108BFloat16EfLj64ELj1ELj32ELb1ELb1ELb0EEEvllPKT_S7_PKT0_SA_PS5_SB_
; %bb.0:
	s_load_dwordx4 s[16:19], s[4:5], 0x0
	s_lshl_b32 s24, s7, 5
	s_mov_b32 s25, 0
	v_mov_b32_e32 v2, s24
	v_mov_b32_e32 v3, s25
	s_waitcnt lgkmcnt(0)
	v_cmp_gt_i64_e32 vcc, s[16:17], v[2:3]
	s_mov_b32 s2, s7
	s_cbranch_vccnz .LBB96_2
; %bb.1:
	s_add_u32 s26, s4, 64
	s_addc_u32 s27, s5, 0
	s_mov_b64 s[0:1], 0
	s_branch .LBB96_3
.LBB96_2:
	s_mov_b64 s[0:1], -1
                                        ; implicit-def: $sgpr26_sgpr27
.LBB96_3:
	s_load_dwordx4 s[20:23], s[4:5], 0x30
	v_mov_b32_e32 v12, 0
	s_andn2_b64 vcc, exec, s[0:1]
	v_mov_b32_e32 v6, 0
	s_cbranch_vccnz .LBB96_10
; %bb.4:
	s_load_dword s0, s[4:5], 0x4c
	s_load_dword s3, s[4:5], 0x44
	s_load_dwordx8 s[8:15], s[4:5], 0x10
	s_add_u32 s26, s4, 64
	s_addc_u32 s27, s5, 0
	s_waitcnt lgkmcnt(0)
	s_and_b32 s0, s0, 0xffff
	v_mad_u32_u24 v2, v1, s0, v0
	v_and_b32_e32 v12, 63, v2
	v_lshlrev_b32_e32 v2, 5, v1
	v_mbcnt_lo_u32_b32 v3, -1, 0
	v_mbcnt_hi_u32_b32 v3, -1, v3
	v_add_co_u32_e32 v20, vcc, s24, v2
	v_lshlrev_b32_e32 v3, 2, v3
	v_addc_co_u32_e64 v21, s[4:5], 0, 0, vcc
	v_and_b32_e32 v7, 0x100, v3
	v_mul_lo_u32 v4, s19, v20
	v_mul_lo_u32 v15, s18, v21
	v_mad_u64_u32 v[2:3], s[4:5], s18, v20, 0
	v_mov_b32_e32 v6, 0
	v_lshl_or_b32 v5, s6, 6, v0
	v_add3_u32 v3, v3, v15, v4
	v_lshlrev_b64 v[2:3], 1, v[2:3]
	v_lshlrev_b64 v[4:5], 1, v[5:6]
	s_lshl_b32 s28, s3, 5
	v_add_co_u32_e32 v15, vcc, v2, v4
	v_addc_co_u32_e32 v16, vcc, v3, v5, vcc
	v_add_co_u32_e32 v2, vcc, v20, v12
	v_addc_co_u32_e32 v3, vcc, 0, v21, vcc
	s_mul_i32 s3, s19, s28
	s_mul_hi_u32 s4, s18, s28
	s_mov_b32 s29, 0
	s_add_i32 s5, s4, s3
	s_mul_i32 s4, s18, s28
	v_lshlrev_b64 v[4:5], 2, v[2:3]
	v_cmp_gt_u32_e64 s[0:1], 32, v12
	v_or_b32_e32 v8, 4, v7
	v_or_b32_e32 v9, 8, v7
	;; [unrolled: 1-line block ×10, first 2 shown]
	s_lshl_b64 s[30:31], s[28:29], 2
	s_lshl_b64 s[34:35], s[4:5], 1
	;; [unrolled: 1-line block ×3, first 2 shown]
	v_or_b32_e32 v21, 44, v7
	v_or_b32_e32 v22, 48, v7
	;; [unrolled: 1-line block ×21, first 2 shown]
	v_mov_b32_e32 v12, v6
	s_branch .LBB96_7
.LBB96_5:                               ;   in Loop: Header=BB96_7 Depth=1
	s_or_b64 exec, exec, s[38:39]
.LBB96_6:                               ;   in Loop: Header=BB96_7 Depth=1
	s_or_b64 exec, exec, s[4:5]
	v_mov_b32_e32 v44, s11
	v_add_co_u32_e32 v45, vcc, s10, v15
	v_addc_co_u32_e32 v46, vcc, v44, v16, vcc
	global_load_ushort v51, v[45:46], off
	v_mov_b32_e32 v44, s9
	v_add_co_u32_e32 v47, vcc, s8, v15
	v_addc_co_u32_e32 v48, vcc, v44, v16, vcc
	global_load_ushort v52, v[47:48], off
	;; [unrolled: 4-line block ×3, first 2 shown]
	v_add_co_u32_e32 v47, vcc, s36, v47
	v_addc_co_u32_e32 v48, vcc, v48, v44, vcc
	global_load_ushort v54, v[47:48], off
	v_add_co_u32_e32 v49, vcc, s36, v45
	v_addc_co_u32_e32 v50, vcc, v46, v44, vcc
	v_add_co_u32_e32 v45, vcc, s36, v47
	v_addc_co_u32_e32 v46, vcc, v48, v44, vcc
	;; [unrolled: 2-line block ×3, first 2 shown]
	global_load_ushort v55, v[49:50], off
	v_add_co_u32_e32 v49, vcc, s36, v45
	v_addc_co_u32_e32 v50, vcc, v46, v44, vcc
	global_load_ushort v46, v[45:46], off
	s_add_u32 s24, s24, s28
	s_addc_u32 s25, s25, 0
	v_add_co_u32_e64 v15, s[4:5], s34, v15
	s_waitcnt vmcnt(5)
	v_lshlrev_b32_e32 v45, 16, v51
	ds_bpermute_b32 v51, v7, v43
	s_waitcnt lgkmcnt(0)
	v_sub_f32_e32 v45, v45, v51
	s_waitcnt vmcnt(4)
	v_lshlrev_b32_e32 v51, 16, v52
	v_add_f32_e32 v6, v6, v51
	v_mul_f32_e32 v45, v45, v51
	ds_bpermute_b32 v51, v7, v42
	s_waitcnt lgkmcnt(0)
	v_fmac_f32_e32 v12, v45, v51
	ds_bpermute_b32 v45, v8, v43
	v_add_co_u32_e32 v51, vcc, s36, v47
	v_addc_co_u32_e32 v52, vcc, v48, v44, vcc
	global_load_ushort v47, v[47:48], off
	s_waitcnt vmcnt(4)
	v_lshlrev_b32_e32 v48, 16, v53
	ds_bpermute_b32 v53, v8, v42
	s_waitcnt lgkmcnt(1)
	v_sub_f32_e32 v48, v48, v45
	s_waitcnt vmcnt(3)
	v_lshlrev_b32_e32 v45, 16, v54
	v_mul_f32_e32 v48, v48, v45
	v_add_f32_e32 v6, v6, v45
	s_waitcnt lgkmcnt(0)
	v_fmac_f32_e32 v12, v48, v53
	global_load_ushort v48, v[49:50], off
	v_add_co_u32_e32 v53, vcc, s36, v49
	ds_bpermute_b32 v49, v9, v43
	v_addc_co_u32_e32 v54, vcc, v50, v44, vcc
	s_waitcnt vmcnt(3)
	v_lshlrev_b32_e32 v50, 16, v55
	s_waitcnt vmcnt(2)
	v_lshlrev_b32_e32 v46, 16, v46
	s_waitcnt lgkmcnt(0)
	v_sub_f32_e32 v49, v50, v49
	ds_bpermute_b32 v50, v9, v42
	v_mul_f32_e32 v49, v49, v46
	global_load_ushort v55, v[51:52], off
	v_add_f32_e32 v6, v6, v46
	s_waitcnt lgkmcnt(0)
	v_fmac_f32_e32 v12, v49, v50
	v_add_co_u32_e32 v49, vcc, s36, v51
	ds_bpermute_b32 v51, v10, v43
	v_addc_co_u32_e32 v50, vcc, v52, v44, vcc
	ds_bpermute_b32 v52, v10, v42
	s_waitcnt vmcnt(2)
	v_lshlrev_b32_e32 v47, 16, v47
	s_waitcnt lgkmcnt(1)
	v_sub_f32_e32 v51, v47, v51
	s_waitcnt vmcnt(1)
	v_lshlrev_b32_e32 v47, 16, v48
	v_mul_f32_e32 v48, v51, v47
	s_waitcnt lgkmcnt(0)
	v_fmac_f32_e32 v12, v48, v52
	global_load_ushort v48, v[53:54], off
	v_add_co_u32_e32 v51, vcc, s36, v53
	ds_bpermute_b32 v53, v11, v43
	v_addc_co_u32_e32 v52, vcc, v54, v44, vcc
	v_add_f32_e32 v6, v6, v47
	s_waitcnt vmcnt(1)
	v_lshlrev_b32_e32 v54, 16, v55
	s_waitcnt lgkmcnt(0)
	v_sub_f32_e32 v53, v54, v53
	ds_bpermute_b32 v54, v11, v42
	s_waitcnt vmcnt(0)
	v_lshlrev_b32_e32 v48, 16, v48
	v_mul_f32_e32 v53, v53, v48
	s_waitcnt lgkmcnt(0)
	v_fmac_f32_e32 v12, v53, v54
	v_add_co_u32_e32 v53, vcc, s36, v49
	global_load_ushort v49, v[49:50], off
	v_addc_co_u32_e32 v54, vcc, v50, v44, vcc
	global_load_ushort v50, v[51:52], off
	v_add_co_u32_e32 v55, vcc, s36, v51
	ds_bpermute_b32 v51, v13, v43
	v_addc_co_u32_e32 v56, vcc, v52, v44, vcc
	v_add_f32_e32 v6, v6, v48
	s_waitcnt vmcnt(1)
	v_lshlrev_b32_e32 v49, 16, v49
	s_waitcnt lgkmcnt(0)
	v_sub_f32_e32 v51, v49, v51
	s_waitcnt vmcnt(0)
	v_lshlrev_b32_e32 v49, 16, v50
	v_mul_f32_e32 v50, v51, v49
	ds_bpermute_b32 v51, v13, v42
	v_add_f32_e32 v6, v6, v49
	s_waitcnt lgkmcnt(0)
	v_fmac_f32_e32 v12, v50, v51
	v_add_co_u32_e32 v51, vcc, s36, v53
	v_addc_co_u32_e32 v52, vcc, v54, v44, vcc
	global_load_ushort v50, v[53:54], off
	v_add_co_u32_e32 v53, vcc, s36, v55
	global_load_ushort v55, v[55:56], off
	v_addc_co_u32_e32 v54, vcc, v56, v44, vcc
	ds_bpermute_b32 v56, v14, v43
	s_waitcnt vmcnt(1)
	v_lshlrev_b32_e32 v50, 16, v50
	s_waitcnt lgkmcnt(0)
	v_sub_f32_e32 v56, v50, v56
	s_waitcnt vmcnt(0)
	v_lshlrev_b32_e32 v50, 16, v55
	v_mul_f32_e32 v55, v56, v50
	ds_bpermute_b32 v56, v14, v42
	v_add_f32_e32 v6, v6, v50
	s_waitcnt lgkmcnt(0)
	v_fmac_f32_e32 v12, v55, v56
	v_add_co_u32_e32 v55, vcc, s36, v51
	global_load_ushort v51, v[51:52], off
	v_addc_co_u32_e32 v56, vcc, v52, v44, vcc
	global_load_ushort v52, v[53:54], off
	v_add_co_u32_e32 v57, vcc, s36, v53
	ds_bpermute_b32 v53, v17, v43
	v_addc_co_u32_e32 v58, vcc, v54, v44, vcc
	s_waitcnt vmcnt(1)
	v_lshlrev_b32_e32 v51, 16, v51
	s_waitcnt lgkmcnt(0)
	v_sub_f32_e32 v53, v51, v53
	s_waitcnt vmcnt(0)
	v_lshlrev_b32_e32 v51, 16, v52
	v_mul_f32_e32 v52, v53, v51
	ds_bpermute_b32 v53, v17, v42
	v_add_f32_e32 v6, v6, v51
	s_waitcnt lgkmcnt(0)
	v_fmac_f32_e32 v12, v52, v53
	v_add_co_u32_e32 v53, vcc, s36, v55
	v_addc_co_u32_e32 v54, vcc, v56, v44, vcc
	global_load_ushort v52, v[55:56], off
	v_add_co_u32_e32 v55, vcc, s36, v57
	global_load_ushort v57, v[57:58], off
	v_addc_co_u32_e32 v56, vcc, v58, v44, vcc
	ds_bpermute_b32 v58, v18, v43
	s_waitcnt vmcnt(1)
	v_lshlrev_b32_e32 v52, 16, v52
	s_waitcnt lgkmcnt(0)
	v_sub_f32_e32 v58, v52, v58
	s_waitcnt vmcnt(0)
	v_lshlrev_b32_e32 v52, 16, v57
	v_mul_f32_e32 v57, v58, v52
	ds_bpermute_b32 v58, v18, v42
	v_add_f32_e32 v6, v6, v52
	s_waitcnt lgkmcnt(0)
	v_fmac_f32_e32 v12, v57, v58
	v_add_co_u32_e32 v57, vcc, s36, v53
	global_load_ushort v53, v[53:54], off
	v_addc_co_u32_e32 v58, vcc, v54, v44, vcc
	global_load_ushort v54, v[55:56], off
	v_add_co_u32_e32 v59, vcc, s36, v55
	ds_bpermute_b32 v55, v19, v43
	v_addc_co_u32_e32 v60, vcc, v56, v44, vcc
	;; [unrolled: 36-line block ×6, first 2 shown]
	s_waitcnt vmcnt(1)
	v_lshlrev_b32_e32 v61, 16, v61
	s_waitcnt lgkmcnt(0)
	v_sub_f32_e32 v63, v61, v63
	s_waitcnt vmcnt(0)
	v_lshlrev_b32_e32 v61, 16, v62
	v_mul_f32_e32 v62, v63, v61
	ds_bpermute_b32 v63, v27, v42
	v_add_f32_e32 v6, v6, v61
	s_waitcnt lgkmcnt(0)
	v_fmac_f32_e32 v12, v62, v63
	v_add_co_u32_e32 v62, vcc, s36, v65
	v_addc_co_u32_e32 v63, vcc, v66, v44, vcc
	global_load_ushort v66, v[65:66], off
	v_add_co_u32_e32 v64, vcc, s36, v67
	global_load_ushort v67, v[67:68], off
	v_addc_co_u32_e32 v65, vcc, v68, v44, vcc
	ds_bpermute_b32 v68, v28, v43
	global_load_ushort v69, v[62:63], off
	s_waitcnt vmcnt(2)
	v_lshlrev_b32_e32 v66, 16, v66
	s_waitcnt lgkmcnt(0)
	v_sub_f32_e32 v66, v66, v68
	s_waitcnt vmcnt(1)
	v_lshlrev_b32_e32 v68, 16, v67
	ds_bpermute_b32 v67, v28, v42
	v_mul_f32_e32 v66, v66, v68
	v_add_f32_e32 v6, v6, v68
	s_waitcnt lgkmcnt(0)
	v_fmac_f32_e32 v12, v66, v67
	v_add_co_u32_e32 v66, vcc, s36, v62
	v_addc_co_u32_e32 v67, vcc, v63, v44, vcc
	v_add_co_u32_e32 v62, vcc, s36, v64
	global_load_ushort v64, v[64:65], off
	v_addc_co_u32_e32 v63, vcc, v65, v44, vcc
	s_waitcnt vmcnt(1)
	v_lshlrev_b32_e32 v65, 16, v69
	ds_bpermute_b32 v69, v29, v43
	global_load_ushort v70, v[66:67], off
	s_waitcnt lgkmcnt(0)
	v_sub_f32_e32 v65, v65, v69
	s_waitcnt vmcnt(1)
	v_lshlrev_b32_e32 v69, 16, v64
	v_mul_f32_e32 v64, v65, v69
	ds_bpermute_b32 v65, v29, v42
	v_add_f32_e32 v6, v6, v69
	s_waitcnt lgkmcnt(0)
	v_fmac_f32_e32 v12, v64, v65
	v_add_co_u32_e32 v64, vcc, s36, v66
	v_addc_co_u32_e32 v65, vcc, v67, v44, vcc
	v_add_co_u32_e32 v66, vcc, s36, v62
	global_load_ushort v62, v[62:63], off
	v_addc_co_u32_e32 v67, vcc, v63, v44, vcc
	s_waitcnt vmcnt(1)
	v_lshlrev_b32_e32 v63, 16, v70
	ds_bpermute_b32 v70, v30, v43
	global_load_ushort v71, v[64:65], off
	s_waitcnt lgkmcnt(0)
	v_sub_f32_e32 v63, v63, v70
	s_waitcnt vmcnt(1)
	v_lshlrev_b32_e32 v70, 16, v62
	v_mul_f32_e32 v62, v63, v70
	ds_bpermute_b32 v63, v30, v42
	;; [unrolled: 18-line block ×11, first 2 shown]
	v_add_f32_e32 v6, v6, v79
	s_waitcnt lgkmcnt(0)
	v_fmac_f32_e32 v12, v62, v63
	v_add_co_u32_e32 v62, vcc, s36, v64
	v_addc_co_u32_e32 v63, vcc, v65, v44, vcc
	v_add_co_u32_e32 v64, vcc, s36, v66
	v_addc_co_u32_e32 v65, vcc, v67, v44, vcc
	global_load_ushort v44, v[66:67], off
	ds_bpermute_b32 v67, v40, v43
	s_waitcnt vmcnt(1)
	v_lshlrev_b32_e32 v66, 16, v80
	ds_bpermute_b32 v43, v41, v43
	v_add_co_u32_e32 v4, vcc, s30, v4
	s_waitcnt lgkmcnt(1)
	v_sub_f32_e32 v66, v66, v67
	ds_bpermute_b32 v67, v40, v42
	ds_bpermute_b32 v42, v41, v42
	s_waitcnt vmcnt(0)
	v_lshlrev_b32_e32 v44, 16, v44
	v_mul_f32_e32 v66, v66, v44
	s_waitcnt lgkmcnt(1)
	v_fmac_f32_e32 v12, v66, v67
	global_load_ushort v66, v[64:65], off
	global_load_ushort v67, v[62:63], off
	v_add_f32_e32 v6, v6, v44
	s_waitcnt vmcnt(1)
	v_lshlrev_b32_e32 v44, 16, v66
	s_waitcnt vmcnt(0)
	v_lshlrev_b32_e32 v45, 16, v67
	v_sub_f32_e32 v43, v45, v43
	v_mul_f32_e32 v43, v43, v44
	s_waitcnt lgkmcnt(0)
	v_fmac_f32_e32 v12, v43, v42
	v_mov_b32_e32 v42, s31
	v_addc_co_u32_e32 v5, vcc, v5, v42, vcc
	v_add_co_u32_e32 v2, vcc, s28, v2
	v_mov_b32_e32 v43, s17
	v_addc_co_u32_e32 v3, vcc, 0, v3, vcc
	v_mov_b32_e32 v42, s16
	v_cmp_lt_i64_e32 vcc, s[24:25], v[42:43]
	v_add_f32_e32 v6, v6, v44
	v_mov_b32_e32 v44, s35
	v_addc_co_u32_e64 v16, s[4:5], v16, v44, s[4:5]
	s_cbranch_vccz .LBB96_10
.LBB96_7:                               ; =>This Inner Loop Header: Depth=1
	v_mov_b32_e32 v42, 0
	v_mov_b32_e32 v43, 0
	s_and_saveexec_b64 s[4:5], s[0:1]
	s_cbranch_execz .LBB96_6
; %bb.8:                                ;   in Loop: Header=BB96_7 Depth=1
	v_cmp_gt_i64_e32 vcc, s[16:17], v[2:3]
	v_mov_b32_e32 v43, 0
	v_mov_b32_e32 v42, 0
	s_and_saveexec_b64 s[38:39], vcc
	s_cbranch_execz .LBB96_5
; %bb.9:                                ;   in Loop: Header=BB96_7 Depth=1
	v_mov_b32_e32 v42, s15
	v_add_co_u32_e32 v44, vcc, s14, v4
	v_addc_co_u32_e32 v45, vcc, v42, v5, vcc
	v_mov_b32_e32 v42, s13
	v_add_co_u32_e32 v46, vcc, s12, v4
	v_addc_co_u32_e32 v47, vcc, v42, v5, vcc
	global_load_dword v43, v[46:47], off
	global_load_dword v42, v[44:45], off
	s_branch .LBB96_5
.LBB96_10:
	s_load_dword s0, s[26:27], 0xc
	v_mov_b32_e32 v2, 0
	v_mov_b32_e32 v3, s2
	s_mov_b32 s7, 0
	s_waitcnt lgkmcnt(0)
	s_lshr_b32 s0, s0, 16
	v_mad_u64_u32 v[2:3], s[0:1], s0, v3, v[1:2]
	s_lshl_b64 s[0:1], s[6:7], 6
	v_or_b32_e32 v0, s0, v0
	v_mul_lo_u32 v3, v3, s18
	v_mul_lo_u32 v4, v2, s19
	v_mov_b32_e32 v1, s1
	v_lshlrev_b64 v[0:1], 1, v[0:1]
	s_cmp_eq_u64 s[20:21], 0
	s_cbranch_scc1 .LBB96_12
; %bb.11:
	v_bfe_u32 v5, v12, 16, 1
	s_movk_i32 s0, 0x7fff
	v_add3_u32 v5, v12, v5, s0
	v_mad_u64_u32 v[7:8], s[0:1], v2, s18, 0
	v_cmp_o_f32_e32 vcc, v12, v12
	v_mov_b32_e32 v9, 0x7fc0
	v_add3_u32 v8, v8, v4, v3
	v_lshlrev_b64 v[7:8], 1, v[7:8]
	v_cndmask_b32_sdwa v5, v9, v5, vcc dst_sel:DWORD dst_unused:UNUSED_PAD src0_sel:DWORD src1_sel:WORD_1
	v_mov_b32_e32 v9, s21
	v_add_co_u32_e32 v7, vcc, s20, v7
	v_addc_co_u32_e32 v8, vcc, v9, v8, vcc
	v_add_co_u32_e32 v7, vcc, v7, v0
	v_addc_co_u32_e32 v8, vcc, v8, v1, vcc
	global_store_short v[7:8], v5, off
.LBB96_12:
	s_cmp_eq_u64 s[22:23], 0
	s_cbranch_scc1 .LBB96_14
; %bb.13:
	v_bfe_u32 v5, v6, 16, 1
	s_movk_i32 s0, 0x7fff
	v_add3_u32 v7, v6, v5, s0
	v_cmp_o_f32_e32 vcc, v6, v6
	v_mad_u64_u32 v[5:6], s[0:1], v2, s18, 0
	v_mov_b32_e32 v2, 0x7fc0
	v_cndmask_b32_sdwa v7, v2, v7, vcc dst_sel:DWORD dst_unused:UNUSED_PAD src0_sel:DWORD src1_sel:WORD_1
	v_add3_u32 v6, v6, v4, v3
	v_lshlrev_b64 v[2:3], 1, v[5:6]
	v_mov_b32_e32 v4, s23
	v_add_co_u32_e32 v2, vcc, s22, v2
	v_addc_co_u32_e32 v3, vcc, v4, v3, vcc
	v_add_co_u32_e32 v0, vcc, v2, v0
	v_addc_co_u32_e32 v1, vcc, v3, v1, vcc
	global_store_short v[0:1], v7, off
.LBB96_14:
	s_endpgm
	.section	.rodata,"a",@progbits
	.p2align	6, 0x0
	.amdhsa_kernel _ZN2at6native12_GLOBAL__N_135GammaBetaBackwardCUDAKernelTemplateIN3c108BFloat16EfLj64ELj1ELj32ELb1ELb1ELb0EEEvllPKT_S7_PKT0_SA_PS5_SB_
		.amdhsa_group_segment_fixed_size 0
		.amdhsa_private_segment_fixed_size 0
		.amdhsa_kernarg_size 320
		.amdhsa_user_sgpr_count 6
		.amdhsa_user_sgpr_private_segment_buffer 1
		.amdhsa_user_sgpr_dispatch_ptr 0
		.amdhsa_user_sgpr_queue_ptr 0
		.amdhsa_user_sgpr_kernarg_segment_ptr 1
		.amdhsa_user_sgpr_dispatch_id 0
		.amdhsa_user_sgpr_flat_scratch_init 0
		.amdhsa_user_sgpr_private_segment_size 0
		.amdhsa_uses_dynamic_stack 0
		.amdhsa_system_sgpr_private_segment_wavefront_offset 0
		.amdhsa_system_sgpr_workgroup_id_x 1
		.amdhsa_system_sgpr_workgroup_id_y 1
		.amdhsa_system_sgpr_workgroup_id_z 0
		.amdhsa_system_sgpr_workgroup_info 0
		.amdhsa_system_vgpr_workitem_id 1
		.amdhsa_next_free_vgpr 81
		.amdhsa_next_free_sgpr 40
		.amdhsa_reserve_vcc 1
		.amdhsa_reserve_flat_scratch 0
		.amdhsa_float_round_mode_32 0
		.amdhsa_float_round_mode_16_64 0
		.amdhsa_float_denorm_mode_32 3
		.amdhsa_float_denorm_mode_16_64 3
		.amdhsa_dx10_clamp 1
		.amdhsa_ieee_mode 1
		.amdhsa_fp16_overflow 0
		.amdhsa_exception_fp_ieee_invalid_op 0
		.amdhsa_exception_fp_denorm_src 0
		.amdhsa_exception_fp_ieee_div_zero 0
		.amdhsa_exception_fp_ieee_overflow 0
		.amdhsa_exception_fp_ieee_underflow 0
		.amdhsa_exception_fp_ieee_inexact 0
		.amdhsa_exception_int_div_zero 0
	.end_amdhsa_kernel
	.section	.text._ZN2at6native12_GLOBAL__N_135GammaBetaBackwardCUDAKernelTemplateIN3c108BFloat16EfLj64ELj1ELj32ELb1ELb1ELb0EEEvllPKT_S7_PKT0_SA_PS5_SB_,"axG",@progbits,_ZN2at6native12_GLOBAL__N_135GammaBetaBackwardCUDAKernelTemplateIN3c108BFloat16EfLj64ELj1ELj32ELb1ELb1ELb0EEEvllPKT_S7_PKT0_SA_PS5_SB_,comdat
.Lfunc_end96:
	.size	_ZN2at6native12_GLOBAL__N_135GammaBetaBackwardCUDAKernelTemplateIN3c108BFloat16EfLj64ELj1ELj32ELb1ELb1ELb0EEEvllPKT_S7_PKT0_SA_PS5_SB_, .Lfunc_end96-_ZN2at6native12_GLOBAL__N_135GammaBetaBackwardCUDAKernelTemplateIN3c108BFloat16EfLj64ELj1ELj32ELb1ELb1ELb0EEEvllPKT_S7_PKT0_SA_PS5_SB_
                                        ; -- End function
	.set _ZN2at6native12_GLOBAL__N_135GammaBetaBackwardCUDAKernelTemplateIN3c108BFloat16EfLj64ELj1ELj32ELb1ELb1ELb0EEEvllPKT_S7_PKT0_SA_PS5_SB_.num_vgpr, 81
	.set _ZN2at6native12_GLOBAL__N_135GammaBetaBackwardCUDAKernelTemplateIN3c108BFloat16EfLj64ELj1ELj32ELb1ELb1ELb0EEEvllPKT_S7_PKT0_SA_PS5_SB_.num_agpr, 0
	.set _ZN2at6native12_GLOBAL__N_135GammaBetaBackwardCUDAKernelTemplateIN3c108BFloat16EfLj64ELj1ELj32ELb1ELb1ELb0EEEvllPKT_S7_PKT0_SA_PS5_SB_.numbered_sgpr, 40
	.set _ZN2at6native12_GLOBAL__N_135GammaBetaBackwardCUDAKernelTemplateIN3c108BFloat16EfLj64ELj1ELj32ELb1ELb1ELb0EEEvllPKT_S7_PKT0_SA_PS5_SB_.num_named_barrier, 0
	.set _ZN2at6native12_GLOBAL__N_135GammaBetaBackwardCUDAKernelTemplateIN3c108BFloat16EfLj64ELj1ELj32ELb1ELb1ELb0EEEvllPKT_S7_PKT0_SA_PS5_SB_.private_seg_size, 0
	.set _ZN2at6native12_GLOBAL__N_135GammaBetaBackwardCUDAKernelTemplateIN3c108BFloat16EfLj64ELj1ELj32ELb1ELb1ELb0EEEvllPKT_S7_PKT0_SA_PS5_SB_.uses_vcc, 1
	.set _ZN2at6native12_GLOBAL__N_135GammaBetaBackwardCUDAKernelTemplateIN3c108BFloat16EfLj64ELj1ELj32ELb1ELb1ELb0EEEvllPKT_S7_PKT0_SA_PS5_SB_.uses_flat_scratch, 0
	.set _ZN2at6native12_GLOBAL__N_135GammaBetaBackwardCUDAKernelTemplateIN3c108BFloat16EfLj64ELj1ELj32ELb1ELb1ELb0EEEvllPKT_S7_PKT0_SA_PS5_SB_.has_dyn_sized_stack, 0
	.set _ZN2at6native12_GLOBAL__N_135GammaBetaBackwardCUDAKernelTemplateIN3c108BFloat16EfLj64ELj1ELj32ELb1ELb1ELb0EEEvllPKT_S7_PKT0_SA_PS5_SB_.has_recursion, 0
	.set _ZN2at6native12_GLOBAL__N_135GammaBetaBackwardCUDAKernelTemplateIN3c108BFloat16EfLj64ELj1ELj32ELb1ELb1ELb0EEEvllPKT_S7_PKT0_SA_PS5_SB_.has_indirect_call, 0
	.section	.AMDGPU.csdata,"",@progbits
; Kernel info:
; codeLenInByte = 3756
; TotalNumSgprs: 44
; NumVgprs: 81
; ScratchSize: 0
; MemoryBound: 0
; FloatMode: 240
; IeeeMode: 1
; LDSByteSize: 0 bytes/workgroup (compile time only)
; SGPRBlocks: 5
; VGPRBlocks: 20
; NumSGPRsForWavesPerEU: 44
; NumVGPRsForWavesPerEU: 81
; Occupancy: 3
; WaveLimiterHint : 0
; COMPUTE_PGM_RSRC2:SCRATCH_EN: 0
; COMPUTE_PGM_RSRC2:USER_SGPR: 6
; COMPUTE_PGM_RSRC2:TRAP_HANDLER: 0
; COMPUTE_PGM_RSRC2:TGID_X_EN: 1
; COMPUTE_PGM_RSRC2:TGID_Y_EN: 1
; COMPUTE_PGM_RSRC2:TGID_Z_EN: 0
; COMPUTE_PGM_RSRC2:TIDIG_COMP_CNT: 1
	.section	.text._ZN2at6native12_GLOBAL__N_135GammaBetaBackwardCUDAKernelTemplateIN3c108BFloat16EfLj64ELj1ELj32ELb1ELb0ELb0EEEvllPKT_S7_PKT0_SA_PS5_SB_,"axG",@progbits,_ZN2at6native12_GLOBAL__N_135GammaBetaBackwardCUDAKernelTemplateIN3c108BFloat16EfLj64ELj1ELj32ELb1ELb0ELb0EEEvllPKT_S7_PKT0_SA_PS5_SB_,comdat
	.globl	_ZN2at6native12_GLOBAL__N_135GammaBetaBackwardCUDAKernelTemplateIN3c108BFloat16EfLj64ELj1ELj32ELb1ELb0ELb0EEEvllPKT_S7_PKT0_SA_PS5_SB_ ; -- Begin function _ZN2at6native12_GLOBAL__N_135GammaBetaBackwardCUDAKernelTemplateIN3c108BFloat16EfLj64ELj1ELj32ELb1ELb0ELb0EEEvllPKT_S7_PKT0_SA_PS5_SB_
	.p2align	8
	.type	_ZN2at6native12_GLOBAL__N_135GammaBetaBackwardCUDAKernelTemplateIN3c108BFloat16EfLj64ELj1ELj32ELb1ELb0ELb0EEEvllPKT_S7_PKT0_SA_PS5_SB_,@function
_ZN2at6native12_GLOBAL__N_135GammaBetaBackwardCUDAKernelTemplateIN3c108BFloat16EfLj64ELj1ELj32ELb1ELb0ELb0EEEvllPKT_S7_PKT0_SA_PS5_SB_: ; @_ZN2at6native12_GLOBAL__N_135GammaBetaBackwardCUDAKernelTemplateIN3c108BFloat16EfLj64ELj1ELj32ELb1ELb0ELb0EEEvllPKT_S7_PKT0_SA_PS5_SB_
; %bb.0:
	s_mov_b64 s[42:43], s[2:3]
	s_mov_b64 s[40:41], s[0:1]
	s_add_u32 s40, s40, s8
	s_mov_b32 s8, s7
	s_load_dwordx8 s[12:19], s[4:5], 0x0
	s_load_dwordx4 s[20:23], s[4:5], 0x20
	s_addc_u32 s41, s41, 0
	s_lshl_b32 s24, s8, 5
	s_lshl_b32 s7, s6, 6
	s_mov_b32 s25, 0
	v_mov_b32_e32 v2, s24
	s_or_b32 s0, s7, 63
	v_mov_b32_e32 v3, s25
	v_mov_b32_e32 v129, s0
	;; [unrolled: 1-line block ×3, first 2 shown]
	s_waitcnt lgkmcnt(0)
	v_cmp_gt_i64_e64 s[0:1], s[12:13], v[2:3]
	v_cmp_le_i64_e32 vcc, s[14:15], v[129:130]
	v_cndmask_b32_e64 v2, 0, 1, s[0:1]
	v_cmp_ne_u32_e64 s[0:1], 1, v2
	s_cbranch_vccz .LBB97_145
; %bb.1:
	s_and_b64 vcc, exec, s[0:1]
	v_mov_b32_e32 v133, 0
	s_cbranch_vccnz .LBB97_146
; %bb.2:
	v_lshlrev_b32_e32 v210, 5, v1
	v_add_co_u32_e32 v8, vcc, s24, v210
	v_addc_co_u32_e64 v9, s[2:3], 0, 0, vcc
	v_mul_lo_u32 v10, s15, v8
	v_mul_lo_u32 v11, s14, v9
	v_mad_u64_u32 v[6:7], s[2:3], s14, v8, 0
	s_load_dword s9, s[4:5], 0x44
	v_add_u32_e32 v2, s7, v0
	v_add3_u32 v7, v7, v11, v10
	v_lshlrev_b64 v[11:12], 1, v[6:7]
	v_mov_b32_e32 v3, 0
	s_add_u32 s26, s4, 64
	v_cmp_gt_i64_e64 s[2:3], s[14:15], v[2:3]
	v_lshlrev_b64 v[4:5], 1, v[2:3]
	v_mov_b32_e32 v10, s17
	v_add_co_u32_e32 v2, vcc, s16, v11
	s_addc_u32 s27, s5, 0
	s_waitcnt lgkmcnt(0)
	s_lshl_b32 s9, s9, 5
	v_addc_co_u32_e32 v10, vcc, v10, v12, vcc
	s_mul_i32 s10, s15, s9
	s_mul_hi_u32 s11, s14, s9
	v_add_co_u32_e32 v13, vcc, 31, v8
	s_add_i32 s11, s11, s10
	s_mul_i32 s10, s14, s9
	v_addc_co_u32_e32 v14, vcc, 0, v9, vcc
	s_lshl_b64 s[28:29], s[10:11], 1
	v_mul_lo_u32 v16, s15, v13
	v_mul_lo_u32 v17, s14, v14
	v_mad_u64_u32 v[13:14], s[10:11], s14, v13, 0
	v_mov_b32_e32 v15, s19
	v_add_co_u32_e32 v11, vcc, s18, v11
	v_add3_u32 v14, v14, v17, v16
	v_addc_co_u32_e32 v12, vcc, v15, v12, vcc
	v_lshlrev_b64 v[15:16], 1, v[13:14]
	v_mov_b32_e32 v14, s17
	v_add_co_u32_e32 v13, vcc, s16, v15
	v_addc_co_u32_e32 v14, vcc, v14, v16, vcc
	v_add_co_u32_e32 v17, vcc, 30, v8
	v_addc_co_u32_e32 v18, vcc, 0, v9, vcc
	v_mul_lo_u32 v20, s15, v17
	v_mul_lo_u32 v21, s14, v18
	v_mad_u64_u32 v[17:18], s[10:11], s14, v17, 0
	v_mov_b32_e32 v19, s19
	v_add_co_u32_e32 v15, vcc, s18, v15
	v_add3_u32 v18, v18, v21, v20
	v_addc_co_u32_e32 v16, vcc, v19, v16, vcc
	v_lshlrev_b64 v[19:20], 1, v[17:18]
	v_mov_b32_e32 v18, s17
	v_add_co_u32_e32 v17, vcc, s16, v19
	v_addc_co_u32_e32 v18, vcc, v18, v20, vcc
	v_add_co_u32_e32 v21, vcc, 29, v8
	v_addc_co_u32_e32 v22, vcc, 0, v9, vcc
	;; [unrolled: 13-line block ×29, first 2 shown]
	v_mul_lo_u32 v130, s15, v8
	v_mul_lo_u32 v131, s14, v9
	v_mad_u64_u32 v[8:9], s[10:11], s14, v8, 0
	v_mov_b32_e32 v129, s19
	v_add_co_u32_e32 v127, vcc, s18, v127
	v_add3_u32 v9, v9, v131, v130
	v_lshlrev_b64 v[8:9], 1, v[8:9]
	v_addc_co_u32_e32 v128, vcc, v129, v128, vcc
	v_mov_b32_e32 v130, s17
	v_add_co_u32_e32 v129, vcc, s16, v8
	v_addc_co_u32_e32 v131, vcc, v130, v9, vcc
	v_mov_b32_e32 v130, s19
	v_add_co_u32_e32 v132, vcc, s18, v8
	;; [unrolled: 3-line block ×3, first 2 shown]
	v_addc_co_u32_e32 v7, vcc, v7, v8, vcc
	v_lshlrev_b64 v[6:7], 1, v[6:7]
	v_mov_b32_e32 v8, s17
	v_add_co_u32_e32 v135, vcc, s16, v6
	v_addc_co_u32_e32 v136, vcc, v8, v7, vcc
	v_add_co_u32_e32 v137, vcc, s18, v6
	v_mbcnt_lo_u32_b32 v6, -1, 0
	v_mbcnt_hi_u32_b32 v6, -1, v6
	v_mov_b32_e32 v8, s19
	v_lshlrev_b32_e32 v6, 2, v6
	v_mov_b32_e32 v209, v3
	s_mov_b64 s[30:31], 31
	v_addc_co_u32_e32 v138, vcc, v8, v7, vcc
	v_and_b32_e32 v139, 0x100, v6
	v_mov_b32_e32 v133, 0
	v_mov_b32_e32 v140, 0
	s_mov_b64 s[34:35], s[24:25]
.LBB97_3:                               ; =>This Inner Loop Header: Depth=1
	s_add_u32 s10, s24, s30
	v_mov_b32_e32 v6, s12
	s_addc_u32 s11, 0, s31
	v_mov_b32_e32 v7, s13
	v_cmp_ge_i64_e32 vcc, s[10:11], v[6:7]
	v_add_co_u32_e64 v6, s[10:11], s24, v210
	v_addc_co_u32_e64 v7, s[10:11], 0, v209, s[10:11]
	s_mov_b64 s[10:11], -1
	s_and_b64 vcc, exec, vcc
                                        ; implicit-def: $vgpr169
                                        ; implicit-def: $vgpr165
                                        ; implicit-def: $vgpr8
                                        ; implicit-def: $vgpr9
                                        ; implicit-def: $vgpr130
                                        ; implicit-def: $vgpr141
	s_cbranch_vccz .LBB97_73
; %bb.4:                                ;   in Loop: Header=BB97_3 Depth=1
	s_load_dword s10, s[26:27], 0xc
	v_mov_b32_e32 v130, 0
	v_mov_b32_e32 v141, 0
	v_mov_b32_e32 v142, 0
	s_waitcnt lgkmcnt(0)
	s_and_b32 s10, s10, 0xffff
	v_mad_u32_u24 v8, v1, s10, v0
	v_and_b32_e32 v8, 63, v8
	v_cmp_gt_u32_e32 vcc, 32, v8
	s_and_saveexec_b64 s[10:11], vcc
	s_cbranch_execz .LBB97_8
; %bb.5:                                ;   in Loop: Header=BB97_3 Depth=1
	v_add_co_u32_e32 v8, vcc, v6, v8
	v_addc_co_u32_e32 v9, vcc, 0, v7, vcc
	v_cmp_gt_i64_e32 vcc, s[12:13], v[8:9]
	v_mov_b32_e32 v142, 0
	v_mov_b32_e32 v141, 0
	s_and_saveexec_b64 s[36:37], vcc
	s_cbranch_execz .LBB97_7
; %bb.6:                                ;   in Loop: Header=BB97_3 Depth=1
	v_lshlrev_b64 v[8:9], 2, v[8:9]
	v_mov_b32_e32 v141, s23
	v_add_co_u32_e32 v143, vcc, s22, v8
	v_addc_co_u32_e32 v144, vcc, v141, v9, vcc
	v_mov_b32_e32 v141, s21
	v_add_co_u32_e32 v8, vcc, s20, v8
	v_addc_co_u32_e32 v9, vcc, v141, v9, vcc
	global_load_dword v142, v[8:9], off
	global_load_dword v141, v[143:144], off
.LBB97_7:                               ;   in Loop: Header=BB97_3 Depth=1
	s_or_b64 exec, exec, s[36:37]
.LBB97_8:                               ;   in Loop: Header=BB97_3 Depth=1
	s_or_b64 exec, exec, s[10:11]
	v_cmp_gt_i64_e32 vcc, s[12:13], v[6:7]
	v_mov_b32_e32 v8, 0
	s_and_b64 s[36:37], s[2:3], vcc
	s_and_saveexec_b64 s[10:11], s[36:37]
	s_cbranch_execz .LBB97_10
; %bb.9:                                ;   in Loop: Header=BB97_3 Depth=1
	v_add_co_u32_e32 v8, vcc, v2, v4
	v_addc_co_u32_e32 v9, vcc, v10, v5, vcc
	v_add_co_u32_e32 v143, vcc, v11, v4
	v_addc_co_u32_e32 v144, vcc, v12, v5, vcc
	global_load_ushort v130, v[143:144], off
	s_nop 0
	global_load_ushort v8, v[8:9], off
	s_waitcnt vmcnt(1)
	v_lshlrev_b32_e32 v130, 16, v130
	s_waitcnt vmcnt(0)
	v_lshlrev_b32_e32 v8, 16, v8
.LBB97_10:                              ;   in Loop: Header=BB97_3 Depth=1
	s_or_b64 exec, exec, s[10:11]
	v_add_co_u32_e32 v143, vcc, 1, v6
	v_addc_co_u32_e32 v144, vcc, 0, v7, vcc
	v_cmp_gt_i64_e32 vcc, s[12:13], v[143:144]
	v_mov_b32_e32 v9, 0
	s_and_b64 s[36:37], s[2:3], vcc
	v_mov_b32_e32 v144, 0
	v_mov_b32_e32 v143, 0
	s_and_saveexec_b64 s[10:11], s[36:37]
	s_cbranch_execz .LBB97_12
; %bb.11:                               ;   in Loop: Header=BB97_3 Depth=1
	v_add_co_u32_e32 v143, vcc, v135, v4
	v_addc_co_u32_e32 v144, vcc, v136, v5, vcc
	v_add_co_u32_e32 v145, vcc, v137, v4
	v_addc_co_u32_e32 v146, vcc, v138, v5, vcc
	global_load_ushort v145, v[145:146], off
	s_nop 0
	global_load_ushort v143, v[143:144], off
	s_waitcnt vmcnt(1)
	v_lshlrev_b32_e32 v144, 16, v145
	s_waitcnt vmcnt(0)
	v_lshlrev_b32_e32 v143, 16, v143
.LBB97_12:                              ;   in Loop: Header=BB97_3 Depth=1
	s_or_b64 exec, exec, s[10:11]
	v_add_co_u32_e32 v145, vcc, 2, v6
	v_addc_co_u32_e32 v146, vcc, 0, v7, vcc
	v_cmp_gt_i64_e32 vcc, s[12:13], v[145:146]
	v_mov_b32_e32 v145, 0
	s_and_b64 s[36:37], s[2:3], vcc
	s_and_saveexec_b64 s[10:11], s[36:37]
	s_cbranch_execz .LBB97_14
; %bb.13:                               ;   in Loop: Header=BB97_3 Depth=1
	v_add_co_u32_e32 v145, vcc, v129, v4
	v_addc_co_u32_e32 v146, vcc, v131, v5, vcc
	v_add_co_u32_e32 v147, vcc, v132, v4
	v_addc_co_u32_e32 v148, vcc, v134, v5, vcc
	global_load_ushort v9, v[147:148], off
	s_nop 0
	global_load_ushort v145, v[145:146], off
	s_waitcnt vmcnt(1)
	v_lshlrev_b32_e32 v9, 16, v9
	s_waitcnt vmcnt(0)
	v_lshlrev_b32_e32 v145, 16, v145
.LBB97_14:                              ;   in Loop: Header=BB97_3 Depth=1
	s_or_b64 exec, exec, s[10:11]
	v_add_co_u32_e32 v146, vcc, 3, v6
	v_addc_co_u32_e32 v147, vcc, 0, v7, vcc
	v_cmp_gt_i64_e32 vcc, s[12:13], v[146:147]
	v_mov_b32_e32 v146, 0
	s_and_b64 s[36:37], s[2:3], vcc
	v_mov_b32_e32 v148, 0
	v_mov_b32_e32 v147, 0
	s_and_saveexec_b64 s[10:11], s[36:37]
	s_cbranch_execz .LBB97_16
; %bb.15:                               ;   in Loop: Header=BB97_3 Depth=1
	v_add_co_u32_e32 v147, vcc, v125, v4
	v_addc_co_u32_e32 v148, vcc, v126, v5, vcc
	v_add_co_u32_e32 v149, vcc, v127, v4
	v_addc_co_u32_e32 v150, vcc, v128, v5, vcc
	global_load_ushort v149, v[149:150], off
	s_nop 0
	global_load_ushort v147, v[147:148], off
	s_waitcnt vmcnt(1)
	v_lshlrev_b32_e32 v148, 16, v149
	s_waitcnt vmcnt(0)
	v_lshlrev_b32_e32 v147, 16, v147
.LBB97_16:                              ;   in Loop: Header=BB97_3 Depth=1
	s_or_b64 exec, exec, s[10:11]
	v_add_co_u32_e32 v149, vcc, 4, v6
	v_addc_co_u32_e32 v150, vcc, 0, v7, vcc
	v_cmp_gt_i64_e32 vcc, s[12:13], v[149:150]
	v_mov_b32_e32 v149, 0
	s_and_b64 s[36:37], s[2:3], vcc
	s_and_saveexec_b64 s[10:11], s[36:37]
	s_cbranch_execz .LBB97_18
; %bb.17:                               ;   in Loop: Header=BB97_3 Depth=1
	v_add_co_u32_e32 v149, vcc, v121, v4
	v_addc_co_u32_e32 v150, vcc, v122, v5, vcc
	v_add_co_u32_e32 v151, vcc, v123, v4
	v_addc_co_u32_e32 v152, vcc, v124, v5, vcc
	global_load_ushort v146, v[151:152], off
	s_nop 0
	global_load_ushort v149, v[149:150], off
	s_waitcnt vmcnt(1)
	v_lshlrev_b32_e32 v146, 16, v146
	s_waitcnt vmcnt(0)
	v_lshlrev_b32_e32 v149, 16, v149
.LBB97_18:                              ;   in Loop: Header=BB97_3 Depth=1
	;; [unrolled: 44-line block ×6, first 2 shown]
	s_or_b64 exec, exec, s[10:11]
	v_add_co_u32_e32 v167, vcc, 13, v6
	v_addc_co_u32_e32 v168, vcc, 0, v7, vcc
	v_cmp_gt_i64_e32 vcc, s[12:13], v[167:168]
	v_mov_b32_e32 v167, 0
	s_and_b64 s[36:37], s[2:3], vcc
	v_mov_b32_e32 v170, 0
	v_mov_b32_e32 v168, 0
	s_and_saveexec_b64 s[10:11], s[36:37]
	s_cbranch_execz .LBB97_36
; %bb.35:                               ;   in Loop: Header=BB97_3 Depth=1
	v_add_co_u32_e32 v168, vcc, v85, v4
	v_addc_co_u32_e32 v169, vcc, v86, v5, vcc
	v_add_co_u32_e32 v170, vcc, v87, v4
	v_addc_co_u32_e32 v171, vcc, v88, v5, vcc
	global_load_ushort v165, v[170:171], off
	s_nop 0
	global_load_ushort v168, v[168:169], off
	s_waitcnt vmcnt(1)
	v_lshlrev_b32_e32 v170, 16, v165
	s_waitcnt vmcnt(0)
	v_lshlrev_b32_e32 v168, 16, v168
.LBB97_36:                              ;   in Loop: Header=BB97_3 Depth=1
	s_or_b64 exec, exec, s[10:11]
	v_add_co_u32_e32 v171, vcc, 14, v6
	v_addc_co_u32_e32 v172, vcc, 0, v7, vcc
	v_cmp_gt_i64_e32 vcc, s[12:13], v[171:172]
	v_mov_b32_e32 v171, 0
	s_and_b64 s[36:37], s[2:3], vcc
	s_and_saveexec_b64 s[10:11], s[36:37]
	s_cbranch_execz .LBB97_38
; %bb.37:                               ;   in Loop: Header=BB97_3 Depth=1
	v_add_co_u32_e32 v171, vcc, v81, v4
	v_addc_co_u32_e32 v172, vcc, v82, v5, vcc
	v_add_co_u32_e32 v173, vcc, v83, v4
	v_addc_co_u32_e32 v174, vcc, v84, v5, vcc
	global_load_ushort v165, v[173:174], off
	global_load_ushort v169, v[171:172], off
	s_waitcnt vmcnt(1)
	v_lshlrev_b32_e32 v167, 16, v165
	s_waitcnt vmcnt(0)
	v_lshlrev_b32_e32 v171, 16, v169
.LBB97_38:                              ;   in Loop: Header=BB97_3 Depth=1
	s_or_b64 exec, exec, s[10:11]
	v_add_co_u32_e32 v172, vcc, 15, v6
	v_addc_co_u32_e32 v173, vcc, 0, v7, vcc
	v_cmp_gt_i64_e32 vcc, s[12:13], v[172:173]
	v_mov_b32_e32 v172, 0
	s_and_b64 s[36:37], s[2:3], vcc
	v_mov_b32_e32 v174, 0
	v_mov_b32_e32 v173, 0
	s_and_saveexec_b64 s[10:11], s[36:37]
	s_cbranch_execz .LBB97_40
; %bb.39:                               ;   in Loop: Header=BB97_3 Depth=1
	v_add_co_u32_e32 v173, vcc, v77, v4
	v_addc_co_u32_e32 v174, vcc, v78, v5, vcc
	v_add_co_u32_e32 v175, vcc, v79, v4
	v_addc_co_u32_e32 v176, vcc, v80, v5, vcc
	global_load_ushort v165, v[175:176], off
	global_load_ushort v169, v[173:174], off
	s_waitcnt vmcnt(1)
	v_lshlrev_b32_e32 v174, 16, v165
	s_waitcnt vmcnt(0)
	v_lshlrev_b32_e32 v173, 16, v169
.LBB97_40:                              ;   in Loop: Header=BB97_3 Depth=1
	s_or_b64 exec, exec, s[10:11]
	v_add_co_u32_e32 v175, vcc, 16, v6
	v_addc_co_u32_e32 v176, vcc, 0, v7, vcc
	v_cmp_gt_i64_e32 vcc, s[12:13], v[175:176]
	v_mov_b32_e32 v175, 0
	s_and_b64 s[36:37], s[2:3], vcc
	s_and_saveexec_b64 s[10:11], s[36:37]
	s_cbranch_execz .LBB97_42
; %bb.41:                               ;   in Loop: Header=BB97_3 Depth=1
	v_add_co_u32_e32 v175, vcc, v73, v4
	v_addc_co_u32_e32 v176, vcc, v74, v5, vcc
	v_add_co_u32_e32 v177, vcc, v75, v4
	v_addc_co_u32_e32 v178, vcc, v76, v5, vcc
	global_load_ushort v165, v[177:178], off
	global_load_ushort v169, v[175:176], off
	s_waitcnt vmcnt(1)
	v_lshlrev_b32_e32 v172, 16, v165
	s_waitcnt vmcnt(0)
	v_lshlrev_b32_e32 v175, 16, v169
.LBB97_42:                              ;   in Loop: Header=BB97_3 Depth=1
	s_or_b64 exec, exec, s[10:11]
	v_add_co_u32_e32 v176, vcc, 17, v6
	v_addc_co_u32_e32 v177, vcc, 0, v7, vcc
	v_cmp_gt_i64_e32 vcc, s[12:13], v[176:177]
	v_mov_b32_e32 v176, 0
	s_and_b64 s[36:37], s[2:3], vcc
	v_mov_b32_e32 v178, 0
	v_mov_b32_e32 v177, 0
	s_and_saveexec_b64 s[10:11], s[36:37]
	s_cbranch_execz .LBB97_44
; %bb.43:                               ;   in Loop: Header=BB97_3 Depth=1
	v_add_co_u32_e32 v177, vcc, v69, v4
	v_addc_co_u32_e32 v178, vcc, v70, v5, vcc
	v_add_co_u32_e32 v179, vcc, v71, v4
	v_addc_co_u32_e32 v180, vcc, v72, v5, vcc
	global_load_ushort v165, v[179:180], off
	global_load_ushort v169, v[177:178], off
	s_waitcnt vmcnt(1)
	v_lshlrev_b32_e32 v178, 16, v165
	s_waitcnt vmcnt(0)
	v_lshlrev_b32_e32 v177, 16, v169
.LBB97_44:                              ;   in Loop: Header=BB97_3 Depth=1
	;; [unrolled: 42-line block ×8, first 2 shown]
	s_or_b64 exec, exec, s[10:11]
	v_add_co_u32_e32 v203, vcc, 30, v6
	v_addc_co_u32_e32 v204, vcc, 0, v7, vcc
	v_cmp_gt_i64_e32 vcc, s[12:13], v[203:204]
	v_mov_b32_e32 v203, 0
	s_and_b64 s[36:37], s[2:3], vcc
	s_and_saveexec_b64 s[10:11], s[36:37]
	s_cbranch_execz .LBB97_70
; %bb.69:                               ;   in Loop: Header=BB97_3 Depth=1
	v_add_co_u32_e32 v203, vcc, v17, v4
	v_addc_co_u32_e32 v204, vcc, v18, v5, vcc
	v_add_co_u32_e32 v205, vcc, v19, v4
	v_addc_co_u32_e32 v206, vcc, v20, v5, vcc
	global_load_ushort v165, v[205:206], off
	global_load_ushort v169, v[203:204], off
	s_waitcnt vmcnt(1)
	v_lshlrev_b32_e32 v200, 16, v165
	s_waitcnt vmcnt(0)
	v_lshlrev_b32_e32 v203, 16, v169
.LBB97_70:                              ;   in Loop: Header=BB97_3 Depth=1
	s_or_b64 exec, exec, s[10:11]
	v_add_co_u32_e32 v204, vcc, 31, v6
	v_addc_co_u32_e32 v205, vcc, 0, v7, vcc
	v_cmp_gt_i64_e32 vcc, s[12:13], v[204:205]
	v_mov_b32_e32 v165, 0
	s_and_b64 s[36:37], s[2:3], vcc
	v_mov_b32_e32 v169, 0
	s_and_saveexec_b64 s[10:11], s[36:37]
	s_cbranch_execz .LBB97_72
; %bb.71:                               ;   in Loop: Header=BB97_3 Depth=1
	v_add_co_u32_e32 v204, vcc, v13, v4
	v_addc_co_u32_e32 v205, vcc, v14, v5, vcc
	v_add_co_u32_e32 v206, vcc, v15, v4
	v_addc_co_u32_e32 v207, vcc, v16, v5, vcc
	global_load_ushort v165, v[206:207], off
	global_load_ushort v169, v[204:205], off
	s_waitcnt vmcnt(1)
	v_lshlrev_b32_e32 v165, 16, v165
	s_waitcnt vmcnt(0)
	v_lshlrev_b32_e32 v169, 16, v169
.LBB97_72:                              ;   in Loop: Header=BB97_3 Depth=1
	s_or_b64 exec, exec, s[10:11]
	s_waitcnt vmcnt(1)
	ds_bpermute_b32 v204, v139, v142
	s_waitcnt vmcnt(0)
	ds_bpermute_b32 v205, v139, v141
	ds_bpermute_b32 v207, v139, v142 offset:4
	ds_bpermute_b32 v208, v139, v141 offset:4
	v_add_f32_e32 v206, v133, v8
	s_waitcnt lgkmcnt(3)
	v_sub_f32_e32 v130, v130, v204
	v_mul_f32_e32 v8, v8, v130
	s_waitcnt lgkmcnt(2)
	v_fma_f32 v130, v8, v205, v140
	s_waitcnt lgkmcnt(1)
	v_sub_f32_e32 v8, v144, v207
	ds_bpermute_b32 v144, v139, v142 offset:8
	v_mul_f32_e32 v8, v143, v8
	s_waitcnt lgkmcnt(1)
	v_fmac_f32_e32 v130, v8, v208
	ds_bpermute_b32 v8, v139, v141 offset:8
	v_add_f32_e32 v143, v206, v143
	s_waitcnt lgkmcnt(1)
	v_sub_f32_e32 v9, v9, v144
	ds_bpermute_b32 v144, v139, v142 offset:12
	v_mul_f32_e32 v9, v145, v9
	s_waitcnt lgkmcnt(1)
	v_fmac_f32_e32 v130, v9, v8
	ds_bpermute_b32 v8, v139, v141 offset:12
	v_add_f32_e32 v9, v143, v145
	;; [unrolled: 8-line block ×28, first 2 shown]
	s_waitcnt lgkmcnt(1)
	v_sub_f32_e32 v143, v202, v144
	ds_bpermute_b32 v144, v139, v142 offset:120
	v_mul_f32_e32 v143, v201, v143
	ds_bpermute_b32 v145, v139, v141 offset:120
	s_waitcnt lgkmcnt(2)
	v_fmac_f32_e32 v130, v143, v8
	v_add_f32_e32 v143, v9, v201
	ds_bpermute_b32 v8, v139, v141 offset:124
	ds_bpermute_b32 v9, v139, v142 offset:124
	s_waitcnt lgkmcnt(3)
	v_sub_f32_e32 v144, v200, v144
	v_mul_f32_e32 v141, v203, v144
	s_waitcnt lgkmcnt(2)
	v_fmac_f32_e32 v130, v141, v145
	v_add_f32_e32 v141, v143, v203
	s_mov_b64 s[10:11], 0
.LBB97_73:                              ;   in Loop: Header=BB97_3 Depth=1
	s_and_b64 vcc, exec, s[10:11]
	s_cbranch_vccz .LBB97_143
; %bb.74:                               ;   in Loop: Header=BB97_3 Depth=1
	s_load_dword s10, s[26:27], 0x0
	v_mov_b32_e32 v130, 0
	s_waitcnt lgkmcnt(0)
	v_mov_b32_e32 v8, 0
	s_cmp_lt_u32 s6, s10
	s_cselect_b32 s10, 12, 18
	s_add_u32 s10, s26, s10
	s_addc_u32 s11, s27, 0
	global_load_ushort v9, v3, s[10:11]
	s_waitcnt vmcnt(0)
	v_mad_u32_u24 v9, v1, v9, v0
	v_and_b32_e32 v141, 63, v9
	v_cmp_gt_u32_e32 vcc, 32, v141
	v_mov_b32_e32 v9, 0
	s_and_saveexec_b64 s[10:11], vcc
	s_cbranch_execz .LBB97_78
; %bb.75:                               ;   in Loop: Header=BB97_3 Depth=1
	v_add_co_u32_e32 v6, vcc, v6, v141
	v_addc_co_u32_e32 v7, vcc, 0, v7, vcc
	v_cmp_gt_i64_e32 vcc, s[12:13], v[6:7]
	v_mov_b32_e32 v9, 0
	v_mov_b32_e32 v8, 0
	s_and_saveexec_b64 s[36:37], vcc
	s_cbranch_execz .LBB97_77
; %bb.76:                               ;   in Loop: Header=BB97_3 Depth=1
	v_lshlrev_b64 v[6:7], 2, v[6:7]
	v_mov_b32_e32 v8, s23
	v_add_co_u32_e32 v141, vcc, s22, v6
	v_addc_co_u32_e32 v142, vcc, v8, v7, vcc
	v_mov_b32_e32 v8, s21
	v_add_co_u32_e32 v6, vcc, s20, v6
	v_addc_co_u32_e32 v7, vcc, v8, v7, vcc
	global_load_dword v9, v[6:7], off
	global_load_dword v8, v[141:142], off
.LBB97_77:                              ;   in Loop: Header=BB97_3 Depth=1
	s_or_b64 exec, exec, s[36:37]
.LBB97_78:                              ;   in Loop: Header=BB97_3 Depth=1
	s_or_b64 exec, exec, s[10:11]
	v_mov_b32_e32 v6, 0
	v_mov_b32_e32 v7, 0
	s_and_saveexec_b64 s[10:11], s[2:3]
	s_cbranch_execz .LBB97_80
; %bb.79:                               ;   in Loop: Header=BB97_3 Depth=1
	v_add_co_u32_e32 v6, vcc, v2, v4
	v_addc_co_u32_e32 v7, vcc, v10, v5, vcc
	v_add_co_u32_e32 v141, vcc, v11, v4
	v_addc_co_u32_e32 v142, vcc, v12, v5, vcc
	global_load_ushort v141, v[141:142], off
	s_nop 0
	global_load_ushort v7, v[6:7], off
	s_waitcnt vmcnt(1)
	v_lshlrev_b32_e32 v6, 16, v141
	s_waitcnt vmcnt(0)
	v_lshlrev_b32_e32 v7, 16, v7
.LBB97_80:                              ;   in Loop: Header=BB97_3 Depth=1
	s_or_b64 exec, exec, s[10:11]
	v_mov_b32_e32 v141, 0
	s_and_saveexec_b64 s[10:11], s[2:3]
	s_cbranch_execz .LBB97_82
; %bb.81:                               ;   in Loop: Header=BB97_3 Depth=1
	v_add_co_u32_e32 v141, vcc, v135, v4
	v_addc_co_u32_e32 v142, vcc, v136, v5, vcc
	v_add_co_u32_e32 v143, vcc, v137, v4
	v_addc_co_u32_e32 v144, vcc, v138, v5, vcc
	global_load_ushort v130, v[143:144], off
	s_nop 0
	global_load_ushort v141, v[141:142], off
	s_waitcnt vmcnt(1)
	v_lshlrev_b32_e32 v130, 16, v130
	s_waitcnt vmcnt(0)
	v_lshlrev_b32_e32 v141, 16, v141
.LBB97_82:                              ;   in Loop: Header=BB97_3 Depth=1
	s_or_b64 exec, exec, s[10:11]
	v_mov_b32_e32 v142, 0
	v_mov_b32_e32 v144, 0
	v_mov_b32_e32 v143, 0
	s_and_saveexec_b64 s[10:11], s[2:3]
	s_cbranch_execz .LBB97_84
; %bb.83:                               ;   in Loop: Header=BB97_3 Depth=1
	v_add_co_u32_e32 v143, vcc, v129, v4
	v_addc_co_u32_e32 v144, vcc, v131, v5, vcc
	v_add_co_u32_e32 v145, vcc, v132, v4
	v_addc_co_u32_e32 v146, vcc, v134, v5, vcc
	global_load_ushort v145, v[145:146], off
	s_nop 0
	global_load_ushort v143, v[143:144], off
	s_waitcnt vmcnt(1)
	v_lshlrev_b32_e32 v144, 16, v145
	s_waitcnt vmcnt(0)
	v_lshlrev_b32_e32 v143, 16, v143
.LBB97_84:                              ;   in Loop: Header=BB97_3 Depth=1
	s_or_b64 exec, exec, s[10:11]
	v_mov_b32_e32 v145, 0
	s_and_saveexec_b64 s[10:11], s[2:3]
	s_cbranch_execz .LBB97_86
; %bb.85:                               ;   in Loop: Header=BB97_3 Depth=1
	v_add_co_u32_e32 v145, vcc, v125, v4
	v_addc_co_u32_e32 v146, vcc, v126, v5, vcc
	v_add_co_u32_e32 v147, vcc, v127, v4
	v_addc_co_u32_e32 v148, vcc, v128, v5, vcc
	global_load_ushort v142, v[147:148], off
	s_nop 0
	global_load_ushort v145, v[145:146], off
	s_waitcnt vmcnt(1)
	v_lshlrev_b32_e32 v142, 16, v142
	s_waitcnt vmcnt(0)
	v_lshlrev_b32_e32 v145, 16, v145
.LBB97_86:                              ;   in Loop: Header=BB97_3 Depth=1
	s_or_b64 exec, exec, s[10:11]
	v_mov_b32_e32 v146, 0
	;; [unrolled: 36-line block ×5, first 2 shown]
	v_mov_b32_e32 v160, 0
	v_mov_b32_e32 v159, 0
	s_and_saveexec_b64 s[10:11], s[2:3]
	s_cbranch_execz .LBB97_100
; %bb.99:                               ;   in Loop: Header=BB97_3 Depth=1
	v_add_co_u32_e32 v159, vcc, v97, v4
	v_addc_co_u32_e32 v160, vcc, v98, v5, vcc
	v_add_co_u32_e32 v161, vcc, v99, v4
	v_addc_co_u32_e32 v162, vcc, v100, v5, vcc
	global_load_ushort v161, v[161:162], off
	s_nop 0
	global_load_ushort v159, v[159:160], off
	s_waitcnt vmcnt(1)
	v_lshlrev_b32_e32 v160, 16, v161
	s_waitcnt vmcnt(0)
	v_lshlrev_b32_e32 v159, 16, v159
.LBB97_100:                             ;   in Loop: Header=BB97_3 Depth=1
	s_or_b64 exec, exec, s[10:11]
	v_mov_b32_e32 v161, 0
	s_and_saveexec_b64 s[10:11], s[2:3]
	s_cbranch_execz .LBB97_102
; %bb.101:                              ;   in Loop: Header=BB97_3 Depth=1
	v_add_co_u32_e32 v161, vcc, v93, v4
	v_addc_co_u32_e32 v162, vcc, v94, v5, vcc
	v_add_co_u32_e32 v163, vcc, v95, v4
	v_addc_co_u32_e32 v164, vcc, v96, v5, vcc
	global_load_ushort v158, v[163:164], off
	s_nop 0
	global_load_ushort v161, v[161:162], off
	s_waitcnt vmcnt(1)
	v_lshlrev_b32_e32 v158, 16, v158
	s_waitcnt vmcnt(0)
	v_lshlrev_b32_e32 v161, 16, v161
.LBB97_102:                             ;   in Loop: Header=BB97_3 Depth=1
	s_or_b64 exec, exec, s[10:11]
	v_mov_b32_e32 v162, 0
	v_mov_b32_e32 v164, 0
	;; [unrolled: 1-line block ×3, first 2 shown]
	s_and_saveexec_b64 s[10:11], s[2:3]
	s_cbranch_execz .LBB97_104
; %bb.103:                              ;   in Loop: Header=BB97_3 Depth=1
	v_add_co_u32_e32 v163, vcc, v89, v4
	v_addc_co_u32_e32 v164, vcc, v90, v5, vcc
	v_add_co_u32_e32 v165, vcc, v91, v4
	v_addc_co_u32_e32 v166, vcc, v92, v5, vcc
	global_load_ushort v165, v[165:166], off
	s_nop 0
	global_load_ushort v163, v[163:164], off
	s_waitcnt vmcnt(1)
	v_lshlrev_b32_e32 v164, 16, v165
	s_waitcnt vmcnt(0)
	v_lshlrev_b32_e32 v163, 16, v163
.LBB97_104:                             ;   in Loop: Header=BB97_3 Depth=1
	s_or_b64 exec, exec, s[10:11]
	v_mov_b32_e32 v166, 0
	s_and_saveexec_b64 s[10:11], s[2:3]
	s_cbranch_execz .LBB97_106
; %bb.105:                              ;   in Loop: Header=BB97_3 Depth=1
	v_add_co_u32_e32 v165, vcc, v85, v4
	v_addc_co_u32_e32 v166, vcc, v86, v5, vcc
	v_add_co_u32_e32 v167, vcc, v87, v4
	v_addc_co_u32_e32 v168, vcc, v88, v5, vcc
	global_load_ushort v162, v[167:168], off
	s_nop 0
	global_load_ushort v165, v[165:166], off
	s_waitcnt vmcnt(1)
	v_lshlrev_b32_e32 v162, 16, v162
	s_waitcnt vmcnt(0)
	v_lshlrev_b32_e32 v166, 16, v165
.LBB97_106:                             ;   in Loop: Header=BB97_3 Depth=1
	s_or_b64 exec, exec, s[10:11]
	v_mov_b32_e32 v167, 0
	v_mov_b32_e32 v170, 0
	v_mov_b32_e32 v168, 0
	s_and_saveexec_b64 s[10:11], s[2:3]
	s_cbranch_execz .LBB97_108
; %bb.107:                              ;   in Loop: Header=BB97_3 Depth=1
	v_add_co_u32_e32 v168, vcc, v81, v4
	v_addc_co_u32_e32 v169, vcc, v82, v5, vcc
	v_add_co_u32_e32 v170, vcc, v83, v4
	v_addc_co_u32_e32 v171, vcc, v84, v5, vcc
	global_load_ushort v165, v[170:171], off
	s_nop 0
	global_load_ushort v168, v[168:169], off
	s_waitcnt vmcnt(1)
	v_lshlrev_b32_e32 v170, 16, v165
	s_waitcnt vmcnt(0)
	v_lshlrev_b32_e32 v168, 16, v168
.LBB97_108:                             ;   in Loop: Header=BB97_3 Depth=1
	s_or_b64 exec, exec, s[10:11]
	v_mov_b32_e32 v171, 0
	s_and_saveexec_b64 s[10:11], s[2:3]
	s_cbranch_execz .LBB97_110
; %bb.109:                              ;   in Loop: Header=BB97_3 Depth=1
	v_add_co_u32_e32 v171, vcc, v77, v4
	v_addc_co_u32_e32 v172, vcc, v78, v5, vcc
	v_add_co_u32_e32 v173, vcc, v79, v4
	v_addc_co_u32_e32 v174, vcc, v80, v5, vcc
	global_load_ushort v165, v[173:174], off
	global_load_ushort v169, v[171:172], off
	s_waitcnt vmcnt(1)
	v_lshlrev_b32_e32 v167, 16, v165
	s_waitcnt vmcnt(0)
	v_lshlrev_b32_e32 v171, 16, v169
.LBB97_110:                             ;   in Loop: Header=BB97_3 Depth=1
	s_or_b64 exec, exec, s[10:11]
	v_mov_b32_e32 v172, 0
	v_mov_b32_e32 v174, 0
	v_mov_b32_e32 v173, 0
	s_and_saveexec_b64 s[10:11], s[2:3]
	s_cbranch_execz .LBB97_112
; %bb.111:                              ;   in Loop: Header=BB97_3 Depth=1
	v_add_co_u32_e32 v173, vcc, v73, v4
	v_addc_co_u32_e32 v174, vcc, v74, v5, vcc
	v_add_co_u32_e32 v175, vcc, v75, v4
	v_addc_co_u32_e32 v176, vcc, v76, v5, vcc
	global_load_ushort v165, v[175:176], off
	global_load_ushort v169, v[173:174], off
	s_waitcnt vmcnt(1)
	v_lshlrev_b32_e32 v174, 16, v165
	s_waitcnt vmcnt(0)
	v_lshlrev_b32_e32 v173, 16, v169
.LBB97_112:                             ;   in Loop: Header=BB97_3 Depth=1
	s_or_b64 exec, exec, s[10:11]
	v_mov_b32_e32 v175, 0
	s_and_saveexec_b64 s[10:11], s[2:3]
	s_cbranch_execz .LBB97_114
; %bb.113:                              ;   in Loop: Header=BB97_3 Depth=1
	v_add_co_u32_e32 v175, vcc, v69, v4
	v_addc_co_u32_e32 v176, vcc, v70, v5, vcc
	v_add_co_u32_e32 v177, vcc, v71, v4
	v_addc_co_u32_e32 v178, vcc, v72, v5, vcc
	global_load_ushort v165, v[177:178], off
	global_load_ushort v169, v[175:176], off
	s_waitcnt vmcnt(1)
	v_lshlrev_b32_e32 v172, 16, v165
	s_waitcnt vmcnt(0)
	v_lshlrev_b32_e32 v175, 16, v169
.LBB97_114:                             ;   in Loop: Header=BB97_3 Depth=1
	s_or_b64 exec, exec, s[10:11]
	v_mov_b32_e32 v176, 0
	v_mov_b32_e32 v178, 0
	v_mov_b32_e32 v177, 0
	s_and_saveexec_b64 s[10:11], s[2:3]
	s_cbranch_execz .LBB97_116
; %bb.115:                              ;   in Loop: Header=BB97_3 Depth=1
	v_add_co_u32_e32 v177, vcc, v65, v4
	v_addc_co_u32_e32 v178, vcc, v66, v5, vcc
	v_add_co_u32_e32 v179, vcc, v67, v4
	v_addc_co_u32_e32 v180, vcc, v68, v5, vcc
	global_load_ushort v165, v[179:180], off
	global_load_ushort v169, v[177:178], off
	s_waitcnt vmcnt(1)
	v_lshlrev_b32_e32 v178, 16, v165
	s_waitcnt vmcnt(0)
	v_lshlrev_b32_e32 v177, 16, v169
.LBB97_116:                             ;   in Loop: Header=BB97_3 Depth=1
	s_or_b64 exec, exec, s[10:11]
	v_mov_b32_e32 v179, 0
	s_and_saveexec_b64 s[10:11], s[2:3]
	s_cbranch_execz .LBB97_118
; %bb.117:                              ;   in Loop: Header=BB97_3 Depth=1
	v_add_co_u32_e32 v179, vcc, v61, v4
	v_addc_co_u32_e32 v180, vcc, v62, v5, vcc
	v_add_co_u32_e32 v181, vcc, v63, v4
	v_addc_co_u32_e32 v182, vcc, v64, v5, vcc
	global_load_ushort v165, v[181:182], off
	global_load_ushort v169, v[179:180], off
	s_waitcnt vmcnt(1)
	v_lshlrev_b32_e32 v176, 16, v165
	s_waitcnt vmcnt(0)
	v_lshlrev_b32_e32 v179, 16, v169
.LBB97_118:                             ;   in Loop: Header=BB97_3 Depth=1
	s_or_b64 exec, exec, s[10:11]
	v_mov_b32_e32 v180, 0
	v_mov_b32_e32 v182, 0
	v_mov_b32_e32 v181, 0
	s_and_saveexec_b64 s[10:11], s[2:3]
	s_cbranch_execz .LBB97_120
; %bb.119:                              ;   in Loop: Header=BB97_3 Depth=1
	v_add_co_u32_e32 v181, vcc, v57, v4
	v_addc_co_u32_e32 v182, vcc, v58, v5, vcc
	v_add_co_u32_e32 v183, vcc, v59, v4
	v_addc_co_u32_e32 v184, vcc, v60, v5, vcc
	global_load_ushort v165, v[183:184], off
	global_load_ushort v169, v[181:182], off
	s_waitcnt vmcnt(1)
	v_lshlrev_b32_e32 v182, 16, v165
	s_waitcnt vmcnt(0)
	v_lshlrev_b32_e32 v181, 16, v169
.LBB97_120:                             ;   in Loop: Header=BB97_3 Depth=1
	s_or_b64 exec, exec, s[10:11]
	v_mov_b32_e32 v183, 0
	s_and_saveexec_b64 s[10:11], s[2:3]
	s_cbranch_execz .LBB97_122
; %bb.121:                              ;   in Loop: Header=BB97_3 Depth=1
	v_add_co_u32_e32 v183, vcc, v53, v4
	v_addc_co_u32_e32 v184, vcc, v54, v5, vcc
	v_add_co_u32_e32 v185, vcc, v55, v4
	v_addc_co_u32_e32 v186, vcc, v56, v5, vcc
	global_load_ushort v165, v[185:186], off
	global_load_ushort v169, v[183:184], off
	s_waitcnt vmcnt(1)
	v_lshlrev_b32_e32 v180, 16, v165
	s_waitcnt vmcnt(0)
	v_lshlrev_b32_e32 v183, 16, v169
.LBB97_122:                             ;   in Loop: Header=BB97_3 Depth=1
	s_or_b64 exec, exec, s[10:11]
	v_mov_b32_e32 v184, 0
	v_mov_b32_e32 v186, 0
	v_mov_b32_e32 v185, 0
	s_and_saveexec_b64 s[10:11], s[2:3]
	s_cbranch_execz .LBB97_124
; %bb.123:                              ;   in Loop: Header=BB97_3 Depth=1
	v_add_co_u32_e32 v185, vcc, v49, v4
	v_addc_co_u32_e32 v186, vcc, v50, v5, vcc
	v_add_co_u32_e32 v187, vcc, v51, v4
	v_addc_co_u32_e32 v188, vcc, v52, v5, vcc
	global_load_ushort v165, v[187:188], off
	global_load_ushort v169, v[185:186], off
	s_waitcnt vmcnt(1)
	v_lshlrev_b32_e32 v186, 16, v165
	s_waitcnt vmcnt(0)
	v_lshlrev_b32_e32 v185, 16, v169
.LBB97_124:                             ;   in Loop: Header=BB97_3 Depth=1
	s_or_b64 exec, exec, s[10:11]
	v_mov_b32_e32 v187, 0
	s_and_saveexec_b64 s[10:11], s[2:3]
	s_cbranch_execz .LBB97_126
; %bb.125:                              ;   in Loop: Header=BB97_3 Depth=1
	v_add_co_u32_e32 v187, vcc, v45, v4
	v_addc_co_u32_e32 v188, vcc, v46, v5, vcc
	v_add_co_u32_e32 v189, vcc, v47, v4
	v_addc_co_u32_e32 v190, vcc, v48, v5, vcc
	global_load_ushort v165, v[189:190], off
	global_load_ushort v169, v[187:188], off
	s_waitcnt vmcnt(1)
	v_lshlrev_b32_e32 v184, 16, v165
	s_waitcnt vmcnt(0)
	v_lshlrev_b32_e32 v187, 16, v169
.LBB97_126:                             ;   in Loop: Header=BB97_3 Depth=1
	s_or_b64 exec, exec, s[10:11]
	v_mov_b32_e32 v188, 0
	v_mov_b32_e32 v190, 0
	v_mov_b32_e32 v189, 0
	s_and_saveexec_b64 s[10:11], s[2:3]
	s_cbranch_execz .LBB97_128
; %bb.127:                              ;   in Loop: Header=BB97_3 Depth=1
	v_add_co_u32_e32 v189, vcc, v41, v4
	v_addc_co_u32_e32 v190, vcc, v42, v5, vcc
	v_add_co_u32_e32 v191, vcc, v43, v4
	v_addc_co_u32_e32 v192, vcc, v44, v5, vcc
	global_load_ushort v165, v[191:192], off
	global_load_ushort v169, v[189:190], off
	s_waitcnt vmcnt(1)
	v_lshlrev_b32_e32 v190, 16, v165
	s_waitcnt vmcnt(0)
	v_lshlrev_b32_e32 v189, 16, v169
.LBB97_128:                             ;   in Loop: Header=BB97_3 Depth=1
	s_or_b64 exec, exec, s[10:11]
	v_mov_b32_e32 v191, 0
	s_and_saveexec_b64 s[10:11], s[2:3]
	s_cbranch_execz .LBB97_130
; %bb.129:                              ;   in Loop: Header=BB97_3 Depth=1
	v_add_co_u32_e32 v191, vcc, v37, v4
	v_addc_co_u32_e32 v192, vcc, v38, v5, vcc
	v_add_co_u32_e32 v193, vcc, v39, v4
	v_addc_co_u32_e32 v194, vcc, v40, v5, vcc
	global_load_ushort v165, v[193:194], off
	global_load_ushort v169, v[191:192], off
	s_waitcnt vmcnt(1)
	v_lshlrev_b32_e32 v188, 16, v165
	s_waitcnt vmcnt(0)
	v_lshlrev_b32_e32 v191, 16, v169
.LBB97_130:                             ;   in Loop: Header=BB97_3 Depth=1
	s_or_b64 exec, exec, s[10:11]
	v_mov_b32_e32 v192, 0
	v_mov_b32_e32 v194, 0
	v_mov_b32_e32 v193, 0
	s_and_saveexec_b64 s[10:11], s[2:3]
	s_cbranch_execz .LBB97_132
; %bb.131:                              ;   in Loop: Header=BB97_3 Depth=1
	v_add_co_u32_e32 v193, vcc, v33, v4
	v_addc_co_u32_e32 v194, vcc, v34, v5, vcc
	v_add_co_u32_e32 v195, vcc, v35, v4
	v_addc_co_u32_e32 v196, vcc, v36, v5, vcc
	global_load_ushort v165, v[195:196], off
	global_load_ushort v169, v[193:194], off
	s_waitcnt vmcnt(1)
	v_lshlrev_b32_e32 v194, 16, v165
	s_waitcnt vmcnt(0)
	v_lshlrev_b32_e32 v193, 16, v169
.LBB97_132:                             ;   in Loop: Header=BB97_3 Depth=1
	s_or_b64 exec, exec, s[10:11]
	v_mov_b32_e32 v195, 0
	s_and_saveexec_b64 s[10:11], s[2:3]
	s_cbranch_execz .LBB97_134
; %bb.133:                              ;   in Loop: Header=BB97_3 Depth=1
	v_add_co_u32_e32 v195, vcc, v29, v4
	v_addc_co_u32_e32 v196, vcc, v30, v5, vcc
	v_add_co_u32_e32 v197, vcc, v31, v4
	v_addc_co_u32_e32 v198, vcc, v32, v5, vcc
	global_load_ushort v165, v[197:198], off
	global_load_ushort v169, v[195:196], off
	s_waitcnt vmcnt(1)
	v_lshlrev_b32_e32 v192, 16, v165
	s_waitcnt vmcnt(0)
	v_lshlrev_b32_e32 v195, 16, v169
.LBB97_134:                             ;   in Loop: Header=BB97_3 Depth=1
	s_or_b64 exec, exec, s[10:11]
	v_mov_b32_e32 v196, 0
	v_mov_b32_e32 v198, 0
	v_mov_b32_e32 v197, 0
	s_and_saveexec_b64 s[10:11], s[2:3]
	s_cbranch_execz .LBB97_136
; %bb.135:                              ;   in Loop: Header=BB97_3 Depth=1
	v_add_co_u32_e32 v197, vcc, v25, v4
	v_addc_co_u32_e32 v198, vcc, v26, v5, vcc
	v_add_co_u32_e32 v199, vcc, v27, v4
	v_addc_co_u32_e32 v200, vcc, v28, v5, vcc
	global_load_ushort v165, v[199:200], off
	global_load_ushort v169, v[197:198], off
	s_waitcnt vmcnt(1)
	v_lshlrev_b32_e32 v198, 16, v165
	s_waitcnt vmcnt(0)
	v_lshlrev_b32_e32 v197, 16, v169
.LBB97_136:                             ;   in Loop: Header=BB97_3 Depth=1
	s_or_b64 exec, exec, s[10:11]
	v_mov_b32_e32 v199, 0
	s_and_saveexec_b64 s[10:11], s[2:3]
	s_cbranch_execz .LBB97_138
; %bb.137:                              ;   in Loop: Header=BB97_3 Depth=1
	v_add_co_u32_e32 v199, vcc, v21, v4
	v_addc_co_u32_e32 v200, vcc, v22, v5, vcc
	v_add_co_u32_e32 v201, vcc, v23, v4
	v_addc_co_u32_e32 v202, vcc, v24, v5, vcc
	global_load_ushort v165, v[201:202], off
	global_load_ushort v169, v[199:200], off
	s_waitcnt vmcnt(1)
	v_lshlrev_b32_e32 v196, 16, v165
	s_waitcnt vmcnt(0)
	v_lshlrev_b32_e32 v199, 16, v169
.LBB97_138:                             ;   in Loop: Header=BB97_3 Depth=1
	s_or_b64 exec, exec, s[10:11]
	v_mov_b32_e32 v165, 0
	v_mov_b32_e32 v201, 0
	;; [unrolled: 1-line block ×3, first 2 shown]
	s_and_saveexec_b64 s[10:11], s[2:3]
	s_cbranch_execz .LBB97_140
; %bb.139:                              ;   in Loop: Header=BB97_3 Depth=1
	v_add_co_u32_e32 v200, vcc, v17, v4
	v_addc_co_u32_e32 v201, vcc, v18, v5, vcc
	v_add_co_u32_e32 v202, vcc, v19, v4
	v_addc_co_u32_e32 v203, vcc, v20, v5, vcc
	global_load_ushort v169, v[202:203], off
	s_nop 0
	global_load_ushort v200, v[200:201], off
	s_waitcnt vmcnt(1)
	v_lshlrev_b32_e32 v201, 16, v169
	s_waitcnt vmcnt(0)
	v_lshlrev_b32_e32 v200, 16, v200
.LBB97_140:                             ;   in Loop: Header=BB97_3 Depth=1
	s_or_b64 exec, exec, s[10:11]
	v_mov_b32_e32 v169, 0
	s_and_saveexec_b64 s[10:11], s[2:3]
	s_cbranch_execz .LBB97_142
; %bb.141:                              ;   in Loop: Header=BB97_3 Depth=1
	v_add_co_u32_e32 v202, vcc, v13, v4
	v_addc_co_u32_e32 v203, vcc, v14, v5, vcc
	v_add_co_u32_e32 v204, vcc, v15, v4
	v_addc_co_u32_e32 v205, vcc, v16, v5, vcc
	global_load_ushort v165, v[204:205], off
	global_load_ushort v169, v[202:203], off
	s_waitcnt vmcnt(1)
	v_lshlrev_b32_e32 v165, 16, v165
	s_waitcnt vmcnt(0)
	v_lshlrev_b32_e32 v169, 16, v169
.LBB97_142:                             ;   in Loop: Header=BB97_3 Depth=1
	s_or_b64 exec, exec, s[10:11]
	s_waitcnt vmcnt(1)
	ds_bpermute_b32 v202, v139, v9
	s_waitcnt vmcnt(0)
	ds_bpermute_b32 v203, v139, v8
	ds_bpermute_b32 v204, v139, v9 offset:4
	ds_bpermute_b32 v205, v139, v8 offset:4
	v_add_f32_e32 v133, v133, v7
	s_waitcnt lgkmcnt(3)
	v_sub_f32_e32 v6, v6, v202
	v_mul_f32_e32 v6, v7, v6
	s_waitcnt lgkmcnt(2)
	v_fmac_f32_e32 v140, v6, v203
	s_waitcnt lgkmcnt(1)
	v_sub_f32_e32 v6, v130, v204
	ds_bpermute_b32 v7, v139, v9 offset:8
	v_mul_f32_e32 v6, v141, v6
	s_waitcnt lgkmcnt(1)
	v_fmac_f32_e32 v140, v6, v205
	ds_bpermute_b32 v6, v139, v8 offset:8
	v_add_f32_e32 v130, v133, v141
	s_waitcnt lgkmcnt(1)
	v_sub_f32_e32 v7, v144, v7
	ds_bpermute_b32 v133, v139, v9 offset:12
	v_mul_f32_e32 v7, v143, v7
	s_waitcnt lgkmcnt(1)
	v_fmac_f32_e32 v140, v7, v6
	ds_bpermute_b32 v6, v139, v8 offset:12
	v_add_f32_e32 v7, v130, v143
	;; [unrolled: 8-line block ×28, first 2 shown]
	s_waitcnt lgkmcnt(1)
	v_sub_f32_e32 v130, v196, v133
	ds_bpermute_b32 v133, v139, v9 offset:120
	v_mul_f32_e32 v130, v199, v130
	s_waitcnt lgkmcnt(1)
	v_fmac_f32_e32 v140, v130, v6
	v_add_f32_e32 v6, v7, v199
	ds_bpermute_b32 v7, v139, v8 offset:120
	ds_bpermute_b32 v8, v139, v8 offset:124
	;; [unrolled: 1-line block ×3, first 2 shown]
	s_waitcnt lgkmcnt(3)
	v_sub_f32_e32 v130, v201, v133
	v_mul_f32_e32 v130, v200, v130
	s_waitcnt lgkmcnt(2)
	v_fmac_f32_e32 v140, v130, v7
	v_add_f32_e32 v141, v6, v200
	v_mov_b32_e32 v130, v140
.LBB97_143:                             ;   in Loop: Header=BB97_3 Depth=1
	s_waitcnt lgkmcnt(0)
	v_sub_f32_e32 v6, v165, v9
	v_mul_f32_e32 v6, v169, v6
	v_fmac_f32_e32 v130, v6, v8
	v_mov_b32_e32 v6, s29
	v_add_co_u32_e32 v2, vcc, s28, v2
	v_addc_co_u32_e32 v10, vcc, v10, v6, vcc
	v_add_co_u32_e32 v11, vcc, s28, v11
	v_addc_co_u32_e32 v12, vcc, v12, v6, vcc
	;; [unrolled: 2-line block ×64, first 2 shown]
	s_add_u32 s34, s34, s9
	v_add_co_u32_e32 v210, vcc, s9, v210
	v_mov_b32_e32 v6, s12
	s_addc_u32 s35, s35, 0
	v_addc_co_u32_e32 v209, vcc, 0, v209, vcc
	v_mov_b32_e32 v7, s13
	v_cmp_lt_i64_e32 vcc, s[34:35], v[6:7]
	s_add_u32 s30, s30, s9
	v_add_f32_e32 v133, v141, v169
	s_addc_u32 s31, 0, s31
	s_cbranch_vccz .LBB97_146
; %bb.144:                              ;   in Loop: Header=BB97_3 Depth=1
	v_mov_b32_e32 v140, v130
	s_branch .LBB97_3
.LBB97_145:
                                        ; implicit-def: $vgpr130
                                        ; implicit-def: $vgpr133
	s_branch .LBB97_147
.LBB97_146:
	s_cbranch_execnz .LBB97_228
.LBB97_147:
	v_mov_b32_e32 v130, 0
	s_and_b64 vcc, exec, s[0:1]
	v_mov_b32_e32 v133, 0
	s_cbranch_vccnz .LBB97_228
; %bb.148:
	v_mov_b32_e32 v4, 0
	v_mov_b32_e32 v2, v4
	buffer_store_dword v0, off, s[40:43], 0 offset:300 ; 4-byte Folded Spill
	v_lshlrev_b32_e32 v135, 5, v1
	s_load_dword s0, s[4:5], 0x44
	buffer_store_dword v1, off, s[40:43], 0 offset:304 ; 4-byte Folded Spill
	s_nop 0
	buffer_store_dword v2, off, s[40:43], 0 offset:308 ; 4-byte Folded Spill
	v_add_u32_e32 v3, s7, v0
	s_add_u32 s2, s4, 64
	v_add_co_u32_e32 v0, vcc, s24, v135
	s_addc_u32 s3, s5, 0
	s_waitcnt lgkmcnt(0)
	s_lshl_b32 s7, s0, 5
	v_addc_co_u32_e64 v166, s[0:1], 0, 0, vcc
	v_mov_b32_e32 v136, v4
	v_lshlrev_b64 v[4:5], 1, v[3:4]
	v_mul_lo_u32 v2, s15, v0
	v_mul_lo_u32 v3, s14, v166
	v_mad_u64_u32 v[130:131], s[0:1], s14, v0, 0
	s_mul_i32 s0, s15, s7
	s_mul_hi_u32 s1, s14, s7
	v_add3_u32 v131, v131, v3, v2
	v_lshlrev_b64 v[2:3], 1, v[130:131]
	s_add_i32 s1, s1, s0
	v_add_co_u32_e32 v6, vcc, s16, v2
	buffer_store_dword v6, off, s[40:43], 0 ; 4-byte Folded Spill
	v_mov_b32_e32 v6, s17
	v_addc_co_u32_e32 v6, vcc, v6, v3, vcc
	v_add_co_u32_e32 v2, vcc, s18, v2
	buffer_store_dword v2, off, s[40:43], 0 offset:8 ; 4-byte Folded Spill
	v_mov_b32_e32 v2, s19
	v_addc_co_u32_e32 v2, vcc, v2, v3, vcc
	buffer_store_dword v2, off, s[40:43], 0 offset:12 ; 4-byte Folded Spill
	buffer_store_dword v6, off, s[40:43], 0 offset:4 ; 4-byte Folded Spill
	s_mul_i32 s0, s14, s7
	s_lshl_b64 s[10:11], s[0:1], 1
	s_lshl_b64 s[0:1], s[24:25], 1
	s_mov_b64 s[26:27], 31
	v_mov_b32_e32 v208, 0
	v_mov_b32_e32 v2, v1
	buffer_store_dword v2, off, s[40:43], 0 offset:292 ; 4-byte Folded Spill
	s_nop 0
	buffer_store_dword v3, off, s[40:43], 0 offset:296 ; 4-byte Folded Spill
	v_lshlrev_b32_e32 v2, 6, v1
	v_add_co_u32_e32 v66, vcc, s0, v2
	v_mov_b32_e32 v2, s1
	v_addc_co_u32_e32 v67, vcc, 0, v2, vcc
	v_add_co_u32_e32 v68, vcc, 2, v66
	v_addc_co_u32_e32 v8, vcc, 0, v67, vcc
	v_add_co_u32_e32 v72, vcc, 4, v66
	;; [unrolled: 2-line block ×30, first 2 shown]
	v_mov_b32_e32 v2, s16
	v_addc_co_u32_e32 v69, vcc, 0, v67, vcc
	v_mov_b32_e32 v3, s17
	v_add_co_u32_e32 v163, vcc, 62, v66
	v_mad_u64_u32 v[6:7], s[0:1], s14, v68, v[2:3]
	v_mul_lo_u32 v70, s14, v8
	v_mad_u64_u32 v[8:9], s[0:1], s14, v72, v[2:3]
	v_mul_lo_u32 v73, s14, v10
	;; [unrolled: 2-line block ×30, first 2 shown]
	v_addc_co_u32_e32 v69, vcc, 0, v67, vcc
	v_mad_u64_u32 v[66:67], s[0:1], s14, v163, v[2:3]
	v_mov_b32_e32 v2, s18
	v_mov_b32_e32 v3, s19
	v_mul_lo_u32 v71, s15, v68
	v_mul_lo_u32 v164, s14, v69
	v_mad_u64_u32 v[68:69], s[0:1], s14, v68, v[2:3]
	v_add3_u32 v7, v71, v7, v70
	v_mul_lo_u32 v74, s15, v72
	v_add3_u32 v69, v71, v69, v70
	v_mad_u64_u32 v[70:71], s[0:1], s14, v72, v[2:3]
	v_add3_u32 v9, v74, v9, v73
	v_mul_lo_u32 v77, s15, v75
	v_add3_u32 v71, v74, v71, v73
	v_mad_u64_u32 v[72:73], s[0:1], s14, v75, v[2:3]
	v_mul_lo_u32 v80, s15, v78
	v_mad_u64_u32 v[74:75], s[0:1], s14, v78, v[2:3]
	v_add3_u32 v11, v77, v11, v76
	v_mul_lo_u32 v83, s15, v81
	v_add3_u32 v73, v77, v73, v76
	v_mad_u64_u32 v[76:77], s[0:1], s14, v81, v[2:3]
	v_add3_u32 v13, v80, v13, v79
	v_mul_lo_u32 v86, s15, v84
	v_add3_u32 v75, v80, v75, v79
	v_mad_u64_u32 v[78:79], s[0:1], s14, v84, v[2:3]
	v_add3_u32 v15, v83, v15, v82
	v_mul_lo_u32 v89, s15, v87
	v_mul_lo_u32 v92, s15, v90
	v_add3_u32 v77, v83, v77, v82
	v_mad_u64_u32 v[80:81], s[0:1], s14, v87, v[2:3]
	v_mad_u64_u32 v[82:83], s[0:1], s14, v90, v[2:3]
	v_add3_u32 v17, v86, v17, v85
	v_mul_lo_u32 v95, s15, v93
	v_add3_u32 v79, v86, v79, v85
	v_mad_u64_u32 v[84:85], s[0:1], s14, v93, v[2:3]
	v_add3_u32 v19, v89, v19, v88
	v_add3_u32 v21, v92, v21, v91
	v_mul_lo_u32 v98, s15, v96
	v_mul_lo_u32 v101, s15, v99
	;; [unrolled: 1-line block ×4, first 2 shown]
	v_add3_u32 v81, v89, v81, v88
	v_add3_u32 v83, v92, v83, v91
	v_mad_u64_u32 v[86:87], s[0:1], s14, v96, v[2:3]
	v_mad_u64_u32 v[88:89], s[0:1], s14, v99, v[2:3]
	v_mad_u64_u32 v[90:91], s[0:1], s14, v102, v[2:3]
	v_mad_u64_u32 v[92:93], s[0:1], s14, v105, v[2:3]
	v_add3_u32 v23, v95, v23, v94
	v_mul_lo_u32 v110, s15, v108
	v_add3_u32 v85, v95, v85, v94
	v_mad_u64_u32 v[94:95], s[0:1], s14, v108, v[2:3]
	v_add3_u32 v25, v98, v25, v97
	v_add3_u32 v27, v101, v27, v100
	v_add3_u32 v29, v104, v29, v103
	v_add3_u32 v31, v107, v31, v106
	v_mul_lo_u32 v113, s15, v111
	v_mul_lo_u32 v116, s15, v114
	;; [unrolled: 1-line block ×6, first 2 shown]
	v_add3_u32 v87, v98, v87, v97
	v_add3_u32 v89, v101, v89, v100
	;; [unrolled: 1-line block ×4, first 2 shown]
	v_mad_u64_u32 v[96:97], s[0:1], s14, v111, v[2:3]
	v_mad_u64_u32 v[98:99], s[0:1], s14, v114, v[2:3]
	v_mad_u64_u32 v[100:101], s[0:1], s14, v117, v[2:3]
	v_mad_u64_u32 v[102:103], s[0:1], s14, v120, v[2:3]
	v_mad_u64_u32 v[104:105], s[0:1], s14, v123, v[2:3]
	v_mad_u64_u32 v[106:107], s[0:1], s14, v126, v[2:3]
	v_add3_u32 v33, v110, v33, v109
	v_mul_lo_u32 v133, s15, v129
	v_add3_u32 v95, v110, v95, v109
	v_mad_u64_u32 v[108:109], s[0:1], s14, v129, v[2:3]
	v_add3_u32 v35, v113, v35, v112
	v_add3_u32 v37, v116, v37, v115
	;; [unrolled: 1-line block ×12, first 2 shown]
	v_mad_u64_u32 v[110:111], s[0:1], s14, v134, v[2:3]
	v_mad_u64_u32 v[112:113], s[0:1], s14, v139, v[2:3]
	;; [unrolled: 1-line block ×10, first 2 shown]
	v_add_co_u32_e32 v2, vcc, 31, v0
	v_addc_co_u32_e32 v3, vcc, 0, v166, vcc
	v_add3_u32 v47, v133, v47, v132
	v_add3_u32 v109, v133, v109, v132
	v_mul_lo_u32 v132, s15, v2
	v_mul_lo_u32 v133, s14, v3
	v_mad_u64_u32 v[2:3], s[0:1], s14, v2, 0
	v_mul_lo_u32 v141, s15, v139
	v_mul_lo_u32 v144, s15, v142
	v_add3_u32 v3, v3, v133, v132
	v_lshlrev_b64 v[2:3], 1, v[2:3]
	v_mov_b32_e32 v132, s17
	v_add_co_u32_e32 v1, vcc, s16, v2
	buffer_store_dword v1, off, s[40:43], 0 offset:16 ; 4-byte Folded Spill
	v_addc_co_u32_e32 v1, vcc, v132, v3, vcc
	buffer_store_dword v1, off, s[40:43], 0 offset:20 ; 4-byte Folded Spill
	v_add_co_u32_e32 v1, vcc, s18, v2
	v_mov_b32_e32 v2, s19
	buffer_store_dword v1, off, s[40:43], 0 offset:24 ; 4-byte Folded Spill
	v_addc_co_u32_e32 v1, vcc, v2, v3, vcc
	v_add_co_u32_e32 v2, vcc, 30, v0
	v_addc_co_u32_e32 v3, vcc, 0, v166, vcc
	v_mul_lo_u32 v132, s15, v2
	v_mul_lo_u32 v133, s14, v3
	v_mad_u64_u32 v[2:3], s[0:1], s14, v2, 0
	buffer_store_dword v1, off, s[40:43], 0 offset:28 ; 4-byte Folded Spill
	v_add3_u32 v51, v141, v51, v140
	v_add3_u32 v3, v3, v133, v132
	v_lshlrev_b64 v[2:3], 1, v[2:3]
	v_mov_b32_e32 v132, s17
	v_add_co_u32_e32 v1, vcc, s16, v2
	buffer_store_dword v1, off, s[40:43], 0 offset:32 ; 4-byte Folded Spill
	v_addc_co_u32_e32 v1, vcc, v132, v3, vcc
	buffer_store_dword v1, off, s[40:43], 0 offset:36 ; 4-byte Folded Spill
	v_add_co_u32_e32 v1, vcc, s18, v2
	v_mov_b32_e32 v2, s19
	buffer_store_dword v1, off, s[40:43], 0 offset:40 ; 4-byte Folded Spill
	v_addc_co_u32_e32 v1, vcc, v2, v3, vcc
	v_add_co_u32_e32 v2, vcc, 29, v0
	v_addc_co_u32_e32 v3, vcc, 0, v166, vcc
	v_mul_lo_u32 v132, s15, v2
	v_mul_lo_u32 v133, s14, v3
	v_mad_u64_u32 v[2:3], s[0:1], s14, v2, 0
	buffer_store_dword v1, off, s[40:43], 0 offset:44 ; 4-byte Folded Spill
	v_add3_u32 v113, v141, v113, v140
	v_add3_u32 v3, v3, v133, v132
	v_lshlrev_b64 v[2:3], 1, v[2:3]
	v_mov_b32_e32 v132, s17
	v_add_co_u32_e32 v1, vcc, s16, v2
	buffer_store_dword v1, off, s[40:43], 0 offset:48 ; 4-byte Folded Spill
	v_addc_co_u32_e32 v1, vcc, v132, v3, vcc
	buffer_store_dword v1, off, s[40:43], 0 offset:52 ; 4-byte Folded Spill
	v_add_co_u32_e32 v1, vcc, s18, v2
	v_mov_b32_e32 v2, s19
	buffer_store_dword v1, off, s[40:43], 0 offset:56 ; 4-byte Folded Spill
	v_addc_co_u32_e32 v1, vcc, v2, v3, vcc
	v_add_co_u32_e32 v2, vcc, 28, v0
	v_addc_co_u32_e32 v3, vcc, 0, v166, vcc
	v_mul_lo_u32 v132, s15, v2
	v_mul_lo_u32 v133, s14, v3
	v_mad_u64_u32 v[2:3], s[0:1], s14, v2, 0
	buffer_store_dword v1, off, s[40:43], 0 offset:60 ; 4-byte Folded Spill
	v_mul_lo_u32 v138, s15, v134
	v_add3_u32 v3, v3, v133, v132
	v_lshlrev_b64 v[2:3], 1, v[2:3]
	v_mov_b32_e32 v132, s17
	v_add_co_u32_e32 v1, vcc, s16, v2
	buffer_store_dword v1, off, s[40:43], 0 offset:64 ; 4-byte Folded Spill
	v_addc_co_u32_e32 v1, vcc, v132, v3, vcc
	buffer_store_dword v1, off, s[40:43], 0 offset:68 ; 4-byte Folded Spill
	v_add_co_u32_e32 v1, vcc, s18, v2
	v_mov_b32_e32 v2, s19
	buffer_store_dword v1, off, s[40:43], 0 offset:72 ; 4-byte Folded Spill
	v_addc_co_u32_e32 v1, vcc, v2, v3, vcc
	v_add_co_u32_e32 v2, vcc, 27, v0
	v_addc_co_u32_e32 v3, vcc, 0, v166, vcc
	v_mul_lo_u32 v132, s15, v2
	v_mul_lo_u32 v133, s14, v3
	v_mad_u64_u32 v[2:3], s[0:1], s14, v2, 0
	buffer_store_dword v1, off, s[40:43], 0 offset:76 ; 4-byte Folded Spill
	v_add3_u32 v53, v144, v53, v143
	v_add3_u32 v3, v3, v133, v132
	v_lshlrev_b64 v[2:3], 1, v[2:3]
	v_mov_b32_e32 v132, s17
	v_add_co_u32_e32 v1, vcc, s16, v2
	buffer_store_dword v1, off, s[40:43], 0 offset:80 ; 4-byte Folded Spill
	v_addc_co_u32_e32 v1, vcc, v132, v3, vcc
	buffer_store_dword v1, off, s[40:43], 0 offset:84 ; 4-byte Folded Spill
	v_add_co_u32_e32 v1, vcc, s18, v2
	v_mov_b32_e32 v2, s19
	buffer_store_dword v1, off, s[40:43], 0 offset:88 ; 4-byte Folded Spill
	v_addc_co_u32_e32 v1, vcc, v2, v3, vcc
	v_add_co_u32_e32 v2, vcc, 26, v0
	v_addc_co_u32_e32 v3, vcc, 0, v166, vcc
	v_mul_lo_u32 v132, s15, v2
	v_mul_lo_u32 v133, s14, v3
	v_mad_u64_u32 v[2:3], s[0:1], s14, v2, 0
	buffer_store_dword v1, off, s[40:43], 0 offset:92 ; 4-byte Folded Spill
	v_mul_lo_u32 v147, s15, v145
	v_add3_u32 v3, v3, v133, v132
	v_lshlrev_b64 v[2:3], 1, v[2:3]
	v_mov_b32_e32 v132, s17
	v_add_co_u32_e32 v1, vcc, s16, v2
	buffer_store_dword v1, off, s[40:43], 0 offset:96 ; 4-byte Folded Spill
	v_addc_co_u32_e32 v1, vcc, v132, v3, vcc
	buffer_store_dword v1, off, s[40:43], 0 offset:100 ; 4-byte Folded Spill
	v_add_co_u32_e32 v1, vcc, s18, v2
	v_mov_b32_e32 v2, s19
	buffer_store_dword v1, off, s[40:43], 0 offset:104 ; 4-byte Folded Spill
	v_addc_co_u32_e32 v1, vcc, v2, v3, vcc
	v_add_co_u32_e32 v2, vcc, 25, v0
	v_addc_co_u32_e32 v3, vcc, 0, v166, vcc
	v_mul_lo_u32 v132, s15, v2
	v_mul_lo_u32 v133, s14, v3
	v_mad_u64_u32 v[2:3], s[0:1], s14, v2, 0
	buffer_store_dword v1, off, s[40:43], 0 offset:108 ; 4-byte Folded Spill
	v_mul_lo_u32 v150, s15, v148
	;; [unrolled: 18-line block ×7, first 2 shown]
	v_add3_u32 v3, v3, v133, v132
	v_lshlrev_b64 v[2:3], 1, v[2:3]
	v_mov_b32_e32 v132, s17
	v_add_co_u32_e32 v1, vcc, s16, v2
	buffer_store_dword v1, off, s[40:43], 0 offset:192 ; 4-byte Folded Spill
	v_addc_co_u32_e32 v1, vcc, v132, v3, vcc
	buffer_store_dword v1, off, s[40:43], 0 offset:196 ; 4-byte Folded Spill
	v_add_co_u32_e32 v1, vcc, s18, v2
	v_mov_b32_e32 v2, s19
	buffer_store_dword v1, off, s[40:43], 0 offset:200 ; 4-byte Folded Spill
	v_addc_co_u32_e32 v1, vcc, v2, v3, vcc
	v_add_co_u32_e32 v2, vcc, 19, v0
	v_addc_co_u32_e32 v3, vcc, 0, v166, vcc
	v_mul_lo_u32 v132, s15, v2
	v_mul_lo_u32 v133, s14, v3
	v_mad_u64_u32 v[2:3], s[0:1], s14, v2, 0
	buffer_store_dword v1, off, s[40:43], 0 offset:204 ; 4-byte Folded Spill
	v_add3_u32 v115, v144, v115, v143
	v_add3_u32 v3, v3, v133, v132
	v_lshlrev_b64 v[2:3], 1, v[2:3]
	v_mov_b32_e32 v132, s17
	v_add_co_u32_e32 v1, vcc, s16, v2
	buffer_store_dword v1, off, s[40:43], 0 offset:208 ; 4-byte Folded Spill
	v_addc_co_u32_e32 v1, vcc, v132, v3, vcc
	buffer_store_dword v1, off, s[40:43], 0 offset:212 ; 4-byte Folded Spill
	v_add_co_u32_e32 v1, vcc, s18, v2
	v_mov_b32_e32 v2, s19
	buffer_store_dword v1, off, s[40:43], 0 offset:216 ; 4-byte Folded Spill
	v_addc_co_u32_e32 v1, vcc, v2, v3, vcc
	v_add_co_u32_e32 v2, vcc, 18, v0
	v_addc_co_u32_e32 v3, vcc, 0, v166, vcc
	v_mul_lo_u32 v132, s15, v2
	v_mul_lo_u32 v133, s14, v3
	v_mad_u64_u32 v[2:3], s[0:1], s14, v2, 0
	buffer_store_dword v1, off, s[40:43], 0 offset:220 ; 4-byte Folded Spill
	v_add3_u32 v49, v138, v49, v137
	;; [unrolled: 18-line block ×6, first 2 shown]
	v_add3_u32 v3, v3, v133, v132
	v_lshlrev_b64 v[2:3], 1, v[2:3]
	v_mov_b32_e32 v132, s17
	v_add_co_u32_e32 v1, vcc, s16, v2
	v_addc_co_u32_e32 v209, vcc, v132, v3, vcc
	v_add_co_u32_e32 v210, vcc, s18, v2
	v_mov_b32_e32 v2, s19
	v_addc_co_u32_e32 v211, vcc, v2, v3, vcc
	v_add_co_u32_e32 v2, vcc, 13, v0
	v_addc_co_u32_e32 v3, vcc, 0, v166, vcc
	v_mul_lo_u32 v132, s15, v2
	v_mul_lo_u32 v133, s14, v3
	v_mad_u64_u32 v[2:3], s[0:1], s14, v2, 0
	buffer_store_dword v1, off, s[40:43], 0 offset:288 ; 4-byte Folded Spill
	v_add3_u32 v63, v159, v63, v158
	v_add3_u32 v3, v3, v133, v132
	v_lshlrev_b64 v[2:3], 1, v[2:3]
	v_mov_b32_e32 v132, s17
	v_add_co_u32_e32 v212, vcc, s16, v2
	v_addc_co_u32_e32 v213, vcc, v132, v3, vcc
	v_add_co_u32_e32 v214, vcc, s18, v2
	v_mov_b32_e32 v2, s19
	v_addc_co_u32_e32 v215, vcc, v2, v3, vcc
	v_add_co_u32_e32 v2, vcc, 12, v0
	v_addc_co_u32_e32 v3, vcc, 0, v166, vcc
	v_mul_lo_u32 v132, s15, v2
	v_mul_lo_u32 v133, s14, v3
	v_mad_u64_u32 v[2:3], s[0:1], s14, v2, 0
	v_add3_u32 v65, v162, v65, v161
	v_add3_u32 v67, v165, v67, v164
	v_add3_u32 v3, v3, v133, v132
	v_lshlrev_b64 v[2:3], 1, v[2:3]
	v_mov_b32_e32 v132, s17
	v_add_co_u32_e32 v216, vcc, s16, v2
	v_addc_co_u32_e32 v217, vcc, v132, v3, vcc
	v_add_co_u32_e32 v218, vcc, s18, v2
	v_mov_b32_e32 v2, s19
	v_addc_co_u32_e32 v219, vcc, v2, v3, vcc
	v_add_co_u32_e32 v2, vcc, 11, v0
	v_addc_co_u32_e32 v3, vcc, 0, v166, vcc
	v_mul_lo_u32 v132, s15, v2
	v_mul_lo_u32 v133, s14, v3
	v_mad_u64_u32 v[2:3], s[0:1], s14, v2, 0
	v_add3_u32 v111, v138, v111, v137
	v_add3_u32 v117, v147, v117, v146
	v_add3_u32 v3, v3, v133, v132
	v_lshlrev_b64 v[2:3], 1, v[2:3]
	v_mov_b32_e32 v132, s17
	v_add_co_u32_e32 v220, vcc, s16, v2
	v_addc_co_u32_e32 v221, vcc, v132, v3, vcc
	v_add_co_u32_e32 v222, vcc, s18, v2
	v_mov_b32_e32 v2, s19
	v_addc_co_u32_e32 v223, vcc, v2, v3, vcc
	v_add_co_u32_e32 v2, vcc, 10, v0
	v_addc_co_u32_e32 v3, vcc, 0, v166, vcc
	v_mul_lo_u32 v132, s15, v2
	v_mul_lo_u32 v133, s14, v3
	v_mad_u64_u32 v[2:3], s[0:1], s14, v2, 0
	v_add3_u32 v119, v150, v119, v149
	v_add3_u32 v121, v153, v121, v152
	v_add3_u32 v3, v3, v133, v132
	v_lshlrev_b64 v[2:3], 1, v[2:3]
	v_mov_b32_e32 v132, s17
	v_add_co_u32_e32 v224, vcc, s16, v2
	v_addc_co_u32_e32 v225, vcc, v132, v3, vcc
	v_add_co_u32_e32 v226, vcc, s18, v2
	v_mov_b32_e32 v2, s19
	v_addc_co_u32_e32 v227, vcc, v2, v3, vcc
	v_add_co_u32_e32 v2, vcc, 9, v0
	v_addc_co_u32_e32 v3, vcc, 0, v166, vcc
	v_mul_lo_u32 v132, s15, v2
	v_mul_lo_u32 v133, s14, v3
	v_mad_u64_u32 v[2:3], s[0:1], s14, v2, 0
	v_add3_u32 v123, v156, v123, v155
	v_add3_u32 v125, v159, v125, v158
	v_add3_u32 v3, v3, v133, v132
	v_lshlrev_b64 v[2:3], 1, v[2:3]
	v_mov_b32_e32 v132, s17
	v_add_co_u32_e32 v228, vcc, s16, v2
	v_addc_co_u32_e32 v229, vcc, v132, v3, vcc
	v_add_co_u32_e32 v230, vcc, s18, v2
	v_mov_b32_e32 v2, s19
	v_addc_co_u32_e32 v231, vcc, v2, v3, vcc
	v_add_co_u32_e32 v2, vcc, 8, v0
	v_addc_co_u32_e32 v3, vcc, 0, v166, vcc
	v_mul_lo_u32 v132, s15, v2
	v_mul_lo_u32 v133, s14, v3
	v_mad_u64_u32 v[2:3], s[0:1], s14, v2, 0
	v_add3_u32 v127, v162, v127, v161
	v_add3_u32 v129, v165, v129, v164
	v_add3_u32 v3, v3, v133, v132
	v_lshlrev_b64 v[2:3], 1, v[2:3]
	v_mov_b32_e32 v132, s17
	v_add_co_u32_e32 v232, vcc, s16, v2
	v_addc_co_u32_e32 v233, vcc, v132, v3, vcc
	v_add_co_u32_e32 v234, vcc, s18, v2
	v_mov_b32_e32 v2, s19
	v_addc_co_u32_e32 v235, vcc, v2, v3, vcc
	v_add_co_u32_e32 v2, vcc, 7, v0
	v_addc_co_u32_e32 v3, vcc, 0, v166, vcc
	v_mul_lo_u32 v132, s15, v2
	v_mul_lo_u32 v133, s14, v3
	v_mad_u64_u32 v[2:3], s[0:1], s14, v2, 0
	v_mov_b32_e32 v146, 0
	v_add3_u32 v3, v3, v133, v132
	v_lshlrev_b64 v[2:3], 1, v[2:3]
	v_mov_b32_e32 v132, s17
	v_add_co_u32_e32 v236, vcc, s16, v2
	v_addc_co_u32_e32 v237, vcc, v132, v3, vcc
	v_add_co_u32_e32 v238, vcc, s18, v2
	v_mov_b32_e32 v2, s19
	v_addc_co_u32_e32 v239, vcc, v2, v3, vcc
	v_add_co_u32_e32 v2, vcc, 6, v0
	v_addc_co_u32_e32 v3, vcc, 0, v166, vcc
	v_mul_lo_u32 v132, s15, v2
	v_mul_lo_u32 v133, s14, v3
	v_mad_u64_u32 v[2:3], s[0:1], s14, v2, 0
	v_add3_u32 v3, v3, v133, v132
	v_lshlrev_b64 v[2:3], 1, v[2:3]
	v_mov_b32_e32 v132, s17
	v_add_co_u32_e32 v240, vcc, s16, v2
	v_addc_co_u32_e32 v241, vcc, v132, v3, vcc
	v_add_co_u32_e32 v242, vcc, s18, v2
	v_mov_b32_e32 v2, s19
	v_addc_co_u32_e32 v243, vcc, v2, v3, vcc
	v_add_co_u32_e32 v2, vcc, 5, v0
	v_addc_co_u32_e32 v3, vcc, 0, v166, vcc
	v_mul_lo_u32 v132, s15, v2
	v_mul_lo_u32 v133, s14, v3
	v_mad_u64_u32 v[2:3], s[0:1], s14, v2, 0
	;; [unrolled: 13-line block ×5, first 2 shown]
	v_add3_u32 v1, v1, v3, v2
	v_lshlrev_b64 v[0:1], 1, v[0:1]
	v_mov_b32_e32 v2, s17
	v_add_co_u32_e32 v3, vcc, s16, v0
	v_addc_co_u32_e32 v140, vcc, v2, v1, vcc
	v_add_co_u32_e32 v0, vcc, s18, v0
	v_mov_b32_e32 v2, s19
	v_addc_co_u32_e32 v1, vcc, v2, v1, vcc
	v_add_co_u32_e32 v130, vcc, s14, v130
	v_mov_b32_e32 v2, s15
	v_addc_co_u32_e32 v131, vcc, v131, v2, vcc
	v_lshlrev_b64 v[130:131], 1, v[130:131]
	v_mov_b32_e32 v2, s17
	v_add_co_u32_e32 v141, vcc, s16, v130
	v_addc_co_u32_e32 v142, vcc, v2, v131, vcc
	v_add_co_u32_e32 v143, vcc, s18, v130
	v_mov_b32_e32 v2, s19
	v_addc_co_u32_e32 v144, vcc, v2, v131, vcc
	v_mbcnt_lo_u32_b32 v2, -1, 0
	v_mbcnt_hi_u32_b32 v2, -1, v2
	v_lshlrev_b32_e32 v2, 2, v2
	v_and_b32_e32 v145, 0x100, v2
	s_mov_b64 s[16:17], s[24:25]
.LBB97_149:                             ; =>This Inner Loop Header: Depth=1
	s_add_u32 s0, s24, s26
	v_mov_b32_e32 v131, s13
	s_addc_u32 s1, 0, s27
	v_mov_b32_e32 v130, s12
	v_cmp_ge_i64_e32 vcc, s[0:1], v[130:131]
	v_add_co_u32_e64 v131, s[0:1], s24, v135
	v_addc_co_u32_e64 v132, s[0:1], 0, v136, s[0:1]
	s_mov_b64 s[0:1], -1
                                        ; implicit-def: $vgpr133
                                        ; implicit-def: $vgpr130
	s_cbranch_vccz .LBB97_219
; %bb.150:                              ;   in Loop: Header=BB97_149 Depth=1
	s_load_dword s0, s[2:3], 0xc
	buffer_load_dword v133, off, s[40:43], 0 offset:292 ; 4-byte Folded Reload
	buffer_load_dword v134, off, s[40:43], 0 offset:296 ; 4-byte Folded Reload
	;; [unrolled: 1-line block ×3, first 2 shown]
	v_mov_b32_e32 v130, 0
	v_mov_b32_e32 v148, 0
	;; [unrolled: 1-line block ×3, first 2 shown]
	s_waitcnt lgkmcnt(0)
	s_and_b32 s0, s0, 0xffff
	s_waitcnt vmcnt(0)
	v_mad_u32_u24 v2, v133, s0, v2
	v_and_b32_e32 v2, 63, v2
	v_cmp_gt_u32_e32 vcc, 32, v2
	s_and_saveexec_b64 s[0:1], vcc
	s_cbranch_execz .LBB97_154
; %bb.151:                              ;   in Loop: Header=BB97_149 Depth=1
	v_add_co_u32_e32 v133, vcc, v131, v2
	v_addc_co_u32_e32 v134, vcc, 0, v132, vcc
	v_cmp_gt_i64_e32 vcc, s[12:13], v[133:134]
	v_mov_b32_e32 v147, 0
	v_mov_b32_e32 v148, 0
	s_and_saveexec_b64 s[18:19], vcc
	s_cbranch_execz .LBB97_153
; %bb.152:                              ;   in Loop: Header=BB97_149 Depth=1
	v_lshlrev_b64 v[133:134], 2, v[133:134]
	v_mov_b32_e32 v2, s23
	v_add_co_u32_e32 v137, vcc, s22, v133
	v_addc_co_u32_e32 v138, vcc, v2, v134, vcc
	v_mov_b32_e32 v2, s21
	v_add_co_u32_e32 v133, vcc, s20, v133
	v_addc_co_u32_e32 v134, vcc, v2, v134, vcc
	global_load_dword v147, v[133:134], off
	global_load_dword v148, v[137:138], off
.LBB97_153:                             ;   in Loop: Header=BB97_149 Depth=1
	s_or_b64 exec, exec, s[18:19]
.LBB97_154:                             ;   in Loop: Header=BB97_149 Depth=1
	s_or_b64 exec, exec, s[0:1]
	v_cmp_gt_i64_e32 vcc, s[12:13], v[131:132]
	v_mov_b32_e32 v154, 0
	s_and_saveexec_b64 s[0:1], vcc
	s_cbranch_execz .LBB97_156
; %bb.155:                              ;   in Loop: Header=BB97_149 Depth=1
	buffer_load_dword v2, off, s[40:43], 0  ; 4-byte Folded Reload
	s_waitcnt vmcnt(0)
	v_add_co_u32_e32 v133, vcc, v2, v4
	buffer_load_dword v2, off, s[40:43], 0 offset:4 ; 4-byte Folded Reload
	s_waitcnt vmcnt(0)
	v_addc_co_u32_e32 v134, vcc, v2, v5, vcc
	buffer_load_dword v2, off, s[40:43], 0 offset:8 ; 4-byte Folded Reload
	s_waitcnt vmcnt(0)
	v_add_co_u32_e32 v137, vcc, v2, v4
	buffer_load_dword v2, off, s[40:43], 0 offset:12 ; 4-byte Folded Reload
	s_waitcnt vmcnt(0)
	v_addc_co_u32_e32 v138, vcc, v2, v5, vcc
	global_load_ushort v2, v[137:138], off
	s_nop 0
	global_load_ushort v133, v[133:134], off
	s_waitcnt vmcnt(1)
	v_lshlrev_b32_e32 v130, 16, v2
	s_waitcnt vmcnt(0)
	v_lshlrev_b32_e32 v154, 16, v133
.LBB97_156:                             ;   in Loop: Header=BB97_149 Depth=1
	s_or_b64 exec, exec, s[0:1]
	v_add_co_u32_e32 v133, vcc, 1, v131
	v_addc_co_u32_e32 v134, vcc, 0, v132, vcc
	v_cmp_gt_i64_e32 vcc, s[12:13], v[133:134]
	v_mov_b32_e32 v133, 0
	v_mov_b32_e32 v160, 0
	;; [unrolled: 1-line block ×3, first 2 shown]
	s_and_saveexec_b64 s[0:1], vcc
	s_cbranch_execz .LBB97_158
; %bb.157:                              ;   in Loop: Header=BB97_149 Depth=1
	v_add_co_u32_e32 v137, vcc, v141, v4
	v_addc_co_u32_e32 v138, vcc, v142, v5, vcc
	v_add_co_u32_e32 v149, vcc, v143, v4
	v_addc_co_u32_e32 v150, vcc, v144, v5, vcc
	global_load_ushort v2, v[149:150], off
	global_load_ushort v134, v[137:138], off
	s_waitcnt vmcnt(1)
	v_lshlrev_b32_e32 v160, 16, v2
	s_waitcnt vmcnt(0)
	v_lshlrev_b32_e32 v159, 16, v134
.LBB97_158:                             ;   in Loop: Header=BB97_149 Depth=1
	s_or_b64 exec, exec, s[0:1]
	v_add_co_u32_e32 v137, vcc, 2, v131
	v_addc_co_u32_e32 v138, vcc, 0, v132, vcc
	v_cmp_gt_i64_e32 vcc, s[12:13], v[137:138]
	v_mov_b32_e32 v161, 0
	s_and_saveexec_b64 s[0:1], vcc
	s_cbranch_execz .LBB97_160
; %bb.159:                              ;   in Loop: Header=BB97_149 Depth=1
	v_add_co_u32_e32 v133, vcc, v3, v4
	v_addc_co_u32_e32 v134, vcc, v140, v5, vcc
	v_add_co_u32_e32 v137, vcc, v0, v4
	v_addc_co_u32_e32 v138, vcc, v1, v5, vcc
	global_load_ushort v2, v[137:138], off
	s_nop 0
	global_load_ushort v134, v[133:134], off
	s_waitcnt vmcnt(1)
	v_lshlrev_b32_e32 v133, 16, v2
	s_waitcnt vmcnt(0)
	v_lshlrev_b32_e32 v161, 16, v134
.LBB97_160:                             ;   in Loop: Header=BB97_149 Depth=1
	s_or_b64 exec, exec, s[0:1]
	v_add_co_u32_e32 v137, vcc, 3, v131
	v_addc_co_u32_e32 v138, vcc, 0, v132, vcc
	v_cmp_gt_i64_e32 vcc, s[12:13], v[137:138]
	v_mov_b32_e32 v134, 0
	v_mov_b32_e32 v164, 0
	v_mov_b32_e32 v163, 0
	s_and_saveexec_b64 s[0:1], vcc
	s_cbranch_execz .LBB97_162
; %bb.161:                              ;   in Loop: Header=BB97_149 Depth=1
	v_add_co_u32_e32 v137, vcc, v252, v4
	v_addc_co_u32_e32 v138, vcc, v253, v5, vcc
	v_add_co_u32_e32 v149, vcc, v254, v4
	v_addc_co_u32_e32 v150, vcc, v255, v5, vcc
	global_load_ushort v2, v[149:150], off
	s_nop 0
	global_load_ushort v137, v[137:138], off
	s_waitcnt vmcnt(1)
	v_lshlrev_b32_e32 v164, 16, v2
	s_waitcnt vmcnt(0)
	v_lshlrev_b32_e32 v163, 16, v137
.LBB97_162:                             ;   in Loop: Header=BB97_149 Depth=1
	s_or_b64 exec, exec, s[0:1]
	v_add_co_u32_e32 v137, vcc, 4, v131
	v_addc_co_u32_e32 v138, vcc, 0, v132, vcc
	v_cmp_gt_i64_e32 vcc, s[12:13], v[137:138]
	v_mov_b32_e32 v165, 0
	s_and_saveexec_b64 s[0:1], vcc
	s_cbranch_execz .LBB97_164
; %bb.163:                              ;   in Loop: Header=BB97_149 Depth=1
	v_add_co_u32_e32 v137, vcc, v248, v4
	v_addc_co_u32_e32 v138, vcc, v249, v5, vcc
	v_add_co_u32_e32 v149, vcc, v250, v4
	v_addc_co_u32_e32 v150, vcc, v251, v5, vcc
	global_load_ushort v2, v[149:150], off
	s_nop 0
	global_load_ushort v137, v[137:138], off
	s_waitcnt vmcnt(1)
	v_lshlrev_b32_e32 v134, 16, v2
	s_waitcnt vmcnt(0)
	v_lshlrev_b32_e32 v165, 16, v137
.LBB97_164:                             ;   in Loop: Header=BB97_149 Depth=1
	s_or_b64 exec, exec, s[0:1]
	v_add_co_u32_e32 v137, vcc, 5, v131
	v_addc_co_u32_e32 v138, vcc, 0, v132, vcc
	v_cmp_gt_i64_e32 vcc, s[12:13], v[137:138]
	v_mov_b32_e32 v149, 0
	v_mov_b32_e32 v2, 0
	v_mov_b32_e32 v167, 0
	s_and_saveexec_b64 s[0:1], vcc
	s_cbranch_execz .LBB97_166
; %bb.165:                              ;   in Loop: Header=BB97_149 Depth=1
	v_add_co_u32_e32 v137, vcc, v244, v4
	v_addc_co_u32_e32 v138, vcc, v245, v5, vcc
	v_add_co_u32_e32 v150, vcc, v246, v4
	v_addc_co_u32_e32 v151, vcc, v247, v5, vcc
	global_load_ushort v2, v[150:151], off
	s_nop 0
	global_load_ushort v137, v[137:138], off
	s_waitcnt vmcnt(1)
	v_lshlrev_b32_e32 v2, 16, v2
	s_waitcnt vmcnt(0)
	v_lshlrev_b32_e32 v167, 16, v137
.LBB97_166:                             ;   in Loop: Header=BB97_149 Depth=1
	s_or_b64 exec, exec, s[0:1]
	v_add_co_u32_e32 v137, vcc, 6, v131
	v_addc_co_u32_e32 v138, vcc, 0, v132, vcc
	v_cmp_gt_i64_e32 vcc, s[12:13], v[137:138]
	v_mov_b32_e32 v168, 0
	s_and_saveexec_b64 s[0:1], vcc
	s_cbranch_execz .LBB97_168
; %bb.167:                              ;   in Loop: Header=BB97_149 Depth=1
	v_add_co_u32_e32 v137, vcc, v240, v4
	v_addc_co_u32_e32 v138, vcc, v241, v5, vcc
	v_add_co_u32_e32 v149, vcc, v242, v4
	v_addc_co_u32_e32 v150, vcc, v243, v5, vcc
	global_load_ushort v139, v[149:150], off
	s_nop 0
	global_load_ushort v137, v[137:138], off
	s_waitcnt vmcnt(1)
	v_lshlrev_b32_e32 v149, 16, v139
	s_waitcnt vmcnt(0)
	v_lshlrev_b32_e32 v168, 16, v137
.LBB97_168:                             ;   in Loop: Header=BB97_149 Depth=1
	s_or_b64 exec, exec, s[0:1]
	v_add_co_u32_e32 v137, vcc, 7, v131
	v_addc_co_u32_e32 v138, vcc, 0, v132, vcc
	v_cmp_gt_i64_e32 vcc, s[12:13], v[137:138]
	v_mov_b32_e32 v150, 0
	v_mov_b32_e32 v170, 0
	v_mov_b32_e32 v169, 0
	s_and_saveexec_b64 s[0:1], vcc
	s_cbranch_execz .LBB97_170
; %bb.169:                              ;   in Loop: Header=BB97_149 Depth=1
	v_add_co_u32_e32 v137, vcc, v236, v4
	v_addc_co_u32_e32 v138, vcc, v237, v5, vcc
	v_add_co_u32_e32 v151, vcc, v238, v4
	v_addc_co_u32_e32 v152, vcc, v239, v5, vcc
	global_load_ushort v139, v[151:152], off
	s_nop 0
	global_load_ushort v137, v[137:138], off
	s_waitcnt vmcnt(1)
	v_lshlrev_b32_e32 v170, 16, v139
	s_waitcnt vmcnt(0)
	v_lshlrev_b32_e32 v169, 16, v137
.LBB97_170:                             ;   in Loop: Header=BB97_149 Depth=1
	s_or_b64 exec, exec, s[0:1]
	v_add_co_u32_e32 v137, vcc, 8, v131
	v_addc_co_u32_e32 v138, vcc, 0, v132, vcc
	v_cmp_gt_i64_e32 vcc, s[12:13], v[137:138]
	v_mov_b32_e32 v171, 0
	s_and_saveexec_b64 s[0:1], vcc
	s_cbranch_execz .LBB97_172
; %bb.171:                              ;   in Loop: Header=BB97_149 Depth=1
	v_add_co_u32_e32 v137, vcc, v232, v4
	v_addc_co_u32_e32 v138, vcc, v233, v5, vcc
	v_add_co_u32_e32 v150, vcc, v234, v4
	v_addc_co_u32_e32 v151, vcc, v235, v5, vcc
	global_load_ushort v139, v[150:151], off
	s_nop 0
	global_load_ushort v137, v[137:138], off
	s_waitcnt vmcnt(1)
	v_lshlrev_b32_e32 v150, 16, v139
	s_waitcnt vmcnt(0)
	v_lshlrev_b32_e32 v171, 16, v137
.LBB97_172:                             ;   in Loop: Header=BB97_149 Depth=1
	s_or_b64 exec, exec, s[0:1]
	v_add_co_u32_e32 v137, vcc, 9, v131
	v_addc_co_u32_e32 v138, vcc, 0, v132, vcc
	v_cmp_gt_i64_e32 vcc, s[12:13], v[137:138]
	v_mov_b32_e32 v151, 0
	v_mov_b32_e32 v173, 0
	v_mov_b32_e32 v172, 0
	s_and_saveexec_b64 s[0:1], vcc
	s_cbranch_execz .LBB97_174
; %bb.173:                              ;   in Loop: Header=BB97_149 Depth=1
	v_add_co_u32_e32 v137, vcc, v228, v4
	v_addc_co_u32_e32 v138, vcc, v229, v5, vcc
	v_add_co_u32_e32 v152, vcc, v230, v4
	v_addc_co_u32_e32 v153, vcc, v231, v5, vcc
	global_load_ushort v139, v[152:153], off
	s_nop 0
	global_load_ushort v137, v[137:138], off
	s_waitcnt vmcnt(1)
	v_lshlrev_b32_e32 v173, 16, v139
	s_waitcnt vmcnt(0)
	v_lshlrev_b32_e32 v172, 16, v137
.LBB97_174:                             ;   in Loop: Header=BB97_149 Depth=1
	s_or_b64 exec, exec, s[0:1]
	v_add_co_u32_e32 v137, vcc, 10, v131
	v_addc_co_u32_e32 v138, vcc, 0, v132, vcc
	v_cmp_gt_i64_e32 vcc, s[12:13], v[137:138]
	v_mov_b32_e32 v174, 0
	s_and_saveexec_b64 s[0:1], vcc
	s_cbranch_execz .LBB97_176
; %bb.175:                              ;   in Loop: Header=BB97_149 Depth=1
	v_add_co_u32_e32 v137, vcc, v224, v4
	v_addc_co_u32_e32 v138, vcc, v225, v5, vcc
	v_add_co_u32_e32 v151, vcc, v226, v4
	v_addc_co_u32_e32 v152, vcc, v227, v5, vcc
	global_load_ushort v139, v[151:152], off
	s_nop 0
	global_load_ushort v137, v[137:138], off
	s_waitcnt vmcnt(1)
	v_lshlrev_b32_e32 v151, 16, v139
	s_waitcnt vmcnt(0)
	v_lshlrev_b32_e32 v174, 16, v137
.LBB97_176:                             ;   in Loop: Header=BB97_149 Depth=1
	s_or_b64 exec, exec, s[0:1]
	v_add_co_u32_e32 v137, vcc, 11, v131
	v_addc_co_u32_e32 v138, vcc, 0, v132, vcc
	v_cmp_gt_i64_e32 vcc, s[12:13], v[137:138]
	v_mov_b32_e32 v152, 0
	v_mov_b32_e32 v139, 0
	v_mov_b32_e32 v175, 0
	s_and_saveexec_b64 s[0:1], vcc
	s_cbranch_execz .LBB97_178
; %bb.177:                              ;   in Loop: Header=BB97_149 Depth=1
	v_add_co_u32_e32 v137, vcc, v220, v4
	v_addc_co_u32_e32 v138, vcc, v221, v5, vcc
	v_add_co_u32_e32 v155, vcc, v222, v4
	v_addc_co_u32_e32 v156, vcc, v223, v5, vcc
	global_load_ushort v139, v[155:156], off
	s_nop 0
	global_load_ushort v137, v[137:138], off
	s_waitcnt vmcnt(1)
	v_lshlrev_b32_e32 v139, 16, v139
	s_waitcnt vmcnt(0)
	v_lshlrev_b32_e32 v175, 16, v137
.LBB97_178:                             ;   in Loop: Header=BB97_149 Depth=1
	s_or_b64 exec, exec, s[0:1]
	v_add_co_u32_e32 v137, vcc, 12, v131
	v_addc_co_u32_e32 v138, vcc, 0, v132, vcc
	v_cmp_gt_i64_e32 vcc, s[12:13], v[137:138]
	v_mov_b32_e32 v176, 0
	s_and_saveexec_b64 s[0:1], vcc
	s_cbranch_execz .LBB97_180
; %bb.179:                              ;   in Loop: Header=BB97_149 Depth=1
	v_add_co_u32_e32 v137, vcc, v216, v4
	v_addc_co_u32_e32 v138, vcc, v217, v5, vcc
	v_add_co_u32_e32 v152, vcc, v218, v4
	v_addc_co_u32_e32 v153, vcc, v219, v5, vcc
	global_load_ushort v152, v[152:153], off
	s_nop 0
	global_load_ushort v137, v[137:138], off
	s_waitcnt vmcnt(1)
	v_lshlrev_b32_e32 v152, 16, v152
	s_waitcnt vmcnt(0)
	v_lshlrev_b32_e32 v176, 16, v137
.LBB97_180:                             ;   in Loop: Header=BB97_149 Depth=1
	s_or_b64 exec, exec, s[0:1]
	v_add_co_u32_e32 v137, vcc, 13, v131
	v_addc_co_u32_e32 v138, vcc, 0, v132, vcc
	v_cmp_gt_i64_e32 vcc, s[12:13], v[137:138]
	v_mov_b32_e32 v153, 0
	v_mov_b32_e32 v178, 0
	v_mov_b32_e32 v177, 0
	s_and_saveexec_b64 s[0:1], vcc
	s_cbranch_execz .LBB97_182
; %bb.181:                              ;   in Loop: Header=BB97_149 Depth=1
	v_add_co_u32_e32 v137, vcc, v212, v4
	v_addc_co_u32_e32 v138, vcc, v213, v5, vcc
	v_add_co_u32_e32 v155, vcc, v214, v4
	v_addc_co_u32_e32 v156, vcc, v215, v5, vcc
	global_load_ushort v155, v[155:156], off
	s_nop 0
	global_load_ushort v137, v[137:138], off
	s_waitcnt vmcnt(1)
	v_lshlrev_b32_e32 v178, 16, v155
	s_waitcnt vmcnt(0)
	v_lshlrev_b32_e32 v177, 16, v137
.LBB97_182:                             ;   in Loop: Header=BB97_149 Depth=1
	s_or_b64 exec, exec, s[0:1]
	v_add_co_u32_e32 v137, vcc, 14, v131
	v_addc_co_u32_e32 v138, vcc, 0, v132, vcc
	v_cmp_gt_i64_e32 vcc, s[12:13], v[137:138]
	v_mov_b32_e32 v179, 0
	s_and_saveexec_b64 s[0:1], vcc
	s_cbranch_execz .LBB97_184
; %bb.183:                              ;   in Loop: Header=BB97_149 Depth=1
	buffer_load_dword v137, off, s[40:43], 0 offset:288 ; 4-byte Folded Reload
	s_waitcnt vmcnt(0)
	v_add_co_u32_e32 v137, vcc, v137, v4
	v_addc_co_u32_e32 v138, vcc, v209, v5, vcc
	v_add_co_u32_e32 v155, vcc, v210, v4
	v_addc_co_u32_e32 v156, vcc, v211, v5, vcc
	global_load_ushort v153, v[155:156], off
	s_nop 0
	global_load_ushort v137, v[137:138], off
	s_waitcnt vmcnt(1)
	v_lshlrev_b32_e32 v153, 16, v153
	s_waitcnt vmcnt(0)
	v_lshlrev_b32_e32 v179, 16, v137
.LBB97_184:                             ;   in Loop: Header=BB97_149 Depth=1
	s_or_b64 exec, exec, s[0:1]
	v_add_co_u32_e32 v137, vcc, 15, v131
	v_addc_co_u32_e32 v138, vcc, 0, v132, vcc
	v_cmp_gt_i64_e32 vcc, s[12:13], v[137:138]
	v_mov_b32_e32 v155, 0
	v_mov_b32_e32 v181, 0
	;; [unrolled: 1-line block ×3, first 2 shown]
	s_and_saveexec_b64 s[0:1], vcc
	s_cbranch_execz .LBB97_186
; %bb.185:                              ;   in Loop: Header=BB97_149 Depth=1
	buffer_load_dword v137, off, s[40:43], 0 offset:272 ; 4-byte Folded Reload
	buffer_load_dword v138, off, s[40:43], 0 offset:276 ; 4-byte Folded Reload
	;; [unrolled: 1-line block ×4, first 2 shown]
	s_waitcnt vmcnt(3)
	v_add_co_u32_e32 v137, vcc, v137, v4
	s_waitcnt vmcnt(2)
	v_addc_co_u32_e32 v138, vcc, v138, v5, vcc
	s_waitcnt vmcnt(1)
	v_add_co_u32_e32 v156, vcc, v156, v4
	s_waitcnt vmcnt(0)
	v_addc_co_u32_e32 v157, vcc, v157, v5, vcc
	global_load_ushort v156, v[156:157], off
	s_nop 0
	global_load_ushort v137, v[137:138], off
	s_waitcnt vmcnt(1)
	v_lshlrev_b32_e32 v181, 16, v156
	s_waitcnt vmcnt(0)
	v_lshlrev_b32_e32 v180, 16, v137
.LBB97_186:                             ;   in Loop: Header=BB97_149 Depth=1
	s_or_b64 exec, exec, s[0:1]
	v_add_co_u32_e32 v137, vcc, 16, v131
	v_addc_co_u32_e32 v138, vcc, 0, v132, vcc
	v_cmp_gt_i64_e32 vcc, s[12:13], v[137:138]
	v_mov_b32_e32 v182, 0
	s_and_saveexec_b64 s[0:1], vcc
	s_cbranch_execz .LBB97_188
; %bb.187:                              ;   in Loop: Header=BB97_149 Depth=1
	buffer_load_dword v137, off, s[40:43], 0 offset:256 ; 4-byte Folded Reload
	buffer_load_dword v138, off, s[40:43], 0 offset:260 ; 4-byte Folded Reload
	buffer_load_dword v155, off, s[40:43], 0 offset:264 ; 4-byte Folded Reload
	buffer_load_dword v156, off, s[40:43], 0 offset:268 ; 4-byte Folded Reload
	s_waitcnt vmcnt(3)
	v_add_co_u32_e32 v137, vcc, v137, v4
	s_waitcnt vmcnt(2)
	v_addc_co_u32_e32 v138, vcc, v138, v5, vcc
	s_waitcnt vmcnt(1)
	v_add_co_u32_e32 v155, vcc, v155, v4
	s_waitcnt vmcnt(0)
	v_addc_co_u32_e32 v156, vcc, v156, v5, vcc
	global_load_ushort v155, v[155:156], off
	s_nop 0
	global_load_ushort v137, v[137:138], off
	s_waitcnt vmcnt(1)
	v_lshlrev_b32_e32 v155, 16, v155
	s_waitcnt vmcnt(0)
	v_lshlrev_b32_e32 v182, 16, v137
.LBB97_188:                             ;   in Loop: Header=BB97_149 Depth=1
	s_or_b64 exec, exec, s[0:1]
	v_add_co_u32_e32 v137, vcc, 17, v131
	v_addc_co_u32_e32 v138, vcc, 0, v132, vcc
	v_cmp_gt_i64_e32 vcc, s[12:13], v[137:138]
	v_mov_b32_e32 v156, 0
	v_mov_b32_e32 v184, 0
	;; [unrolled: 1-line block ×3, first 2 shown]
	s_and_saveexec_b64 s[0:1], vcc
	s_cbranch_execz .LBB97_190
; %bb.189:                              ;   in Loop: Header=BB97_149 Depth=1
	buffer_load_dword v137, off, s[40:43], 0 offset:240 ; 4-byte Folded Reload
	buffer_load_dword v138, off, s[40:43], 0 offset:244 ; 4-byte Folded Reload
	buffer_load_dword v157, off, s[40:43], 0 offset:248 ; 4-byte Folded Reload
	buffer_load_dword v158, off, s[40:43], 0 offset:252 ; 4-byte Folded Reload
	s_waitcnt vmcnt(3)
	v_add_co_u32_e32 v137, vcc, v137, v4
	s_waitcnt vmcnt(2)
	v_addc_co_u32_e32 v138, vcc, v138, v5, vcc
	s_waitcnt vmcnt(1)
	v_add_co_u32_e32 v157, vcc, v157, v4
	s_waitcnt vmcnt(0)
	v_addc_co_u32_e32 v158, vcc, v158, v5, vcc
	global_load_ushort v157, v[157:158], off
	s_nop 0
	global_load_ushort v137, v[137:138], off
	s_waitcnt vmcnt(1)
	v_lshlrev_b32_e32 v184, 16, v157
	s_waitcnt vmcnt(0)
	v_lshlrev_b32_e32 v183, 16, v137
.LBB97_190:                             ;   in Loop: Header=BB97_149 Depth=1
	s_or_b64 exec, exec, s[0:1]
	v_add_co_u32_e32 v137, vcc, 18, v131
	v_addc_co_u32_e32 v138, vcc, 0, v132, vcc
	v_cmp_gt_i64_e32 vcc, s[12:13], v[137:138]
	v_mov_b32_e32 v185, 0
	s_and_saveexec_b64 s[0:1], vcc
	s_cbranch_execz .LBB97_192
; %bb.191:                              ;   in Loop: Header=BB97_149 Depth=1
	buffer_load_dword v137, off, s[40:43], 0 offset:224 ; 4-byte Folded Reload
	buffer_load_dword v138, off, s[40:43], 0 offset:228 ; 4-byte Folded Reload
	;; [unrolled: 1-line block ×4, first 2 shown]
	s_waitcnt vmcnt(3)
	v_add_co_u32_e32 v137, vcc, v137, v4
	s_waitcnt vmcnt(2)
	v_addc_co_u32_e32 v138, vcc, v138, v5, vcc
	s_waitcnt vmcnt(1)
	v_add_co_u32_e32 v156, vcc, v156, v4
	s_waitcnt vmcnt(0)
	v_addc_co_u32_e32 v157, vcc, v157, v5, vcc
	global_load_ushort v156, v[156:157], off
	s_nop 0
	global_load_ushort v137, v[137:138], off
	s_waitcnt vmcnt(1)
	v_lshlrev_b32_e32 v156, 16, v156
	s_waitcnt vmcnt(0)
	v_lshlrev_b32_e32 v185, 16, v137
.LBB97_192:                             ;   in Loop: Header=BB97_149 Depth=1
	s_or_b64 exec, exec, s[0:1]
	v_add_co_u32_e32 v137, vcc, 19, v131
	v_addc_co_u32_e32 v138, vcc, 0, v132, vcc
	v_cmp_gt_i64_e32 vcc, s[12:13], v[137:138]
	v_mov_b32_e32 v157, 0
	v_mov_b32_e32 v187, 0
	;; [unrolled: 1-line block ×3, first 2 shown]
	s_and_saveexec_b64 s[0:1], vcc
	s_cbranch_execz .LBB97_194
; %bb.193:                              ;   in Loop: Header=BB97_149 Depth=1
	buffer_load_dword v137, off, s[40:43], 0 offset:208 ; 4-byte Folded Reload
	buffer_load_dword v138, off, s[40:43], 0 offset:212 ; 4-byte Folded Reload
	;; [unrolled: 1-line block ×3, first 2 shown]
	s_waitcnt vmcnt(2)
	v_add_co_u32_e32 v137, vcc, v137, v4
	s_waitcnt vmcnt(1)
	v_addc_co_u32_e32 v138, vcc, v138, v5, vcc
	s_waitcnt vmcnt(0)
	v_add_co_u32_e32 v186, vcc, v158, v4
	buffer_load_dword v158, off, s[40:43], 0 offset:220 ; 4-byte Folded Reload
	s_waitcnt vmcnt(0)
	v_addc_co_u32_e32 v187, vcc, v158, v5, vcc
	global_load_ushort v158, v[186:187], off
	s_nop 0
	global_load_ushort v137, v[137:138], off
	s_waitcnt vmcnt(1)
	v_lshlrev_b32_e32 v187, 16, v158
	s_waitcnt vmcnt(0)
	v_lshlrev_b32_e32 v186, 16, v137
.LBB97_194:                             ;   in Loop: Header=BB97_149 Depth=1
	s_or_b64 exec, exec, s[0:1]
	v_add_co_u32_e32 v137, vcc, 20, v131
	v_addc_co_u32_e32 v138, vcc, 0, v132, vcc
	v_cmp_gt_i64_e32 vcc, s[12:13], v[137:138]
	v_mov_b32_e32 v188, 0
	s_and_saveexec_b64 s[0:1], vcc
	s_cbranch_execz .LBB97_196
; %bb.195:                              ;   in Loop: Header=BB97_149 Depth=1
	buffer_load_dword v137, off, s[40:43], 0 offset:192 ; 4-byte Folded Reload
	buffer_load_dword v138, off, s[40:43], 0 offset:196 ; 4-byte Folded Reload
	;; [unrolled: 1-line block ×4, first 2 shown]
	s_waitcnt vmcnt(3)
	v_add_co_u32_e32 v137, vcc, v137, v4
	s_waitcnt vmcnt(2)
	v_addc_co_u32_e32 v138, vcc, v138, v5, vcc
	s_waitcnt vmcnt(1)
	v_add_co_u32_e32 v157, vcc, v157, v4
	s_waitcnt vmcnt(0)
	v_addc_co_u32_e32 v158, vcc, v158, v5, vcc
	global_load_ushort v157, v[157:158], off
	s_nop 0
	global_load_ushort v137, v[137:138], off
	s_waitcnt vmcnt(1)
	v_lshlrev_b32_e32 v157, 16, v157
	s_waitcnt vmcnt(0)
	v_lshlrev_b32_e32 v188, 16, v137
.LBB97_196:                             ;   in Loop: Header=BB97_149 Depth=1
	s_or_b64 exec, exec, s[0:1]
	v_add_co_u32_e32 v137, vcc, 21, v131
	v_addc_co_u32_e32 v138, vcc, 0, v132, vcc
	v_cmp_gt_i64_e32 vcc, s[12:13], v[137:138]
	v_mov_b32_e32 v158, 0
	v_mov_b32_e32 v190, 0
	;; [unrolled: 1-line block ×3, first 2 shown]
	s_and_saveexec_b64 s[0:1], vcc
	s_cbranch_execz .LBB97_198
; %bb.197:                              ;   in Loop: Header=BB97_149 Depth=1
	buffer_load_dword v137, off, s[40:43], 0 offset:176 ; 4-byte Folded Reload
	buffer_load_dword v138, off, s[40:43], 0 offset:180 ; 4-byte Folded Reload
	;; [unrolled: 1-line block ×3, first 2 shown]
	s_waitcnt vmcnt(2)
	v_add_co_u32_e32 v137, vcc, v137, v4
	s_waitcnt vmcnt(1)
	v_addc_co_u32_e32 v138, vcc, v138, v5, vcc
	s_waitcnt vmcnt(0)
	v_add_co_u32_e32 v189, vcc, v162, v4
	buffer_load_dword v162, off, s[40:43], 0 offset:188 ; 4-byte Folded Reload
	s_waitcnt vmcnt(0)
	v_addc_co_u32_e32 v190, vcc, v162, v5, vcc
	global_load_ushort v162, v[189:190], off
	s_nop 0
	global_load_ushort v137, v[137:138], off
	s_waitcnt vmcnt(1)
	v_lshlrev_b32_e32 v190, 16, v162
	s_waitcnt vmcnt(0)
	v_lshlrev_b32_e32 v189, 16, v137
.LBB97_198:                             ;   in Loop: Header=BB97_149 Depth=1
	s_or_b64 exec, exec, s[0:1]
	v_add_co_u32_e32 v137, vcc, 22, v131
	v_addc_co_u32_e32 v138, vcc, 0, v132, vcc
	v_cmp_gt_i64_e32 vcc, s[12:13], v[137:138]
	v_mov_b32_e32 v191, 0
	s_and_saveexec_b64 s[0:1], vcc
	s_cbranch_execz .LBB97_200
; %bb.199:                              ;   in Loop: Header=BB97_149 Depth=1
	buffer_load_dword v137, off, s[40:43], 0 offset:160 ; 4-byte Folded Reload
	buffer_load_dword v138, off, s[40:43], 0 offset:164 ; 4-byte Folded Reload
	;; [unrolled: 1-line block ×3, first 2 shown]
	s_waitcnt vmcnt(2)
	v_add_co_u32_e32 v137, vcc, v137, v4
	s_waitcnt vmcnt(1)
	v_addc_co_u32_e32 v138, vcc, v138, v5, vcc
	s_waitcnt vmcnt(0)
	v_add_co_u32_e32 v191, vcc, v158, v4
	buffer_load_dword v158, off, s[40:43], 0 offset:172 ; 4-byte Folded Reload
	s_waitcnt vmcnt(0)
	v_addc_co_u32_e32 v192, vcc, v158, v5, vcc
	global_load_ushort v158, v[191:192], off
	s_nop 0
	global_load_ushort v137, v[137:138], off
	s_waitcnt vmcnt(1)
	v_lshlrev_b32_e32 v158, 16, v158
	s_waitcnt vmcnt(0)
	v_lshlrev_b32_e32 v191, 16, v137
.LBB97_200:                             ;   in Loop: Header=BB97_149 Depth=1
	s_or_b64 exec, exec, s[0:1]
	v_add_co_u32_e32 v137, vcc, 23, v131
	v_addc_co_u32_e32 v138, vcc, 0, v132, vcc
	v_cmp_gt_i64_e32 vcc, s[12:13], v[137:138]
	v_mov_b32_e32 v162, 0
	v_mov_b32_e32 v193, 0
	;; [unrolled: 1-line block ×3, first 2 shown]
	s_and_saveexec_b64 s[0:1], vcc
	s_cbranch_execz .LBB97_202
; %bb.201:                              ;   in Loop: Header=BB97_149 Depth=1
	buffer_load_dword v137, off, s[40:43], 0 offset:144 ; 4-byte Folded Reload
	buffer_load_dword v138, off, s[40:43], 0 offset:148 ; 4-byte Folded Reload
	;; [unrolled: 1-line block ×3, first 2 shown]
	s_waitcnt vmcnt(2)
	v_add_co_u32_e32 v137, vcc, v137, v4
	s_waitcnt vmcnt(1)
	v_addc_co_u32_e32 v138, vcc, v138, v5, vcc
	s_waitcnt vmcnt(0)
	v_add_co_u32_e32 v192, vcc, v166, v4
	buffer_load_dword v166, off, s[40:43], 0 offset:156 ; 4-byte Folded Reload
	s_waitcnt vmcnt(0)
	v_addc_co_u32_e32 v193, vcc, v166, v5, vcc
	global_load_ushort v166, v[192:193], off
	s_nop 0
	global_load_ushort v137, v[137:138], off
	s_waitcnt vmcnt(1)
	v_lshlrev_b32_e32 v193, 16, v166
	s_waitcnt vmcnt(0)
	v_lshlrev_b32_e32 v192, 16, v137
.LBB97_202:                             ;   in Loop: Header=BB97_149 Depth=1
	s_or_b64 exec, exec, s[0:1]
	v_add_co_u32_e32 v137, vcc, 24, v131
	v_addc_co_u32_e32 v138, vcc, 0, v132, vcc
	v_cmp_gt_i64_e32 vcc, s[12:13], v[137:138]
	v_mov_b32_e32 v194, 0
	s_and_saveexec_b64 s[0:1], vcc
	s_cbranch_execz .LBB97_204
; %bb.203:                              ;   in Loop: Header=BB97_149 Depth=1
	buffer_load_dword v137, off, s[40:43], 0 offset:128 ; 4-byte Folded Reload
	buffer_load_dword v138, off, s[40:43], 0 offset:132 ; 4-byte Folded Reload
	;; [unrolled: 1-line block ×3, first 2 shown]
	s_waitcnt vmcnt(2)
	v_add_co_u32_e32 v137, vcc, v137, v4
	s_waitcnt vmcnt(1)
	v_addc_co_u32_e32 v138, vcc, v138, v5, vcc
	s_waitcnt vmcnt(0)
	v_add_co_u32_e32 v194, vcc, v162, v4
	buffer_load_dword v162, off, s[40:43], 0 offset:140 ; 4-byte Folded Reload
	s_waitcnt vmcnt(0)
	v_addc_co_u32_e32 v195, vcc, v162, v5, vcc
	global_load_ushort v162, v[194:195], off
	s_nop 0
	global_load_ushort v137, v[137:138], off
	s_waitcnt vmcnt(1)
	v_lshlrev_b32_e32 v162, 16, v162
	s_waitcnt vmcnt(0)
	v_lshlrev_b32_e32 v194, 16, v137
.LBB97_204:                             ;   in Loop: Header=BB97_149 Depth=1
	s_or_b64 exec, exec, s[0:1]
	v_add_co_u32_e32 v137, vcc, 25, v131
	v_addc_co_u32_e32 v138, vcc, 0, v132, vcc
	v_cmp_gt_i64_e32 vcc, s[12:13], v[137:138]
	v_mov_b32_e32 v166, 0
	v_mov_b32_e32 v196, 0
	v_mov_b32_e32 v195, 0
	s_and_saveexec_b64 s[0:1], vcc
	s_cbranch_execz .LBB97_206
; %bb.205:                              ;   in Loop: Header=BB97_149 Depth=1
	buffer_load_dword v137, off, s[40:43], 0 offset:112 ; 4-byte Folded Reload
	buffer_load_dword v138, off, s[40:43], 0 offset:116 ; 4-byte Folded Reload
	buffer_load_dword v195, off, s[40:43], 0 offset:120 ; 4-byte Folded Reload
	buffer_load_dword v196, off, s[40:43], 0 offset:124 ; 4-byte Folded Reload
	s_waitcnt vmcnt(3)
	v_add_co_u32_e32 v137, vcc, v137, v4
	s_waitcnt vmcnt(2)
	v_addc_co_u32_e32 v138, vcc, v138, v5, vcc
	s_waitcnt vmcnt(1)
	v_add_co_u32_e32 v195, vcc, v195, v4
	s_waitcnt vmcnt(0)
	v_addc_co_u32_e32 v196, vcc, v196, v5, vcc
	global_load_ushort v195, v[195:196], off
	s_nop 0
	global_load_ushort v137, v[137:138], off
	s_waitcnt vmcnt(1)
	v_lshlrev_b32_e32 v196, 16, v195
	s_waitcnt vmcnt(0)
	v_lshlrev_b32_e32 v195, 16, v137
.LBB97_206:                             ;   in Loop: Header=BB97_149 Depth=1
	s_or_b64 exec, exec, s[0:1]
	v_add_co_u32_e32 v137, vcc, 26, v131
	v_addc_co_u32_e32 v138, vcc, 0, v132, vcc
	v_cmp_gt_i64_e32 vcc, s[12:13], v[137:138]
	v_mov_b32_e32 v197, 0
	s_and_saveexec_b64 s[0:1], vcc
	s_cbranch_execz .LBB97_208
; %bb.207:                              ;   in Loop: Header=BB97_149 Depth=1
	buffer_load_dword v137, off, s[40:43], 0 offset:96 ; 4-byte Folded Reload
	buffer_load_dword v138, off, s[40:43], 0 offset:100 ; 4-byte Folded Reload
	;; [unrolled: 1-line block ×3, first 2 shown]
	s_waitcnt vmcnt(2)
	v_add_co_u32_e32 v137, vcc, v137, v4
	s_waitcnt vmcnt(1)
	v_addc_co_u32_e32 v138, vcc, v138, v5, vcc
	s_waitcnt vmcnt(0)
	v_add_co_u32_e32 v197, vcc, v166, v4
	buffer_load_dword v166, off, s[40:43], 0 offset:108 ; 4-byte Folded Reload
	s_waitcnt vmcnt(0)
	v_addc_co_u32_e32 v198, vcc, v166, v5, vcc
	global_load_ushort v166, v[197:198], off
	s_nop 0
	global_load_ushort v137, v[137:138], off
	s_waitcnt vmcnt(1)
	v_lshlrev_b32_e32 v166, 16, v166
	s_waitcnt vmcnt(0)
	v_lshlrev_b32_e32 v197, 16, v137
.LBB97_208:                             ;   in Loop: Header=BB97_149 Depth=1
	s_or_b64 exec, exec, s[0:1]
	v_add_co_u32_e32 v137, vcc, 27, v131
	v_addc_co_u32_e32 v138, vcc, 0, v132, vcc
	v_cmp_gt_i64_e32 vcc, s[12:13], v[137:138]
	v_mov_b32_e32 v137, 0
	v_mov_b32_e32 v199, 0
	;; [unrolled: 1-line block ×3, first 2 shown]
	s_and_saveexec_b64 s[0:1], vcc
	s_cbranch_execz .LBB97_210
; %bb.209:                              ;   in Loop: Header=BB97_149 Depth=1
	buffer_load_dword v138, off, s[40:43], 0 offset:80 ; 4-byte Folded Reload
	s_waitcnt vmcnt(0)
	v_add_co_u32_e32 v198, vcc, v138, v4
	buffer_load_dword v138, off, s[40:43], 0 offset:84 ; 4-byte Folded Reload
	s_waitcnt vmcnt(0)
	v_addc_co_u32_e32 v199, vcc, v138, v5, vcc
	buffer_load_dword v138, off, s[40:43], 0 offset:88 ; 4-byte Folded Reload
	s_waitcnt vmcnt(0)
	v_add_co_u32_e32 v200, vcc, v138, v4
	buffer_load_dword v138, off, s[40:43], 0 offset:92 ; 4-byte Folded Reload
	s_waitcnt vmcnt(0)
	v_addc_co_u32_e32 v201, vcc, v138, v5, vcc
	global_load_ushort v138, v[200:201], off
	s_nop 0
	global_load_ushort v198, v[198:199], off
	s_waitcnt vmcnt(1)
	v_lshlrev_b32_e32 v199, 16, v138
	s_waitcnt vmcnt(0)
	v_lshlrev_b32_e32 v198, 16, v198
.LBB97_210:                             ;   in Loop: Header=BB97_149 Depth=1
	s_or_b64 exec, exec, s[0:1]
	v_add_co_u32_e32 v200, vcc, 28, v131
	v_addc_co_u32_e32 v201, vcc, 0, v132, vcc
	v_cmp_gt_i64_e32 vcc, s[12:13], v[200:201]
	v_mov_b32_e32 v200, 0
	s_and_saveexec_b64 s[0:1], vcc
	s_cbranch_execz .LBB97_212
; %bb.211:                              ;   in Loop: Header=BB97_149 Depth=1
	buffer_load_dword v137, off, s[40:43], 0 offset:64 ; 4-byte Folded Reload
	buffer_load_dword v138, off, s[40:43], 0 offset:68 ; 4-byte Folded Reload
	;; [unrolled: 1-line block ×4, first 2 shown]
	s_waitcnt vmcnt(3)
	v_add_co_u32_e32 v137, vcc, v137, v4
	s_waitcnt vmcnt(2)
	v_addc_co_u32_e32 v138, vcc, v138, v5, vcc
	s_waitcnt vmcnt(1)
	v_add_co_u32_e32 v200, vcc, v200, v4
	s_waitcnt vmcnt(0)
	v_addc_co_u32_e32 v201, vcc, v201, v5, vcc
	global_load_ushort v200, v[200:201], off
	s_nop 0
	global_load_ushort v138, v[137:138], off
	s_waitcnt vmcnt(1)
	v_lshlrev_b32_e32 v137, 16, v200
	s_waitcnt vmcnt(0)
	v_lshlrev_b32_e32 v200, 16, v138
.LBB97_212:                             ;   in Loop: Header=BB97_149 Depth=1
	s_or_b64 exec, exec, s[0:1]
	v_add_co_u32_e32 v201, vcc, 29, v131
	v_addc_co_u32_e32 v202, vcc, 0, v132, vcc
	v_cmp_gt_i64_e32 vcc, s[12:13], v[201:202]
	v_mov_b32_e32 v138, 0
	v_mov_b32_e32 v202, 0
	;; [unrolled: 1-line block ×3, first 2 shown]
	s_and_saveexec_b64 s[0:1], vcc
	s_cbranch_execz .LBB97_214
; %bb.213:                              ;   in Loop: Header=BB97_149 Depth=1
	buffer_load_dword v201, off, s[40:43], 0 offset:48 ; 4-byte Folded Reload
	buffer_load_dword v202, off, s[40:43], 0 offset:52 ; 4-byte Folded Reload
	;; [unrolled: 1-line block ×4, first 2 shown]
	s_waitcnt vmcnt(3)
	v_add_co_u32_e32 v201, vcc, v201, v4
	s_waitcnt vmcnt(2)
	v_addc_co_u32_e32 v202, vcc, v202, v5, vcc
	s_waitcnt vmcnt(1)
	v_add_co_u32_e32 v203, vcc, v203, v4
	s_waitcnt vmcnt(0)
	v_addc_co_u32_e32 v204, vcc, v204, v5, vcc
	global_load_ushort v203, v[203:204], off
	s_nop 0
	global_load_ushort v201, v[201:202], off
	s_waitcnt vmcnt(1)
	v_lshlrev_b32_e32 v202, 16, v203
	s_waitcnt vmcnt(0)
	v_lshlrev_b32_e32 v201, 16, v201
.LBB97_214:                             ;   in Loop: Header=BB97_149 Depth=1
	s_or_b64 exec, exec, s[0:1]
	v_add_co_u32_e32 v203, vcc, 30, v131
	v_addc_co_u32_e32 v204, vcc, 0, v132, vcc
	v_cmp_gt_i64_e32 vcc, s[12:13], v[203:204]
	v_mov_b32_e32 v203, 0
	s_and_saveexec_b64 s[0:1], vcc
	s_cbranch_execz .LBB97_216
; %bb.215:                              ;   in Loop: Header=BB97_149 Depth=1
	buffer_load_dword v138, off, s[40:43], 0 offset:32 ; 4-byte Folded Reload
	s_waitcnt vmcnt(0)
	v_add_co_u32_e32 v203, vcc, v138, v4
	buffer_load_dword v138, off, s[40:43], 0 offset:36 ; 4-byte Folded Reload
	s_waitcnt vmcnt(0)
	v_addc_co_u32_e32 v204, vcc, v138, v5, vcc
	buffer_load_dword v138, off, s[40:43], 0 offset:40 ; 4-byte Folded Reload
	s_waitcnt vmcnt(0)
	v_add_co_u32_e32 v205, vcc, v138, v4
	buffer_load_dword v138, off, s[40:43], 0 offset:44 ; 4-byte Folded Reload
	s_waitcnt vmcnt(0)
	v_addc_co_u32_e32 v206, vcc, v138, v5, vcc
	global_load_ushort v138, v[205:206], off
	s_nop 0
	global_load_ushort v203, v[203:204], off
	s_waitcnt vmcnt(1)
	v_lshlrev_b32_e32 v138, 16, v138
	s_waitcnt vmcnt(0)
	v_lshlrev_b32_e32 v203, 16, v203
.LBB97_216:                             ;   in Loop: Header=BB97_149 Depth=1
	s_or_b64 exec, exec, s[0:1]
	v_add_co_u32_e32 v204, vcc, 31, v131
	v_addc_co_u32_e32 v205, vcc, 0, v132, vcc
	v_cmp_gt_i64_e32 vcc, s[12:13], v[204:205]
	v_mov_b32_e32 v205, 0
	v_mov_b32_e32 v204, 0
	s_and_saveexec_b64 s[0:1], vcc
	s_cbranch_execz .LBB97_218
; %bb.217:                              ;   in Loop: Header=BB97_149 Depth=1
	buffer_load_dword v204, off, s[40:43], 0 offset:16 ; 4-byte Folded Reload
	buffer_load_dword v205, off, s[40:43], 0 offset:20 ; 4-byte Folded Reload
	;; [unrolled: 1-line block ×4, first 2 shown]
	s_waitcnt vmcnt(3)
	v_add_co_u32_e32 v204, vcc, v204, v4
	s_waitcnt vmcnt(2)
	v_addc_co_u32_e32 v205, vcc, v205, v5, vcc
	s_waitcnt vmcnt(1)
	v_add_co_u32_e32 v206, vcc, v206, v4
	s_waitcnt vmcnt(0)
	v_addc_co_u32_e32 v207, vcc, v207, v5, vcc
	global_load_ushort v206, v[206:207], off
	s_nop 0
	global_load_ushort v204, v[204:205], off
	s_waitcnt vmcnt(1)
	v_lshlrev_b32_e32 v205, 16, v206
	s_waitcnt vmcnt(0)
	v_lshlrev_b32_e32 v204, 16, v204
.LBB97_218:                             ;   in Loop: Header=BB97_149 Depth=1
	s_or_b64 exec, exec, s[0:1]
	s_waitcnt vmcnt(1)
	ds_bpermute_b32 v207, v145, v147
	s_waitcnt vmcnt(0)
	ds_bpermute_b32 v206, v145, v148
	s_mov_b64 s[0:1], 0
	s_waitcnt lgkmcnt(1)
	v_sub_f32_e32 v130, v130, v207
	ds_bpermute_b32 v207, v145, v147 offset:4
	v_mul_f32_e32 v130, v154, v130
	s_waitcnt lgkmcnt(1)
	v_fma_f32 v130, v130, v206, v146
	ds_bpermute_b32 v206, v145, v148 offset:4
	v_add_f32_e32 v154, v208, v154
	s_waitcnt lgkmcnt(1)
	v_sub_f32_e32 v160, v160, v207
	v_mul_f32_e32 v160, v159, v160
	v_add_f32_e32 v154, v154, v159
	s_waitcnt lgkmcnt(0)
	v_fmac_f32_e32 v130, v160, v206
	ds_bpermute_b32 v160, v145, v147 offset:8
	ds_bpermute_b32 v159, v145, v148 offset:8
	s_waitcnt lgkmcnt(1)
	v_sub_f32_e32 v133, v133, v160
	v_mul_f32_e32 v133, v161, v133
	s_waitcnt lgkmcnt(0)
	v_fmac_f32_e32 v130, v133, v159
	ds_bpermute_b32 v159, v145, v147 offset:12
	v_add_f32_e32 v133, v154, v161
	ds_bpermute_b32 v154, v145, v148 offset:12
	v_add_f32_e32 v133, v133, v163
	v_add_f32_e32 v133, v133, v165
	s_waitcnt lgkmcnt(1)
	v_sub_f32_e32 v159, v164, v159
	v_mul_f32_e32 v159, v163, v159
	s_waitcnt lgkmcnt(0)
	v_fmac_f32_e32 v130, v159, v154
	ds_bpermute_b32 v159, v145, v147 offset:16
	ds_bpermute_b32 v154, v145, v148 offset:16
	s_waitcnt lgkmcnt(1)
	v_sub_f32_e32 v134, v134, v159
	v_mul_f32_e32 v134, v165, v134
	s_waitcnt lgkmcnt(0)
	v_fmac_f32_e32 v130, v134, v154
	ds_bpermute_b32 v154, v145, v147 offset:20
	ds_bpermute_b32 v134, v145, v148 offset:20
	s_waitcnt lgkmcnt(1)
	v_sub_f32_e32 v2, v2, v154
	v_mul_f32_e32 v2, v167, v2
	s_waitcnt lgkmcnt(0)
	v_fmac_f32_e32 v130, v2, v134
	ds_bpermute_b32 v134, v145, v147 offset:24
	v_add_f32_e32 v2, v133, v167
	ds_bpermute_b32 v133, v145, v148 offset:24
	v_add_f32_e32 v2, v2, v168
	v_add_f32_e32 v2, v2, v169
	s_waitcnt lgkmcnt(1)
	v_sub_f32_e32 v134, v149, v134
	v_mul_f32_e32 v134, v168, v134
	s_waitcnt lgkmcnt(0)
	v_fmac_f32_e32 v130, v134, v133
	ds_bpermute_b32 v134, v145, v147 offset:28
	ds_bpermute_b32 v133, v145, v148 offset:28
	v_add_f32_e32 v2, v2, v171
	v_add_f32_e32 v2, v2, v172
	v_add_f32_e32 v2, v2, v174
	s_waitcnt lgkmcnt(1)
	v_sub_f32_e32 v134, v170, v134
	v_mul_f32_e32 v134, v169, v134
	s_waitcnt lgkmcnt(0)
	v_fmac_f32_e32 v130, v134, v133
	ds_bpermute_b32 v134, v145, v147 offset:32
	ds_bpermute_b32 v133, v145, v148 offset:32
	v_add_f32_e32 v2, v2, v175
	;; [unrolled: 10-line block ×8, first 2 shown]
	v_add_f32_e32 v2, v2, v203
	s_waitcnt lgkmcnt(1)
	v_sub_f32_e32 v134, v153, v134
	v_mul_f32_e32 v134, v179, v134
	s_waitcnt lgkmcnt(0)
	v_fmac_f32_e32 v130, v134, v133
	ds_bpermute_b32 v134, v145, v147 offset:60
	ds_bpermute_b32 v133, v145, v148 offset:60
	s_waitcnt lgkmcnt(1)
	v_sub_f32_e32 v134, v181, v134
	v_mul_f32_e32 v134, v180, v134
	s_waitcnt lgkmcnt(0)
	v_fmac_f32_e32 v130, v134, v133
	ds_bpermute_b32 v134, v145, v147 offset:64
	ds_bpermute_b32 v133, v145, v148 offset:64
	;; [unrolled: 7-line block ×17, first 2 shown]
	s_waitcnt lgkmcnt(1)
	v_sub_f32_e32 v134, v205, v134
	v_mul_f32_e32 v134, v204, v134
	s_waitcnt lgkmcnt(0)
	v_fmac_f32_e32 v130, v134, v133
	v_add_f32_e32 v133, v2, v204
.LBB97_219:                             ;   in Loop: Header=BB97_149 Depth=1
	s_and_b64 vcc, exec, s[0:1]
	s_cbranch_vccz .LBB97_225
; %bb.220:                              ;   in Loop: Header=BB97_149 Depth=1
	s_load_dword s0, s[2:3], 0x0
	buffer_load_dword v133, off, s[40:43], 0 offset:304 ; 4-byte Folded Reload
	buffer_load_dword v134, off, s[40:43], 0 offset:308 ; 4-byte Folded Reload
	v_mov_b32_e32 v2, 0
	s_waitcnt lgkmcnt(0)
	s_cmp_lt_u32 s6, s0
	s_cselect_b32 s0, 12, 18
	s_add_u32 s0, s2, s0
	s_addc_u32 s1, s3, 0
	s_waitcnt vmcnt(0)
	global_load_ushort v130, v134, s[0:1]
	s_nop 0
	buffer_load_dword v133, off, s[40:43], 0 offset:292 ; 4-byte Folded Reload
	buffer_load_dword v134, off, s[40:43], 0 offset:296 ; 4-byte Folded Reload
	;; [unrolled: 1-line block ×3, first 2 shown]
	s_waitcnt vmcnt(0)
	v_mad_u32_u24 v130, v133, v130, v134
	v_and_b32_e32 v130, 63, v130
	v_cmp_gt_u32_e32 vcc, 32, v130
	v_mov_b32_e32 v133, 0
	s_and_saveexec_b64 s[0:1], vcc
	s_cbranch_execz .LBB97_224
; %bb.221:                              ;   in Loop: Header=BB97_149 Depth=1
	v_add_co_u32_e32 v130, vcc, v131, v130
	v_addc_co_u32_e32 v131, vcc, 0, v132, vcc
	v_cmp_gt_i64_e32 vcc, s[12:13], v[130:131]
	v_mov_b32_e32 v133, 0
	v_mov_b32_e32 v2, 0
	s_and_saveexec_b64 s[18:19], vcc
	s_cbranch_execz .LBB97_223
; %bb.222:                              ;   in Loop: Header=BB97_149 Depth=1
	v_lshlrev_b64 v[130:131], 2, v[130:131]
	v_mov_b32_e32 v2, s23
	v_add_co_u32_e32 v137, vcc, s22, v130
	v_addc_co_u32_e32 v138, vcc, v2, v131, vcc
	v_mov_b32_e32 v2, s21
	v_add_co_u32_e32 v130, vcc, s20, v130
	v_addc_co_u32_e32 v131, vcc, v2, v131, vcc
	global_load_dword v133, v[130:131], off
	global_load_dword v2, v[137:138], off
.LBB97_223:                             ;   in Loop: Header=BB97_149 Depth=1
	s_or_b64 exec, exec, s[18:19]
.LBB97_224:                             ;   in Loop: Header=BB97_149 Depth=1
	s_or_b64 exec, exec, s[0:1]
	buffer_load_dword v130, off, s[40:43], 0 ; 4-byte Folded Reload
	buffer_load_dword v131, off, s[40:43], 0 offset:4 ; 4-byte Folded Reload
	s_waitcnt vmcnt(2)
	ds_bpermute_b32 v205, v145, v2
	s_waitcnt vmcnt(1)
	v_add_co_u32_e32 v130, vcc, v130, v4
	s_waitcnt vmcnt(0)
	v_addc_co_u32_e32 v131, vcc, v131, v5, vcc
	global_load_ushort v132, v[130:131], off
	s_nop 0
	buffer_load_dword v130, off, s[40:43], 0 offset:8 ; 4-byte Folded Reload
	buffer_load_dword v131, off, s[40:43], 0 offset:12 ; 4-byte Folded Reload
	s_waitcnt vmcnt(1)
	v_add_co_u32_e32 v130, vcc, v130, v4
	s_waitcnt vmcnt(0)
	v_addc_co_u32_e32 v131, vcc, v131, v5, vcc
	global_load_ushort v134, v[130:131], off
	v_add_co_u32_e32 v130, vcc, v6, v4
	v_addc_co_u32_e32 v131, vcc, v7, v5, vcc
	global_load_ushort v137, v[130:131], off
	v_add_co_u32_e32 v130, vcc, v68, v4
	;; [unrolled: 3-line block ×62, first 2 shown]
	v_addc_co_u32_e32 v131, vcc, v129, v5, vcc
	global_load_ushort v130, v[130:131], off
	v_lshlrev_b32_e32 v131, 16, v132
	s_waitcnt vmcnt(62)
	v_lshlrev_b32_e32 v132, 16, v134
	s_waitcnt vmcnt(61)
	;; [unrolled: 2-line block ×60, first 2 shown]
	v_lshlrev_b32_e32 v201, 16, v202
	ds_bpermute_b32 v202, v145, v133
	s_waitcnt vmcnt(2)
	v_lshlrev_b32_e32 v203, 16, v203
	s_waitcnt lgkmcnt(0)
	v_sub_f32_e32 v132, v132, v202
	ds_bpermute_b32 v202, v145, v133 offset:4
	v_mul_f32_e32 v132, v132, v131
	v_fmac_f32_e32 v146, v132, v205
	ds_bpermute_b32 v132, v145, v2 offset:4
	v_add_f32_e32 v131, v208, v131
	s_waitcnt lgkmcnt(1)
	v_sub_f32_e32 v137, v137, v202
	ds_bpermute_b32 v202, v145, v133 offset:8
	v_mul_f32_e32 v137, v137, v134
	s_waitcnt lgkmcnt(1)
	v_fmac_f32_e32 v146, v137, v132
	ds_bpermute_b32 v132, v145, v2 offset:8
	v_add_f32_e32 v131, v131, v134
	s_waitcnt lgkmcnt(1)
	v_sub_f32_e32 v134, v139, v202
	ds_bpermute_b32 v137, v145, v133 offset:12
	v_mul_f32_e32 v134, v134, v138
	s_waitcnt lgkmcnt(1)
	;; [unrolled: 8-line block ×27, first 2 shown]
	v_fmac_f32_e32 v146, v134, v132
	ds_bpermute_b32 v132, v145, v2 offset:112
	s_waitcnt vmcnt(0)
	v_lshlrev_b32_e32 v130, 16, v130
	s_waitcnt lgkmcnt(1)
	v_sub_f32_e32 v134, v198, v137
	ds_bpermute_b32 v137, v145, v133 offset:116
	v_mul_f32_e32 v134, v134, v197
	s_waitcnt lgkmcnt(1)
	v_fmac_f32_e32 v146, v134, v132
	ds_bpermute_b32 v132, v145, v2 offset:116
	v_add_f32_e32 v131, v131, v195
	s_waitcnt lgkmcnt(1)
	v_sub_f32_e32 v134, v200, v137
	ds_bpermute_b32 v137, v145, v133 offset:120
	v_mul_f32_e32 v134, v134, v199
	ds_bpermute_b32 v133, v145, v133 offset:124
	s_waitcnt lgkmcnt(2)
	v_fmac_f32_e32 v146, v134, v132
	ds_bpermute_b32 v132, v145, v2 offset:120
	ds_bpermute_b32 v2, v145, v2 offset:124
	s_waitcnt lgkmcnt(3)
	v_sub_f32_e32 v134, v203, v137
	v_lshlrev_b32_e32 v204, 16, v204
	v_add_f32_e32 v131, v131, v197
	v_mul_f32_e32 v134, v134, v201
	s_waitcnt lgkmcnt(2)
	v_sub_f32_e32 v130, v130, v133
	v_add_f32_e32 v131, v131, v199
	s_waitcnt lgkmcnt(1)
	v_fmac_f32_e32 v146, v134, v132
	v_mul_f32_e32 v130, v130, v204
	v_add_f32_e32 v131, v131, v201
	s_waitcnt lgkmcnt(0)
	v_fmac_f32_e32 v146, v130, v2
	v_add_f32_e32 v133, v131, v204
	v_mov_b32_e32 v130, v146
.LBB97_225:                             ;   in Loop: Header=BB97_149 Depth=1
	buffer_load_dword v2, off, s[40:43], 0  ; 4-byte Folded Reload
	buffer_load_dword v131, off, s[40:43], 0 offset:4 ; 4-byte Folded Reload
	s_add_u32 s16, s16, s7
	s_addc_u32 s17, s17, 0
	s_add_u32 s26, s26, s7
	s_addc_u32 s27, 0, s27
	s_waitcnt vmcnt(1)
	v_add_co_u32_e32 v2, vcc, s10, v2
	buffer_store_dword v2, off, s[40:43], 0 ; 4-byte Folded Spill
	v_mov_b32_e32 v2, s11
	s_waitcnt vmcnt(1)
	v_addc_co_u32_e32 v131, vcc, v131, v2, vcc
	buffer_store_dword v131, off, s[40:43], 0 offset:4 ; 4-byte Folded Spill
	buffer_load_dword v131, off, s[40:43], 0 offset:8 ; 4-byte Folded Reload
	s_waitcnt vmcnt(0)
	v_add_co_u32_e32 v131, vcc, s10, v131
	buffer_store_dword v131, off, s[40:43], 0 offset:8 ; 4-byte Folded Spill
	buffer_load_dword v131, off, s[40:43], 0 offset:12 ; 4-byte Folded Reload
	s_waitcnt vmcnt(0)
	v_addc_co_u32_e32 v131, vcc, v131, v2, vcc
	v_add_co_u32_e32 v135, vcc, s7, v135
	v_addc_co_u32_e32 v136, vcc, 0, v136, vcc
	v_add_co_u32_e32 v6, vcc, s10, v6
	;; [unrolled: 2-line block ×23, first 2 shown]
	v_addc_co_u32_e32 v49, vcc, v49, v2, vcc
	buffer_store_dword v131, off, s[40:43], 0 offset:12 ; 4-byte Folded Spill
	v_add_co_u32_e32 v50, vcc, s10, v50
	buffer_load_dword v131, off, s[40:43], 0 offset:16 ; 4-byte Folded Reload
	v_addc_co_u32_e32 v51, vcc, v51, v2, vcc
	v_add_co_u32_e32 v52, vcc, s10, v52
	v_addc_co_u32_e32 v53, vcc, v53, v2, vcc
	v_add_co_u32_e32 v54, vcc, s10, v54
	;; [unrolled: 2-line block ×39, first 2 shown]
	v_addc_co_u32_e32 v129, vcc, v129, v2, vcc
	s_waitcnt vmcnt(0)
	v_add_co_u32_e32 v131, vcc, s10, v131
	buffer_store_dword v131, off, s[40:43], 0 offset:16 ; 4-byte Folded Spill
	buffer_load_dword v131, off, s[40:43], 0 offset:20 ; 4-byte Folded Reload
	s_waitcnt vmcnt(0)
	v_addc_co_u32_e32 v131, vcc, v131, v2, vcc
	buffer_store_dword v131, off, s[40:43], 0 offset:20 ; 4-byte Folded Spill
	buffer_load_dword v131, off, s[40:43], 0 offset:24 ; 4-byte Folded Reload
	s_waitcnt vmcnt(0)
	v_add_co_u32_e32 v131, vcc, s10, v131
	buffer_store_dword v131, off, s[40:43], 0 offset:24 ; 4-byte Folded Spill
	buffer_load_dword v131, off, s[40:43], 0 offset:28 ; 4-byte Folded Reload
	s_waitcnt vmcnt(0)
	v_addc_co_u32_e32 v131, vcc, v131, v2, vcc
	buffer_store_dword v131, off, s[40:43], 0 offset:28 ; 4-byte Folded Spill
	buffer_load_dword v131, off, s[40:43], 0 offset:32 ; 4-byte Folded Reload
	;; [unrolled: 8-line block ×34, first 2 shown]
	s_waitcnt vmcnt(0)
	v_add_co_u32_e32 v131, vcc, s10, v131
	v_addc_co_u32_e32 v209, vcc, v209, v2, vcc
	v_add_co_u32_e32 v210, vcc, s10, v210
	v_addc_co_u32_e32 v211, vcc, v211, v2, vcc
	;; [unrolled: 2-line block ×27, first 2 shown]
	buffer_store_dword v131, off, s[40:43], 0 offset:288 ; 4-byte Folded Spill
	v_add_co_u32_e32 v143, vcc, s10, v143
	v_mov_b32_e32 v132, s13
	v_addc_co_u32_e32 v144, vcc, v144, v2, vcc
	v_mov_b32_e32 v131, s12
	v_cmp_ge_i64_e32 vcc, s[16:17], v[131:132]
	s_cbranch_vccnz .LBB97_227
; %bb.226:                              ;   in Loop: Header=BB97_149 Depth=1
	v_mov_b32_e32 v208, v133
	v_mov_b32_e32 v146, v130
	s_branch .LBB97_149
.LBB97_227:
	buffer_load_dword v1, off, s[40:43], 0 offset:292 ; 4-byte Folded Reload
	buffer_load_dword v2, off, s[40:43], 0 offset:296 ; 4-byte Folded Reload
	;; [unrolled: 1-line block ×3, first 2 shown]
.LBB97_228:
	s_mov_b32 s7, 0
	s_lshl_b64 s[0:1], s[6:7], 6
	s_waitcnt vmcnt(0)
	v_or_b32_e32 v4, s0, v0
	v_mov_b32_e32 v5, s1
	v_cmp_gt_i64_e32 vcc, s[14:15], v[4:5]
	s_and_saveexec_b64 s[0:1], vcc
	s_cbranch_execz .LBB97_233
; %bb.229:
	s_load_dword s0, s[4:5], 0x4c
	v_mov_b32_e32 v2, 0
	v_mov_b32_e32 v0, s8
	s_waitcnt lgkmcnt(0)
	s_lshr_b32 s0, s0, 16
	v_mad_u64_u32 v[2:3], s[0:1], s0, v0, v[1:2]
	s_load_dwordx4 s[0:3], s[4:5], 0x30
	v_lshlrev_b64 v[0:1], 1, v[4:5]
	v_mul_lo_u32 v3, v3, s14
	v_mul_lo_u32 v6, v2, s15
	s_waitcnt lgkmcnt(0)
	s_cmp_eq_u64 s[0:1], 0
	s_cbranch_scc1 .LBB97_231
; %bb.230:
	v_bfe_u32 v4, v130, 16, 1
	s_movk_i32 s4, 0x7fff
	v_add3_u32 v7, v130, v4, s4
	v_mad_u64_u32 v[4:5], s[4:5], v2, s14, 0
	v_cmp_o_f32_e32 vcc, v130, v130
	v_mov_b32_e32 v8, 0x7fc0
	v_add3_u32 v5, v5, v6, v3
	v_lshlrev_b64 v[4:5], 1, v[4:5]
	v_cndmask_b32_sdwa v7, v8, v7, vcc dst_sel:DWORD dst_unused:UNUSED_PAD src0_sel:DWORD src1_sel:WORD_1
	v_mov_b32_e32 v8, s1
	v_add_co_u32_e32 v4, vcc, s0, v4
	v_addc_co_u32_e32 v5, vcc, v8, v5, vcc
	v_add_co_u32_e32 v4, vcc, v4, v0
	v_addc_co_u32_e32 v5, vcc, v5, v1, vcc
	global_store_short v[4:5], v7, off
.LBB97_231:
	s_cmp_eq_u64 s[2:3], 0
	s_cbranch_scc1 .LBB97_233
; %bb.232:
	v_bfe_u32 v4, v133, 16, 1
	s_movk_i32 s0, 0x7fff
	v_add3_u32 v7, v133, v4, s0
	v_mad_u64_u32 v[4:5], s[0:1], v2, s14, 0
	v_cmp_o_f32_e32 vcc, v133, v133
	v_mov_b32_e32 v2, 0x7fc0
	v_add3_u32 v5, v5, v6, v3
	v_cndmask_b32_sdwa v7, v2, v7, vcc dst_sel:DWORD dst_unused:UNUSED_PAD src0_sel:DWORD src1_sel:WORD_1
	v_lshlrev_b64 v[2:3], 1, v[4:5]
	v_mov_b32_e32 v4, s3
	v_add_co_u32_e32 v2, vcc, s2, v2
	v_addc_co_u32_e32 v3, vcc, v4, v3, vcc
	v_add_co_u32_e32 v0, vcc, v2, v0
	v_addc_co_u32_e32 v1, vcc, v3, v1, vcc
	global_store_short v[0:1], v7, off
.LBB97_233:
	s_endpgm
	.section	.rodata,"a",@progbits
	.p2align	6, 0x0
	.amdhsa_kernel _ZN2at6native12_GLOBAL__N_135GammaBetaBackwardCUDAKernelTemplateIN3c108BFloat16EfLj64ELj1ELj32ELb1ELb0ELb0EEEvllPKT_S7_PKT0_SA_PS5_SB_
		.amdhsa_group_segment_fixed_size 0
		.amdhsa_private_segment_fixed_size 316
		.amdhsa_kernarg_size 320
		.amdhsa_user_sgpr_count 6
		.amdhsa_user_sgpr_private_segment_buffer 1
		.amdhsa_user_sgpr_dispatch_ptr 0
		.amdhsa_user_sgpr_queue_ptr 0
		.amdhsa_user_sgpr_kernarg_segment_ptr 1
		.amdhsa_user_sgpr_dispatch_id 0
		.amdhsa_user_sgpr_flat_scratch_init 0
		.amdhsa_user_sgpr_private_segment_size 0
		.amdhsa_uses_dynamic_stack 0
		.amdhsa_system_sgpr_private_segment_wavefront_offset 1
		.amdhsa_system_sgpr_workgroup_id_x 1
		.amdhsa_system_sgpr_workgroup_id_y 1
		.amdhsa_system_sgpr_workgroup_id_z 0
		.amdhsa_system_sgpr_workgroup_info 0
		.amdhsa_system_vgpr_workitem_id 1
		.amdhsa_next_free_vgpr 256
		.amdhsa_next_free_sgpr 44
		.amdhsa_reserve_vcc 1
		.amdhsa_reserve_flat_scratch 0
		.amdhsa_float_round_mode_32 0
		.amdhsa_float_round_mode_16_64 0
		.amdhsa_float_denorm_mode_32 3
		.amdhsa_float_denorm_mode_16_64 3
		.amdhsa_dx10_clamp 1
		.amdhsa_ieee_mode 1
		.amdhsa_fp16_overflow 0
		.amdhsa_exception_fp_ieee_invalid_op 0
		.amdhsa_exception_fp_denorm_src 0
		.amdhsa_exception_fp_ieee_div_zero 0
		.amdhsa_exception_fp_ieee_overflow 0
		.amdhsa_exception_fp_ieee_underflow 0
		.amdhsa_exception_fp_ieee_inexact 0
		.amdhsa_exception_int_div_zero 0
	.end_amdhsa_kernel
	.section	.text._ZN2at6native12_GLOBAL__N_135GammaBetaBackwardCUDAKernelTemplateIN3c108BFloat16EfLj64ELj1ELj32ELb1ELb0ELb0EEEvllPKT_S7_PKT0_SA_PS5_SB_,"axG",@progbits,_ZN2at6native12_GLOBAL__N_135GammaBetaBackwardCUDAKernelTemplateIN3c108BFloat16EfLj64ELj1ELj32ELb1ELb0ELb0EEEvllPKT_S7_PKT0_SA_PS5_SB_,comdat
.Lfunc_end97:
	.size	_ZN2at6native12_GLOBAL__N_135GammaBetaBackwardCUDAKernelTemplateIN3c108BFloat16EfLj64ELj1ELj32ELb1ELb0ELb0EEEvllPKT_S7_PKT0_SA_PS5_SB_, .Lfunc_end97-_ZN2at6native12_GLOBAL__N_135GammaBetaBackwardCUDAKernelTemplateIN3c108BFloat16EfLj64ELj1ELj32ELb1ELb0ELb0EEEvllPKT_S7_PKT0_SA_PS5_SB_
                                        ; -- End function
	.set _ZN2at6native12_GLOBAL__N_135GammaBetaBackwardCUDAKernelTemplateIN3c108BFloat16EfLj64ELj1ELj32ELb1ELb0ELb0EEEvllPKT_S7_PKT0_SA_PS5_SB_.num_vgpr, 256
	.set _ZN2at6native12_GLOBAL__N_135GammaBetaBackwardCUDAKernelTemplateIN3c108BFloat16EfLj64ELj1ELj32ELb1ELb0ELb0EEEvllPKT_S7_PKT0_SA_PS5_SB_.num_agpr, 0
	.set _ZN2at6native12_GLOBAL__N_135GammaBetaBackwardCUDAKernelTemplateIN3c108BFloat16EfLj64ELj1ELj32ELb1ELb0ELb0EEEvllPKT_S7_PKT0_SA_PS5_SB_.numbered_sgpr, 44
	.set _ZN2at6native12_GLOBAL__N_135GammaBetaBackwardCUDAKernelTemplateIN3c108BFloat16EfLj64ELj1ELj32ELb1ELb0ELb0EEEvllPKT_S7_PKT0_SA_PS5_SB_.num_named_barrier, 0
	.set _ZN2at6native12_GLOBAL__N_135GammaBetaBackwardCUDAKernelTemplateIN3c108BFloat16EfLj64ELj1ELj32ELb1ELb0ELb0EEEvllPKT_S7_PKT0_SA_PS5_SB_.private_seg_size, 316
	.set _ZN2at6native12_GLOBAL__N_135GammaBetaBackwardCUDAKernelTemplateIN3c108BFloat16EfLj64ELj1ELj32ELb1ELb0ELb0EEEvllPKT_S7_PKT0_SA_PS5_SB_.uses_vcc, 1
	.set _ZN2at6native12_GLOBAL__N_135GammaBetaBackwardCUDAKernelTemplateIN3c108BFloat16EfLj64ELj1ELj32ELb1ELb0ELb0EEEvllPKT_S7_PKT0_SA_PS5_SB_.uses_flat_scratch, 0
	.set _ZN2at6native12_GLOBAL__N_135GammaBetaBackwardCUDAKernelTemplateIN3c108BFloat16EfLj64ELj1ELj32ELb1ELb0ELb0EEEvllPKT_S7_PKT0_SA_PS5_SB_.has_dyn_sized_stack, 0
	.set _ZN2at6native12_GLOBAL__N_135GammaBetaBackwardCUDAKernelTemplateIN3c108BFloat16EfLj64ELj1ELj32ELb1ELb0ELb0EEEvllPKT_S7_PKT0_SA_PS5_SB_.has_recursion, 0
	.set _ZN2at6native12_GLOBAL__N_135GammaBetaBackwardCUDAKernelTemplateIN3c108BFloat16EfLj64ELj1ELj32ELb1ELb0ELb0EEEvllPKT_S7_PKT0_SA_PS5_SB_.has_indirect_call, 0
	.section	.AMDGPU.csdata,"",@progbits
; Kernel info:
; codeLenInByte = 26776
; TotalNumSgprs: 48
; NumVgprs: 256
; ScratchSize: 316
; MemoryBound: 0
; FloatMode: 240
; IeeeMode: 1
; LDSByteSize: 0 bytes/workgroup (compile time only)
; SGPRBlocks: 5
; VGPRBlocks: 63
; NumSGPRsForWavesPerEU: 48
; NumVGPRsForWavesPerEU: 256
; Occupancy: 1
; WaveLimiterHint : 0
; COMPUTE_PGM_RSRC2:SCRATCH_EN: 1
; COMPUTE_PGM_RSRC2:USER_SGPR: 6
; COMPUTE_PGM_RSRC2:TRAP_HANDLER: 0
; COMPUTE_PGM_RSRC2:TGID_X_EN: 1
; COMPUTE_PGM_RSRC2:TGID_Y_EN: 1
; COMPUTE_PGM_RSRC2:TGID_Z_EN: 0
; COMPUTE_PGM_RSRC2:TIDIG_COMP_CNT: 1
	.section	.text._ZN2at6native12_GLOBAL__N_135GammaBetaBackwardCUDAKernelTemplateIN3c108BFloat16EfLj64ELj1ELj8ELb1ELb1ELb0EEEvllPKT_S7_PKT0_SA_PS5_SB_,"axG",@progbits,_ZN2at6native12_GLOBAL__N_135GammaBetaBackwardCUDAKernelTemplateIN3c108BFloat16EfLj64ELj1ELj8ELb1ELb1ELb0EEEvllPKT_S7_PKT0_SA_PS5_SB_,comdat
	.globl	_ZN2at6native12_GLOBAL__N_135GammaBetaBackwardCUDAKernelTemplateIN3c108BFloat16EfLj64ELj1ELj8ELb1ELb1ELb0EEEvllPKT_S7_PKT0_SA_PS5_SB_ ; -- Begin function _ZN2at6native12_GLOBAL__N_135GammaBetaBackwardCUDAKernelTemplateIN3c108BFloat16EfLj64ELj1ELj8ELb1ELb1ELb0EEEvllPKT_S7_PKT0_SA_PS5_SB_
	.p2align	8
	.type	_ZN2at6native12_GLOBAL__N_135GammaBetaBackwardCUDAKernelTemplateIN3c108BFloat16EfLj64ELj1ELj8ELb1ELb1ELb0EEEvllPKT_S7_PKT0_SA_PS5_SB_,@function
_ZN2at6native12_GLOBAL__N_135GammaBetaBackwardCUDAKernelTemplateIN3c108BFloat16EfLj64ELj1ELj8ELb1ELb1ELb0EEEvllPKT_S7_PKT0_SA_PS5_SB_: ; @_ZN2at6native12_GLOBAL__N_135GammaBetaBackwardCUDAKernelTemplateIN3c108BFloat16EfLj64ELj1ELj8ELb1ELb1ELb0EEEvllPKT_S7_PKT0_SA_PS5_SB_
; %bb.0:
	s_load_dwordx4 s[16:19], s[4:5], 0x0
	s_lshl_b32 s24, s7, 3
	s_mov_b32 s25, 0
	v_mov_b32_e32 v2, s24
	v_mov_b32_e32 v3, s25
	s_waitcnt lgkmcnt(0)
	v_cmp_gt_i64_e32 vcc, s[16:17], v[2:3]
	s_mov_b32 s2, s7
	s_cbranch_vccnz .LBB98_2
; %bb.1:
	s_add_u32 s26, s4, 64
	s_addc_u32 s27, s5, 0
	s_mov_b64 s[0:1], 0
	s_branch .LBB98_3
.LBB98_2:
	s_mov_b64 s[0:1], -1
                                        ; implicit-def: $sgpr26_sgpr27
.LBB98_3:
	s_load_dwordx4 s[20:23], s[4:5], 0x30
	v_mov_b32_e32 v7, 0
	s_andn2_b64 vcc, exec, s[0:1]
	v_mov_b32_e32 v6, 0
	s_cbranch_vccnz .LBB98_10
; %bb.4:
	v_mbcnt_lo_u32_b32 v4, -1, 0
	v_lshlrev_b32_e32 v3, 3, v1
	v_mbcnt_hi_u32_b32 v4, -1, v4
	s_load_dword s0, s[4:5], 0x4c
	s_load_dword s3, s[4:5], 0x44
	s_load_dwordx8 s[8:15], s[4:5], 0x10
	s_add_u32 s26, s4, 64
	v_lshlrev_b32_e32 v4, 2, v4
	v_add_co_u32_e32 v3, vcc, s24, v3
	s_addc_u32 s27, s5, 0
	v_and_b32_e32 v8, 0x100, v4
	v_addc_co_u32_e64 v4, s[4:5], 0, 0, vcc
	v_mul_lo_u32 v7, s19, v3
	v_mul_lo_u32 v18, s18, v4
	v_mad_u64_u32 v[16:17], s[4:5], s18, v3, 0
	s_waitcnt lgkmcnt(0)
	s_and_b32 s0, s0, 0xffff
	v_mad_u32_u24 v2, v1, s0, v0
	v_and_b32_e32 v2, 63, v2
	v_cmp_gt_u32_e64 s[0:1], 8, v2
	v_mov_b32_e32 v6, 0
	v_lshl_or_b32 v5, s6, 6, v0
	v_add_co_u32_e32 v2, vcc, v3, v2
	v_add3_u32 v17, v17, v18, v7
	v_addc_co_u32_e32 v3, vcc, 0, v4, vcc
	v_lshlrev_b64 v[16:17], 1, v[16:17]
	v_lshlrev_b64 v[4:5], 1, v[5:6]
	s_lshl_b32 s28, s3, 3
	v_add_co_u32_e32 v16, vcc, v16, v4
	s_mul_i32 s3, s19, s28
	s_mul_hi_u32 s4, s18, s28
	s_mov_b32 s29, 0
	v_addc_co_u32_e32 v17, vcc, v17, v5, vcc
	v_lshlrev_b64 v[4:5], 2, v[2:3]
	s_add_i32 s5, s4, s3
	s_mul_i32 s4, s18, s28
	v_or_b32_e32 v9, 4, v8
	v_or_b32_e32 v10, 8, v8
	;; [unrolled: 1-line block ×7, first 2 shown]
	s_lshl_b64 s[30:31], s[28:29], 2
	s_lshl_b64 s[34:35], s[4:5], 1
	;; [unrolled: 1-line block ×3, first 2 shown]
	v_mov_b32_e32 v7, v6
	s_branch .LBB98_7
.LBB98_5:                               ;   in Loop: Header=BB98_7 Depth=1
	s_or_b64 exec, exec, s[38:39]
.LBB98_6:                               ;   in Loop: Header=BB98_7 Depth=1
	s_or_b64 exec, exec, s[4:5]
	v_mov_b32_e32 v21, s11
	v_add_co_u32_e32 v20, vcc, s10, v16
	v_addc_co_u32_e32 v21, vcc, v21, v17, vcc
	global_load_ushort v27, v[20:21], off
	v_mov_b32_e32 v26, s37
	v_add_co_u32_e32 v22, vcc, s36, v20
	v_addc_co_u32_e32 v23, vcc, v21, v26, vcc
	v_mov_b32_e32 v21, s9
	v_add_co_u32_e32 v20, vcc, s8, v16
	v_addc_co_u32_e32 v21, vcc, v21, v17, vcc
	v_add_co_u32_e32 v24, vcc, s36, v20
	global_load_ushort v20, v[20:21], off
	v_addc_co_u32_e32 v25, vcc, v21, v26, vcc
	s_add_u32 s24, s24, s28
	s_addc_u32 s25, s25, 0
	v_add_co_u32_e64 v16, s[4:5], s34, v16
	s_waitcnt vmcnt(1)
	v_lshlrev_b32_e32 v21, 16, v27
	ds_bpermute_b32 v27, v8, v19
	s_waitcnt lgkmcnt(0)
	v_sub_f32_e32 v21, v21, v27
	global_load_ushort v27, v[22:23], off
	s_waitcnt vmcnt(1)
	v_lshlrev_b32_e32 v20, 16, v20
	v_add_f32_e32 v6, v6, v20
	v_mul_f32_e32 v20, v21, v20
	ds_bpermute_b32 v21, v8, v18
	s_waitcnt lgkmcnt(0)
	v_fmac_f32_e32 v7, v20, v21
	v_add_co_u32_e32 v20, vcc, s36, v22
	v_addc_co_u32_e32 v21, vcc, v23, v26, vcc
	global_load_ushort v28, v[20:21], off
	v_add_co_u32_e32 v22, vcc, s36, v24
	global_load_ushort v24, v[24:25], off
	v_addc_co_u32_e32 v23, vcc, v25, v26, vcc
	s_waitcnt vmcnt(2)
	v_lshlrev_b32_e32 v25, 16, v27
	ds_bpermute_b32 v27, v9, v19
	s_waitcnt lgkmcnt(0)
	v_sub_f32_e32 v25, v25, v27
	s_waitcnt vmcnt(0)
	v_lshlrev_b32_e32 v27, 16, v24
	v_mul_f32_e32 v24, v25, v27
	ds_bpermute_b32 v25, v9, v18
	v_add_f32_e32 v6, v6, v27
	s_waitcnt lgkmcnt(0)
	v_fmac_f32_e32 v7, v24, v25
	v_add_co_u32_e32 v24, vcc, s36, v20
	v_addc_co_u32_e32 v25, vcc, v21, v26, vcc
	v_add_co_u32_e32 v20, vcc, s36, v22
	global_load_ushort v22, v[22:23], off
	v_addc_co_u32_e32 v21, vcc, v23, v26, vcc
	v_lshlrev_b32_e32 v23, 16, v28
	ds_bpermute_b32 v28, v10, v19
	global_load_ushort v29, v[24:25], off
	s_waitcnt lgkmcnt(0)
	v_sub_f32_e32 v23, v23, v28
	s_waitcnt vmcnt(1)
	v_lshlrev_b32_e32 v28, 16, v22
	v_mul_f32_e32 v22, v23, v28
	ds_bpermute_b32 v23, v10, v18
	v_add_f32_e32 v6, v6, v28
	s_waitcnt lgkmcnt(0)
	v_fmac_f32_e32 v7, v22, v23
	v_add_co_u32_e32 v22, vcc, s36, v24
	v_addc_co_u32_e32 v23, vcc, v25, v26, vcc
	global_load_ushort v30, v[22:23], off
	v_add_co_u32_e32 v24, vcc, s36, v20
	global_load_ushort v20, v[20:21], off
	v_addc_co_u32_e32 v25, vcc, v21, v26, vcc
	s_waitcnt vmcnt(2)
	v_lshlrev_b32_e32 v21, 16, v29
	ds_bpermute_b32 v29, v11, v19
	s_waitcnt lgkmcnt(0)
	v_sub_f32_e32 v21, v21, v29
	s_waitcnt vmcnt(0)
	v_lshlrev_b32_e32 v29, 16, v20
	v_mul_f32_e32 v20, v21, v29
	ds_bpermute_b32 v21, v11, v18
	v_add_f32_e32 v6, v6, v29
	s_waitcnt lgkmcnt(0)
	v_fmac_f32_e32 v7, v20, v21
	v_add_co_u32_e32 v20, vcc, s36, v22
	v_addc_co_u32_e32 v21, vcc, v23, v26, vcc
	global_load_ushort v31, v[20:21], off
	v_add_co_u32_e32 v22, vcc, s36, v24
	global_load_ushort v24, v[24:25], off
	v_addc_co_u32_e32 v23, vcc, v25, v26, vcc
	v_lshlrev_b32_e32 v25, 16, v30
	ds_bpermute_b32 v30, v12, v19
	s_waitcnt lgkmcnt(0)
	v_sub_f32_e32 v25, v25, v30
	s_waitcnt vmcnt(0)
	v_lshlrev_b32_e32 v30, 16, v24
	v_mul_f32_e32 v24, v25, v30
	ds_bpermute_b32 v25, v12, v18
	v_add_f32_e32 v6, v6, v30
	s_waitcnt lgkmcnt(0)
	v_fmac_f32_e32 v7, v24, v25
	v_add_co_u32_e32 v24, vcc, s36, v20
	v_addc_co_u32_e32 v25, vcc, v21, v26, vcc
	v_add_co_u32_e32 v20, vcc, s36, v22
	global_load_ushort v22, v[22:23], off
	v_addc_co_u32_e32 v21, vcc, v23, v26, vcc
	v_lshlrev_b32_e32 v23, 16, v31
	ds_bpermute_b32 v31, v13, v19
	global_load_ushort v32, v[24:25], off
	s_waitcnt lgkmcnt(0)
	v_sub_f32_e32 v23, v23, v31
	s_waitcnt vmcnt(1)
	v_lshlrev_b32_e32 v31, 16, v22
	v_mul_f32_e32 v22, v23, v31
	ds_bpermute_b32 v23, v13, v18
	v_add_f32_e32 v6, v6, v31
	s_waitcnt lgkmcnt(0)
	v_fmac_f32_e32 v7, v22, v23
	v_add_co_u32_e32 v22, vcc, s36, v24
	v_addc_co_u32_e32 v23, vcc, v25, v26, vcc
	v_add_co_u32_e32 v24, vcc, s36, v20
	global_load_ushort v20, v[20:21], off
	v_addc_co_u32_e32 v25, vcc, v21, v26, vcc
	ds_bpermute_b32 v26, v14, v19
	s_waitcnt vmcnt(1)
	v_lshlrev_b32_e32 v21, 16, v32
	ds_bpermute_b32 v19, v15, v19
	v_add_co_u32_e32 v4, vcc, s30, v4
	s_waitcnt lgkmcnt(1)
	v_sub_f32_e32 v21, v21, v26
	ds_bpermute_b32 v26, v14, v18
	ds_bpermute_b32 v18, v15, v18
	s_waitcnt vmcnt(0)
	v_lshlrev_b32_e32 v20, 16, v20
	v_mul_f32_e32 v21, v21, v20
	s_waitcnt lgkmcnt(1)
	v_fmac_f32_e32 v7, v21, v26
	global_load_ushort v21, v[24:25], off
	global_load_ushort v26, v[22:23], off
	v_add_f32_e32 v6, v6, v20
	s_waitcnt vmcnt(1)
	v_lshlrev_b32_e32 v20, 16, v21
	s_waitcnt vmcnt(0)
	v_lshlrev_b32_e32 v21, 16, v26
	v_sub_f32_e32 v19, v21, v19
	v_mul_f32_e32 v19, v19, v20
	s_waitcnt lgkmcnt(0)
	v_fmac_f32_e32 v7, v19, v18
	v_mov_b32_e32 v18, s31
	v_addc_co_u32_e32 v5, vcc, v5, v18, vcc
	v_add_co_u32_e32 v2, vcc, s28, v2
	v_mov_b32_e32 v19, s17
	v_addc_co_u32_e32 v3, vcc, 0, v3, vcc
	v_mov_b32_e32 v18, s16
	v_cmp_lt_i64_e32 vcc, s[24:25], v[18:19]
	v_add_f32_e32 v6, v6, v20
	v_mov_b32_e32 v20, s35
	v_addc_co_u32_e64 v17, s[4:5], v17, v20, s[4:5]
	s_cbranch_vccz .LBB98_10
.LBB98_7:                               ; =>This Inner Loop Header: Depth=1
	v_mov_b32_e32 v18, 0
	v_mov_b32_e32 v19, 0
	s_and_saveexec_b64 s[4:5], s[0:1]
	s_cbranch_execz .LBB98_6
; %bb.8:                                ;   in Loop: Header=BB98_7 Depth=1
	v_cmp_gt_i64_e32 vcc, s[16:17], v[2:3]
	v_mov_b32_e32 v19, 0
	v_mov_b32_e32 v18, 0
	s_and_saveexec_b64 s[38:39], vcc
	s_cbranch_execz .LBB98_5
; %bb.9:                                ;   in Loop: Header=BB98_7 Depth=1
	v_mov_b32_e32 v18, s15
	v_add_co_u32_e32 v20, vcc, s14, v4
	v_addc_co_u32_e32 v21, vcc, v18, v5, vcc
	v_mov_b32_e32 v18, s13
	v_add_co_u32_e32 v22, vcc, s12, v4
	v_addc_co_u32_e32 v23, vcc, v18, v5, vcc
	global_load_dword v19, v[22:23], off
	global_load_dword v18, v[20:21], off
	s_branch .LBB98_5
.LBB98_10:
	s_load_dword s0, s[26:27], 0xc
	v_mov_b32_e32 v2, 0
	v_mov_b32_e32 v3, s2
	s_mov_b32 s7, 0
	s_waitcnt lgkmcnt(0)
	s_lshr_b32 s0, s0, 16
	v_mad_u64_u32 v[2:3], s[0:1], s0, v3, v[1:2]
	s_lshl_b64 s[0:1], s[6:7], 6
	v_or_b32_e32 v0, s0, v0
	v_mul_lo_u32 v3, v3, s18
	v_mul_lo_u32 v4, v2, s19
	v_mov_b32_e32 v1, s1
	v_lshlrev_b64 v[0:1], 1, v[0:1]
	s_cmp_eq_u64 s[20:21], 0
	s_cbranch_scc1 .LBB98_12
; %bb.11:
	v_bfe_u32 v5, v7, 16, 1
	s_movk_i32 s0, 0x7fff
	v_add3_u32 v5, v7, v5, s0
	v_cmp_o_f32_e32 vcc, v7, v7
	v_mad_u64_u32 v[7:8], s[0:1], v2, s18, 0
	v_mov_b32_e32 v9, 0x7fc0
	v_cndmask_b32_sdwa v5, v9, v5, vcc dst_sel:DWORD dst_unused:UNUSED_PAD src0_sel:DWORD src1_sel:WORD_1
	v_add3_u32 v8, v8, v4, v3
	v_lshlrev_b64 v[7:8], 1, v[7:8]
	v_mov_b32_e32 v9, s21
	v_add_co_u32_e32 v7, vcc, s20, v7
	v_addc_co_u32_e32 v8, vcc, v9, v8, vcc
	v_add_co_u32_e32 v7, vcc, v7, v0
	v_addc_co_u32_e32 v8, vcc, v8, v1, vcc
	global_store_short v[7:8], v5, off
.LBB98_12:
	s_cmp_eq_u64 s[22:23], 0
	s_cbranch_scc1 .LBB98_14
; %bb.13:
	v_bfe_u32 v5, v6, 16, 1
	s_movk_i32 s0, 0x7fff
	v_add3_u32 v7, v6, v5, s0
	v_cmp_o_f32_e32 vcc, v6, v6
	v_mad_u64_u32 v[5:6], s[0:1], v2, s18, 0
	v_mov_b32_e32 v2, 0x7fc0
	v_cndmask_b32_sdwa v7, v2, v7, vcc dst_sel:DWORD dst_unused:UNUSED_PAD src0_sel:DWORD src1_sel:WORD_1
	v_add3_u32 v6, v6, v4, v3
	v_lshlrev_b64 v[2:3], 1, v[5:6]
	v_mov_b32_e32 v4, s23
	v_add_co_u32_e32 v2, vcc, s22, v2
	v_addc_co_u32_e32 v3, vcc, v4, v3, vcc
	v_add_co_u32_e32 v0, vcc, v2, v0
	v_addc_co_u32_e32 v1, vcc, v3, v1, vcc
	global_store_short v[0:1], v7, off
.LBB98_14:
	s_endpgm
	.section	.rodata,"a",@progbits
	.p2align	6, 0x0
	.amdhsa_kernel _ZN2at6native12_GLOBAL__N_135GammaBetaBackwardCUDAKernelTemplateIN3c108BFloat16EfLj64ELj1ELj8ELb1ELb1ELb0EEEvllPKT_S7_PKT0_SA_PS5_SB_
		.amdhsa_group_segment_fixed_size 0
		.amdhsa_private_segment_fixed_size 0
		.amdhsa_kernarg_size 320
		.amdhsa_user_sgpr_count 6
		.amdhsa_user_sgpr_private_segment_buffer 1
		.amdhsa_user_sgpr_dispatch_ptr 0
		.amdhsa_user_sgpr_queue_ptr 0
		.amdhsa_user_sgpr_kernarg_segment_ptr 1
		.amdhsa_user_sgpr_dispatch_id 0
		.amdhsa_user_sgpr_flat_scratch_init 0
		.amdhsa_user_sgpr_private_segment_size 0
		.amdhsa_uses_dynamic_stack 0
		.amdhsa_system_sgpr_private_segment_wavefront_offset 0
		.amdhsa_system_sgpr_workgroup_id_x 1
		.amdhsa_system_sgpr_workgroup_id_y 1
		.amdhsa_system_sgpr_workgroup_id_z 0
		.amdhsa_system_sgpr_workgroup_info 0
		.amdhsa_system_vgpr_workitem_id 1
		.amdhsa_next_free_vgpr 33
		.amdhsa_next_free_sgpr 40
		.amdhsa_reserve_vcc 1
		.amdhsa_reserve_flat_scratch 0
		.amdhsa_float_round_mode_32 0
		.amdhsa_float_round_mode_16_64 0
		.amdhsa_float_denorm_mode_32 3
		.amdhsa_float_denorm_mode_16_64 3
		.amdhsa_dx10_clamp 1
		.amdhsa_ieee_mode 1
		.amdhsa_fp16_overflow 0
		.amdhsa_exception_fp_ieee_invalid_op 0
		.amdhsa_exception_fp_denorm_src 0
		.amdhsa_exception_fp_ieee_div_zero 0
		.amdhsa_exception_fp_ieee_overflow 0
		.amdhsa_exception_fp_ieee_underflow 0
		.amdhsa_exception_fp_ieee_inexact 0
		.amdhsa_exception_int_div_zero 0
	.end_amdhsa_kernel
	.section	.text._ZN2at6native12_GLOBAL__N_135GammaBetaBackwardCUDAKernelTemplateIN3c108BFloat16EfLj64ELj1ELj8ELb1ELb1ELb0EEEvllPKT_S7_PKT0_SA_PS5_SB_,"axG",@progbits,_ZN2at6native12_GLOBAL__N_135GammaBetaBackwardCUDAKernelTemplateIN3c108BFloat16EfLj64ELj1ELj8ELb1ELb1ELb0EEEvllPKT_S7_PKT0_SA_PS5_SB_,comdat
.Lfunc_end98:
	.size	_ZN2at6native12_GLOBAL__N_135GammaBetaBackwardCUDAKernelTemplateIN3c108BFloat16EfLj64ELj1ELj8ELb1ELb1ELb0EEEvllPKT_S7_PKT0_SA_PS5_SB_, .Lfunc_end98-_ZN2at6native12_GLOBAL__N_135GammaBetaBackwardCUDAKernelTemplateIN3c108BFloat16EfLj64ELj1ELj8ELb1ELb1ELb0EEEvllPKT_S7_PKT0_SA_PS5_SB_
                                        ; -- End function
	.set _ZN2at6native12_GLOBAL__N_135GammaBetaBackwardCUDAKernelTemplateIN3c108BFloat16EfLj64ELj1ELj8ELb1ELb1ELb0EEEvllPKT_S7_PKT0_SA_PS5_SB_.num_vgpr, 33
	.set _ZN2at6native12_GLOBAL__N_135GammaBetaBackwardCUDAKernelTemplateIN3c108BFloat16EfLj64ELj1ELj8ELb1ELb1ELb0EEEvllPKT_S7_PKT0_SA_PS5_SB_.num_agpr, 0
	.set _ZN2at6native12_GLOBAL__N_135GammaBetaBackwardCUDAKernelTemplateIN3c108BFloat16EfLj64ELj1ELj8ELb1ELb1ELb0EEEvllPKT_S7_PKT0_SA_PS5_SB_.numbered_sgpr, 40
	.set _ZN2at6native12_GLOBAL__N_135GammaBetaBackwardCUDAKernelTemplateIN3c108BFloat16EfLj64ELj1ELj8ELb1ELb1ELb0EEEvllPKT_S7_PKT0_SA_PS5_SB_.num_named_barrier, 0
	.set _ZN2at6native12_GLOBAL__N_135GammaBetaBackwardCUDAKernelTemplateIN3c108BFloat16EfLj64ELj1ELj8ELb1ELb1ELb0EEEvllPKT_S7_PKT0_SA_PS5_SB_.private_seg_size, 0
	.set _ZN2at6native12_GLOBAL__N_135GammaBetaBackwardCUDAKernelTemplateIN3c108BFloat16EfLj64ELj1ELj8ELb1ELb1ELb0EEEvllPKT_S7_PKT0_SA_PS5_SB_.uses_vcc, 1
	.set _ZN2at6native12_GLOBAL__N_135GammaBetaBackwardCUDAKernelTemplateIN3c108BFloat16EfLj64ELj1ELj8ELb1ELb1ELb0EEEvllPKT_S7_PKT0_SA_PS5_SB_.uses_flat_scratch, 0
	.set _ZN2at6native12_GLOBAL__N_135GammaBetaBackwardCUDAKernelTemplateIN3c108BFloat16EfLj64ELj1ELj8ELb1ELb1ELb0EEEvllPKT_S7_PKT0_SA_PS5_SB_.has_dyn_sized_stack, 0
	.set _ZN2at6native12_GLOBAL__N_135GammaBetaBackwardCUDAKernelTemplateIN3c108BFloat16EfLj64ELj1ELj8ELb1ELb1ELb0EEEvllPKT_S7_PKT0_SA_PS5_SB_.has_recursion, 0
	.set _ZN2at6native12_GLOBAL__N_135GammaBetaBackwardCUDAKernelTemplateIN3c108BFloat16EfLj64ELj1ELj8ELb1ELb1ELb0EEEvllPKT_S7_PKT0_SA_PS5_SB_.has_indirect_call, 0
	.section	.AMDGPU.csdata,"",@progbits
; Kernel info:
; codeLenInByte = 1476
; TotalNumSgprs: 44
; NumVgprs: 33
; ScratchSize: 0
; MemoryBound: 0
; FloatMode: 240
; IeeeMode: 1
; LDSByteSize: 0 bytes/workgroup (compile time only)
; SGPRBlocks: 5
; VGPRBlocks: 8
; NumSGPRsForWavesPerEU: 44
; NumVGPRsForWavesPerEU: 33
; Occupancy: 7
; WaveLimiterHint : 0
; COMPUTE_PGM_RSRC2:SCRATCH_EN: 0
; COMPUTE_PGM_RSRC2:USER_SGPR: 6
; COMPUTE_PGM_RSRC2:TRAP_HANDLER: 0
; COMPUTE_PGM_RSRC2:TGID_X_EN: 1
; COMPUTE_PGM_RSRC2:TGID_Y_EN: 1
; COMPUTE_PGM_RSRC2:TGID_Z_EN: 0
; COMPUTE_PGM_RSRC2:TIDIG_COMP_CNT: 1
	.section	.text._ZN2at6native12_GLOBAL__N_135GammaBetaBackwardCUDAKernelTemplateIN3c108BFloat16EfLj64ELj1ELj8ELb1ELb0ELb0EEEvllPKT_S7_PKT0_SA_PS5_SB_,"axG",@progbits,_ZN2at6native12_GLOBAL__N_135GammaBetaBackwardCUDAKernelTemplateIN3c108BFloat16EfLj64ELj1ELj8ELb1ELb0ELb0EEEvllPKT_S7_PKT0_SA_PS5_SB_,comdat
	.globl	_ZN2at6native12_GLOBAL__N_135GammaBetaBackwardCUDAKernelTemplateIN3c108BFloat16EfLj64ELj1ELj8ELb1ELb0ELb0EEEvllPKT_S7_PKT0_SA_PS5_SB_ ; -- Begin function _ZN2at6native12_GLOBAL__N_135GammaBetaBackwardCUDAKernelTemplateIN3c108BFloat16EfLj64ELj1ELj8ELb1ELb0ELb0EEEvllPKT_S7_PKT0_SA_PS5_SB_
	.p2align	8
	.type	_ZN2at6native12_GLOBAL__N_135GammaBetaBackwardCUDAKernelTemplateIN3c108BFloat16EfLj64ELj1ELj8ELb1ELb0ELb0EEEvllPKT_S7_PKT0_SA_PS5_SB_,@function
_ZN2at6native12_GLOBAL__N_135GammaBetaBackwardCUDAKernelTemplateIN3c108BFloat16EfLj64ELj1ELj8ELb1ELb0ELb0EEEvllPKT_S7_PKT0_SA_PS5_SB_: ; @_ZN2at6native12_GLOBAL__N_135GammaBetaBackwardCUDAKernelTemplateIN3c108BFloat16EfLj64ELj1ELj8ELb1ELb0ELb0EEEvllPKT_S7_PKT0_SA_PS5_SB_
; %bb.0:
	s_mov_b32 s8, s7
	s_load_dwordx8 s[12:19], s[4:5], 0x0
	s_load_dwordx4 s[20:23], s[4:5], 0x20
	s_lshl_b32 s24, s8, 3
	s_lshl_b32 s7, s6, 6
	s_mov_b32 s25, 0
	v_mov_b32_e32 v4, s24
	s_or_b32 s0, s7, 63
	v_mov_b32_e32 v5, s25
	v_mov_b32_e32 v2, s0
	;; [unrolled: 1-line block ×3, first 2 shown]
	s_waitcnt lgkmcnt(0)
	v_cmp_gt_i64_e64 s[0:1], s[12:13], v[4:5]
	v_cmp_le_i64_e32 vcc, s[14:15], v[2:3]
	v_cndmask_b32_e64 v2, 0, 1, s[0:1]
	v_cmp_ne_u32_e64 s[0:1], 1, v2
	s_cbranch_vccz .LBB99_49
; %bb.1:
	s_and_b64 vcc, exec, s[0:1]
	v_mov_b32_e32 v56, 0
	s_cbranch_vccnz .LBB99_50
; %bb.2:
	v_lshlrev_b32_e32 v23, 3, v1
	v_add_co_u32_e32 v9, vcc, s24, v23
	v_addc_co_u32_e64 v10, s[2:3], 0, 0, vcc
	v_mul_lo_u32 v7, s15, v9
	v_mul_lo_u32 v8, s14, v10
	v_mad_u64_u32 v[5:6], s[2:3], s14, v9, 0
	v_mov_b32_e32 v2, 0
	s_load_dword s9, s[4:5], 0x44
	v_add_u32_e32 v3, s7, v0
	v_mov_b32_e32 v4, v2
	v_add3_u32 v6, v6, v8, v7
	v_cmp_gt_i64_e64 s[2:3], s[14:15], v[3:4]
	v_lshlrev_b64 v[19:20], 1, v[3:4]
	v_lshlrev_b64 v[3:4], 1, v[5:6]
	s_add_u32 s26, s4, 64
	v_mov_b32_e32 v7, s17
	v_add_co_u32_e32 v25, vcc, s16, v3
	s_addc_u32 s27, s5, 0
	s_waitcnt lgkmcnt(0)
	s_lshl_b32 s9, s9, 3
	v_addc_co_u32_e32 v26, vcc, v7, v4, vcc
	s_mul_i32 s10, s15, s9
	s_mul_hi_u32 s11, s14, s9
	v_add_co_u32_e32 v7, vcc, 7, v9
	s_add_i32 s11, s11, s10
	s_mul_i32 s10, s14, s9
	v_addc_co_u32_e32 v8, vcc, 0, v10, vcc
	s_lshl_b64 s[28:29], s[10:11], 1
	v_mul_lo_u32 v12, s15, v7
	v_mul_lo_u32 v13, s14, v8
	v_mad_u64_u32 v[7:8], s[10:11], s14, v7, 0
	v_mov_b32_e32 v11, s19
	v_add_co_u32_e32 v27, vcc, s18, v3
	v_add3_u32 v8, v8, v13, v12
	v_addc_co_u32_e32 v28, vcc, v11, v4, vcc
	v_lshlrev_b64 v[3:4], 1, v[7:8]
	v_mov_b32_e32 v7, s17
	v_add_co_u32_e32 v29, vcc, s16, v3
	v_addc_co_u32_e32 v30, vcc, v7, v4, vcc
	v_add_co_u32_e32 v7, vcc, 6, v9
	v_addc_co_u32_e32 v8, vcc, 0, v10, vcc
	v_mul_lo_u32 v12, s15, v7
	v_mul_lo_u32 v13, s14, v8
	v_mad_u64_u32 v[7:8], s[10:11], s14, v7, 0
	v_add_co_u32_e32 v31, vcc, s18, v3
	v_add3_u32 v8, v8, v13, v12
	v_addc_co_u32_e32 v32, vcc, v11, v4, vcc
	v_lshlrev_b64 v[3:4], 1, v[7:8]
	v_mov_b32_e32 v7, s17
	v_add_co_u32_e32 v33, vcc, s16, v3
	v_addc_co_u32_e32 v34, vcc, v7, v4, vcc
	v_add_co_u32_e32 v7, vcc, 5, v9
	v_addc_co_u32_e32 v8, vcc, 0, v10, vcc
	v_mul_lo_u32 v12, s15, v7
	v_mul_lo_u32 v13, s14, v8
	v_mad_u64_u32 v[7:8], s[10:11], s14, v7, 0
	v_add_co_u32_e32 v35, vcc, s18, v3
	v_add3_u32 v8, v8, v13, v12
	v_addc_co_u32_e32 v36, vcc, v11, v4, vcc
	v_lshlrev_b64 v[3:4], 1, v[7:8]
	v_mov_b32_e32 v7, s17
	v_add_co_u32_e32 v37, vcc, s16, v3
	v_addc_co_u32_e32 v38, vcc, v7, v4, vcc
	v_add_co_u32_e32 v7, vcc, 4, v9
	v_addc_co_u32_e32 v8, vcc, 0, v10, vcc
	v_mul_lo_u32 v12, s15, v7
	v_mul_lo_u32 v13, s14, v8
	v_mad_u64_u32 v[7:8], s[10:11], s14, v7, 0
	v_add_co_u32_e32 v39, vcc, s18, v3
	v_add3_u32 v8, v8, v13, v12
	v_addc_co_u32_e32 v40, vcc, v11, v4, vcc
	v_lshlrev_b64 v[3:4], 1, v[7:8]
	v_mov_b32_e32 v7, s17
	v_add_co_u32_e32 v41, vcc, s16, v3
	v_addc_co_u32_e32 v42, vcc, v7, v4, vcc
	v_add_co_u32_e32 v7, vcc, 3, v9
	v_addc_co_u32_e32 v8, vcc, 0, v10, vcc
	v_mul_lo_u32 v12, s15, v7
	v_mul_lo_u32 v13, s14, v8
	v_mad_u64_u32 v[7:8], s[10:11], s14, v7, 0
	v_add_co_u32_e32 v43, vcc, s18, v3
	v_add3_u32 v8, v8, v13, v12
	v_addc_co_u32_e32 v44, vcc, v11, v4, vcc
	v_lshlrev_b64 v[3:4], 1, v[7:8]
	v_mov_b32_e32 v7, s17
	v_add_co_u32_e32 v45, vcc, s16, v3
	v_addc_co_u32_e32 v46, vcc, v7, v4, vcc
	v_add_co_u32_e32 v7, vcc, 2, v9
	v_addc_co_u32_e32 v8, vcc, 0, v10, vcc
	v_mul_lo_u32 v9, s15, v7
	v_mul_lo_u32 v10, s14, v8
	v_mad_u64_u32 v[7:8], s[10:11], s14, v7, 0
	v_add_co_u32_e32 v47, vcc, s18, v3
	v_add3_u32 v8, v8, v10, v9
	v_addc_co_u32_e32 v48, vcc, v11, v4, vcc
	v_lshlrev_b64 v[3:4], 1, v[7:8]
	v_mov_b32_e32 v7, s17
	v_add_co_u32_e32 v49, vcc, s16, v3
	v_addc_co_u32_e32 v50, vcc, v7, v4, vcc
	v_mov_b32_e32 v7, s19
	v_add_co_u32_e32 v51, vcc, s18, v3
	v_addc_co_u32_e32 v52, vcc, v7, v4, vcc
	;; [unrolled: 3-line block ×3, first 2 shown]
	v_lshlrev_b64 v[3:4], 1, v[3:4]
	v_mov_b32_e32 v5, s17
	v_add_co_u32_e32 v53, vcc, s16, v3
	v_addc_co_u32_e32 v54, vcc, v5, v4, vcc
	v_add_co_u32_e32 v55, vcc, s18, v3
	v_mbcnt_lo_u32_b32 v3, -1, 0
	v_mbcnt_hi_u32_b32 v3, -1, v3
	v_mov_b32_e32 v5, s19
	v_lshlrev_b32_e32 v3, 2, v3
	v_mov_b32_e32 v24, v2
	s_mov_b64 s[30:31], 7
	v_addc_co_u32_e32 v57, vcc, v5, v4, vcc
	v_and_b32_e32 v58, 0x100, v3
	v_mov_b32_e32 v56, 0
	v_mov_b32_e32 v59, 0
	s_mov_b64 s[34:35], s[24:25]
.LBB99_3:                               ; =>This Inner Loop Header: Depth=1
	s_add_u32 s10, s24, s30
	v_mov_b32_e32 v3, s12
	s_addc_u32 s11, 0, s31
	v_mov_b32_e32 v4, s13
	v_cmp_ge_i64_e32 vcc, s[10:11], v[3:4]
	v_add_co_u32_e64 v21, s[10:11], s24, v23
	v_addc_co_u32_e64 v22, s[10:11], 0, v24, s[10:11]
	s_mov_b64 s[10:11], -1
	s_and_b64 vcc, exec, vcc
                                        ; implicit-def: $vgpr3_vgpr4_vgpr5_vgpr6_vgpr7_vgpr8_vgpr9_vgpr10
                                        ; implicit-def: $vgpr60
                                        ; implicit-def: $vgpr11_vgpr12_vgpr13_vgpr14_vgpr15_vgpr16_vgpr17_vgpr18
                                        ; implicit-def: $vgpr4
                                        ; implicit-def: $vgpr3
                                        ; implicit-def: $vgpr5
	s_cbranch_vccz .LBB99_25
; %bb.4:                                ;   in Loop: Header=BB99_3 Depth=1
	s_load_dword s10, s[26:27], 0xc
	v_mov_b32_e32 v60, 0
	v_mov_b32_e32 v61, 0
	s_waitcnt lgkmcnt(0)
	s_and_b32 s10, s10, 0xffff
	v_mad_u32_u24 v3, v1, s10, v0
	v_and_b32_e32 v3, 63, v3
	v_cmp_gt_u32_e32 vcc, 8, v3
	s_and_saveexec_b64 s[10:11], vcc
	s_cbranch_execz .LBB99_8
; %bb.5:                                ;   in Loop: Header=BB99_3 Depth=1
	v_add_co_u32_e32 v3, vcc, v21, v3
	v_addc_co_u32_e32 v4, vcc, 0, v22, vcc
	v_cmp_gt_i64_e32 vcc, s[12:13], v[3:4]
	v_mov_b32_e32 v61, 0
	v_mov_b32_e32 v60, 0
	s_and_saveexec_b64 s[36:37], vcc
	s_cbranch_execz .LBB99_7
; %bb.6:                                ;   in Loop: Header=BB99_3 Depth=1
	v_lshlrev_b64 v[3:4], 2, v[3:4]
	v_mov_b32_e32 v6, s23
	v_add_co_u32_e32 v5, vcc, s22, v3
	v_addc_co_u32_e32 v6, vcc, v6, v4, vcc
	v_mov_b32_e32 v7, s21
	v_add_co_u32_e32 v3, vcc, s20, v3
	v_addc_co_u32_e32 v4, vcc, v7, v4, vcc
	global_load_dword v61, v[3:4], off
	global_load_dword v60, v[5:6], off
.LBB99_7:                               ;   in Loop: Header=BB99_3 Depth=1
	s_or_b64 exec, exec, s[36:37]
.LBB99_8:                               ;   in Loop: Header=BB99_3 Depth=1
	s_or_b64 exec, exec, s[10:11]
	v_mov_b32_e32 v9, v2
	v_cmp_gt_i64_e32 vcc, s[12:13], v[21:22]
	v_mov_b32_e32 v3, v2
	v_mov_b32_e32 v4, v2
	;; [unrolled: 1-line block ×15, first 2 shown]
	s_and_b64 s[36:37], s[2:3], vcc
	v_mov_b32_e32 v9, v8
	v_mov_b32_e32 v8, v7
	v_mov_b32_e32 v7, v6
	v_mov_b32_e32 v6, v5
	v_mov_b32_e32 v5, v4
	v_mov_b32_e32 v4, v3
	v_mov_b32_e32 v3, v2
	s_and_saveexec_b64 s[10:11], s[36:37]
	s_cbranch_execz .LBB99_10
; %bb.9:                                ;   in Loop: Header=BB99_3 Depth=1
	v_add_co_u32_e32 v3, vcc, v25, v19
	v_addc_co_u32_e32 v4, vcc, v26, v20, vcc
	global_load_ushort v11, v[3:4], off
	v_add_co_u32_e32 v3, vcc, v27, v19
	v_addc_co_u32_e32 v4, vcc, v28, v20, vcc
	global_load_ushort v18, v[3:4], off
	v_mov_b32_e32 v4, v2
	v_mov_b32_e32 v5, v2
	;; [unrolled: 1-line block ×13, first 2 shown]
	s_waitcnt vmcnt(1)
	v_lshlrev_b32_e32 v3, 16, v11
	s_waitcnt vmcnt(0)
	v_lshlrev_b32_e32 v11, 16, v18
	v_mov_b32_e32 v18, v2
.LBB99_10:                              ;   in Loop: Header=BB99_3 Depth=1
	s_or_b64 exec, exec, s[10:11]
	v_add_co_u32_e32 v62, vcc, 1, v21
	v_addc_co_u32_e32 v63, vcc, 0, v22, vcc
	v_cmp_gt_i64_e32 vcc, s[12:13], v[62:63]
	s_and_b64 s[36:37], s[2:3], vcc
	s_and_saveexec_b64 s[10:11], s[36:37]
	s_cbranch_execz .LBB99_12
; %bb.11:                               ;   in Loop: Header=BB99_3 Depth=1
	v_add_co_u32_e32 v62, vcc, v53, v19
	v_addc_co_u32_e32 v63, vcc, v54, v20, vcc
	global_load_ushort v4, v[62:63], off
	v_add_co_u32_e32 v62, vcc, v55, v19
	v_addc_co_u32_e32 v63, vcc, v57, v20, vcc
	global_load_ushort v12, v[62:63], off
	s_waitcnt vmcnt(1)
	v_lshlrev_b32_e32 v4, 16, v4
	s_waitcnt vmcnt(0)
	v_lshlrev_b32_e32 v12, 16, v12
.LBB99_12:                              ;   in Loop: Header=BB99_3 Depth=1
	s_or_b64 exec, exec, s[10:11]
	v_add_co_u32_e32 v62, vcc, 2, v21
	v_addc_co_u32_e32 v63, vcc, 0, v22, vcc
	v_cmp_gt_i64_e32 vcc, s[12:13], v[62:63]
	s_and_b64 s[36:37], s[2:3], vcc
	s_and_saveexec_b64 s[10:11], s[36:37]
	s_cbranch_execz .LBB99_14
; %bb.13:                               ;   in Loop: Header=BB99_3 Depth=1
	v_add_co_u32_e32 v62, vcc, v49, v19
	v_addc_co_u32_e32 v63, vcc, v50, v20, vcc
	global_load_ushort v5, v[62:63], off
	v_add_co_u32_e32 v62, vcc, v51, v19
	v_addc_co_u32_e32 v63, vcc, v52, v20, vcc
	global_load_ushort v13, v[62:63], off
	s_waitcnt vmcnt(1)
	v_lshlrev_b32_e32 v5, 16, v5
	s_waitcnt vmcnt(0)
	v_lshlrev_b32_e32 v13, 16, v13
.LBB99_14:                              ;   in Loop: Header=BB99_3 Depth=1
	;; [unrolled: 19-line block ×7, first 2 shown]
	s_or_b64 exec, exec, s[10:11]
	s_waitcnt vmcnt(1)
	ds_bpermute_b32 v62, v58, v61
	ds_bpermute_b32 v65, v58, v61 offset:4
	s_waitcnt vmcnt(0)
	ds_bpermute_b32 v63, v58, v60
	ds_bpermute_b32 v66, v58, v60 offset:4
	v_add_f32_e32 v64, v56, v3
	s_waitcnt lgkmcnt(3)
	v_sub_f32_e32 v11, v11, v62
	v_mul_f32_e32 v3, v3, v11
	s_waitcnt lgkmcnt(2)
	v_sub_f32_e32 v11, v12, v65
	ds_bpermute_b32 v12, v58, v61 offset:8
	s_waitcnt lgkmcnt(2)
	v_fma_f32 v3, v3, v63, v59
	v_mul_f32_e32 v11, v4, v11
	s_waitcnt lgkmcnt(1)
	v_fmac_f32_e32 v3, v11, v66
	ds_bpermute_b32 v11, v58, v60 offset:8
	s_waitcnt lgkmcnt(1)
	v_sub_f32_e32 v12, v13, v12
	ds_bpermute_b32 v13, v58, v61 offset:12
	v_mul_f32_e32 v12, v5, v12
	v_add_f32_e32 v4, v4, v64
	s_waitcnt lgkmcnt(1)
	v_fmac_f32_e32 v3, v12, v11
	ds_bpermute_b32 v11, v58, v60 offset:12
	v_add_f32_e32 v4, v5, v4
	s_waitcnt lgkmcnt(1)
	v_sub_f32_e32 v5, v14, v13
	ds_bpermute_b32 v12, v58, v61 offset:16
	v_mul_f32_e32 v5, v6, v5
	s_waitcnt lgkmcnt(1)
	v_fmac_f32_e32 v3, v5, v11
	ds_bpermute_b32 v5, v58, v60 offset:16
	v_add_f32_e32 v4, v6, v4
	s_waitcnt lgkmcnt(1)
	v_sub_f32_e32 v6, v15, v12
	ds_bpermute_b32 v11, v58, v61 offset:20
	v_mul_f32_e32 v6, v7, v6
	;; [unrolled: 8-line block ×3, first 2 shown]
	s_waitcnt lgkmcnt(1)
	v_fmac_f32_e32 v3, v6, v5
	ds_bpermute_b32 v6, v58, v60 offset:24
	v_add_f32_e32 v5, v8, v4
	ds_bpermute_b32 v60, v58, v60 offset:28
	ds_bpermute_b32 v4, v58, v61 offset:28
	s_waitcnt lgkmcnt(3)
	v_sub_f32_e32 v7, v17, v7
	v_mul_f32_e32 v7, v9, v7
	s_waitcnt lgkmcnt(2)
	v_fmac_f32_e32 v3, v7, v6
	v_add_f32_e32 v5, v9, v5
	s_mov_b64 s[10:11], 0
.LBB99_25:                              ;   in Loop: Header=BB99_3 Depth=1
	s_and_b64 vcc, exec, s[10:11]
	s_cbranch_vccz .LBB99_40
; %bb.26:                               ;   in Loop: Header=BB99_3 Depth=1
	s_load_dword s10, s[26:27], 0x0
	s_waitcnt lgkmcnt(0)
	v_mov_b32_e32 v60, 0
	v_mov_b32_e32 v61, 0
	s_cmp_lt_u32 s6, s10
	s_cselect_b32 s10, 12, 18
	s_add_u32 s10, s26, s10
	s_addc_u32 s11, s27, 0
	global_load_ushort v3, v2, s[10:11]
	s_waitcnt vmcnt(0)
	v_mad_u32_u24 v3, v1, v3, v0
	v_and_b32_e32 v3, 63, v3
	v_cmp_gt_u32_e32 vcc, 8, v3
	s_and_saveexec_b64 s[10:11], vcc
	s_cbranch_execz .LBB99_30
; %bb.27:                               ;   in Loop: Header=BB99_3 Depth=1
	v_add_co_u32_e32 v3, vcc, v21, v3
	v_addc_co_u32_e32 v4, vcc, 0, v22, vcc
	v_cmp_gt_i64_e32 vcc, s[12:13], v[3:4]
	v_mov_b32_e32 v61, 0
	v_mov_b32_e32 v60, 0
	s_and_saveexec_b64 s[36:37], vcc
	s_cbranch_execz .LBB99_29
; %bb.28:                               ;   in Loop: Header=BB99_3 Depth=1
	v_lshlrev_b64 v[3:4], 2, v[3:4]
	v_mov_b32_e32 v6, s23
	v_add_co_u32_e32 v5, vcc, s22, v3
	v_addc_co_u32_e32 v6, vcc, v6, v4, vcc
	v_mov_b32_e32 v7, s21
	v_add_co_u32_e32 v3, vcc, s20, v3
	v_addc_co_u32_e32 v4, vcc, v7, v4, vcc
	global_load_dword v61, v[3:4], off
	global_load_dword v60, v[5:6], off
.LBB99_29:                              ;   in Loop: Header=BB99_3 Depth=1
	s_or_b64 exec, exec, s[36:37]
.LBB99_30:                              ;   in Loop: Header=BB99_3 Depth=1
	s_or_b64 exec, exec, s[10:11]
	v_mov_b32_e32 v9, v2
	v_mov_b32_e32 v3, v2
	;; [unrolled: 1-line block ×23, first 2 shown]
	s_and_saveexec_b64 s[10:11], s[2:3]
	s_cbranch_execnz .LBB99_42
; %bb.31:                               ;   in Loop: Header=BB99_3 Depth=1
	s_or_b64 exec, exec, s[10:11]
	s_and_saveexec_b64 s[10:11], s[2:3]
	s_cbranch_execnz .LBB99_43
.LBB99_32:                              ;   in Loop: Header=BB99_3 Depth=1
	s_or_b64 exec, exec, s[10:11]
	s_and_saveexec_b64 s[10:11], s[2:3]
	s_cbranch_execnz .LBB99_44
.LBB99_33:                              ;   in Loop: Header=BB99_3 Depth=1
	s_or_b64 exec, exec, s[10:11]
	s_and_saveexec_b64 s[10:11], s[2:3]
	s_cbranch_execnz .LBB99_45
.LBB99_34:                              ;   in Loop: Header=BB99_3 Depth=1
	s_or_b64 exec, exec, s[10:11]
	s_and_saveexec_b64 s[10:11], s[2:3]
	s_cbranch_execnz .LBB99_46
.LBB99_35:                              ;   in Loop: Header=BB99_3 Depth=1
	s_or_b64 exec, exec, s[10:11]
	s_and_saveexec_b64 s[10:11], s[2:3]
	s_cbranch_execnz .LBB99_47
.LBB99_36:                              ;   in Loop: Header=BB99_3 Depth=1
	s_or_b64 exec, exec, s[10:11]
	s_and_saveexec_b64 s[10:11], s[2:3]
	s_cbranch_execnz .LBB99_48
.LBB99_37:                              ;   in Loop: Header=BB99_3 Depth=1
	s_or_b64 exec, exec, s[10:11]
	s_and_saveexec_b64 s[10:11], s[2:3]
	s_cbranch_execz .LBB99_39
.LBB99_38:                              ;   in Loop: Header=BB99_3 Depth=1
	v_add_co_u32_e32 v21, vcc, v29, v19
	v_addc_co_u32_e32 v22, vcc, v30, v20, vcc
	global_load_ushort v10, v[21:22], off
	v_add_co_u32_e32 v21, vcc, v31, v19
	v_addc_co_u32_e32 v22, vcc, v32, v20, vcc
	global_load_ushort v18, v[21:22], off
	s_waitcnt vmcnt(1)
	v_lshlrev_b32_e32 v10, 16, v10
	s_waitcnt vmcnt(0)
	v_lshlrev_b32_e32 v18, 16, v18
.LBB99_39:                              ;   in Loop: Header=BB99_3 Depth=1
	s_or_b64 exec, exec, s[10:11]
	s_waitcnt vmcnt(1)
	ds_bpermute_b32 v21, v58, v61
	s_waitcnt vmcnt(0)
	ds_bpermute_b32 v22, v58, v60
	ds_bpermute_b32 v62, v58, v61 offset:4
	ds_bpermute_b32 v63, v58, v60 offset:4
	v_add_f32_e32 v56, v56, v3
	s_waitcnt lgkmcnt(3)
	v_sub_f32_e32 v11, v11, v21
	v_mul_f32_e32 v3, v3, v11
	s_waitcnt lgkmcnt(2)
	v_fmac_f32_e32 v59, v3, v22
	s_waitcnt lgkmcnt(1)
	v_sub_f32_e32 v3, v12, v62
	ds_bpermute_b32 v11, v58, v61 offset:8
	v_mul_f32_e32 v3, v4, v3
	s_waitcnt lgkmcnt(1)
	v_fmac_f32_e32 v59, v3, v63
	ds_bpermute_b32 v3, v58, v60 offset:8
	ds_bpermute_b32 v12, v58, v61 offset:12
	s_waitcnt lgkmcnt(2)
	v_sub_f32_e32 v11, v13, v11
	v_mul_f32_e32 v11, v5, v11
	v_add_f32_e32 v4, v4, v56
	s_waitcnt lgkmcnt(1)
	v_fmac_f32_e32 v59, v11, v3
	ds_bpermute_b32 v3, v58, v60 offset:12
	v_add_f32_e32 v4, v5, v4
	s_waitcnt lgkmcnt(1)
	v_sub_f32_e32 v5, v14, v12
	ds_bpermute_b32 v11, v58, v61 offset:16
	v_mul_f32_e32 v5, v6, v5
	s_waitcnt lgkmcnt(1)
	v_fmac_f32_e32 v59, v5, v3
	ds_bpermute_b32 v3, v58, v60 offset:16
	v_add_f32_e32 v4, v6, v4
	s_waitcnt lgkmcnt(1)
	v_sub_f32_e32 v5, v15, v11
	ds_bpermute_b32 v6, v58, v61 offset:20
	v_mul_f32_e32 v5, v7, v5
	;; [unrolled: 8-line block ×3, first 2 shown]
	s_waitcnt lgkmcnt(1)
	v_fmac_f32_e32 v59, v5, v3
	ds_bpermute_b32 v5, v58, v60 offset:24
	v_add_f32_e32 v3, v8, v4
	ds_bpermute_b32 v60, v58, v60 offset:28
	ds_bpermute_b32 v4, v58, v61 offset:28
	s_waitcnt lgkmcnt(3)
	v_sub_f32_e32 v6, v17, v6
	v_mul_f32_e32 v6, v9, v6
	s_waitcnt lgkmcnt(2)
	v_fmac_f32_e32 v59, v6, v5
	v_add_f32_e32 v5, v9, v3
	v_mov_b32_e32 v3, v59
.LBB99_40:                              ;   in Loop: Header=BB99_3 Depth=1
	s_waitcnt lgkmcnt(0)
	v_sub_f32_e32 v4, v18, v4
	v_mul_f32_e32 v4, v10, v4
	v_fmac_f32_e32 v3, v4, v60
	v_mov_b32_e32 v4, s29
	v_add_co_u32_e32 v25, vcc, s28, v25
	v_addc_co_u32_e32 v26, vcc, v26, v4, vcc
	v_add_co_u32_e32 v27, vcc, s28, v27
	v_addc_co_u32_e32 v28, vcc, v28, v4, vcc
	;; [unrolled: 2-line block ×16, first 2 shown]
	v_add_f32_e32 v56, v5, v10
	s_add_u32 s34, s34, s9
	v_add_co_u32_e32 v23, vcc, s9, v23
	v_mov_b32_e32 v4, s12
	s_addc_u32 s35, s35, 0
	v_addc_co_u32_e32 v24, vcc, 0, v24, vcc
	v_mov_b32_e32 v5, s13
	v_cmp_lt_i64_e32 vcc, s[34:35], v[4:5]
	s_add_u32 s30, s30, s9
	s_addc_u32 s31, 0, s31
	s_cbranch_vccz .LBB99_50
; %bb.41:                               ;   in Loop: Header=BB99_3 Depth=1
	v_mov_b32_e32 v59, v3
	s_branch .LBB99_3
.LBB99_42:                              ;   in Loop: Header=BB99_3 Depth=1
	v_add_co_u32_e32 v3, vcc, v25, v19
	v_addc_co_u32_e32 v4, vcc, v26, v20, vcc
	global_load_ushort v11, v[3:4], off
	v_add_co_u32_e32 v3, vcc, v27, v19
	v_addc_co_u32_e32 v4, vcc, v28, v20, vcc
	global_load_ushort v18, v[3:4], off
	v_mov_b32_e32 v4, v2
	v_mov_b32_e32 v5, v2
	;; [unrolled: 1-line block ×13, first 2 shown]
	s_waitcnt vmcnt(1)
	v_lshlrev_b32_e32 v3, 16, v11
	s_waitcnt vmcnt(0)
	v_lshlrev_b32_e32 v11, 16, v18
	v_mov_b32_e32 v18, v2
	s_or_b64 exec, exec, s[10:11]
	s_and_saveexec_b64 s[10:11], s[2:3]
	s_cbranch_execz .LBB99_32
.LBB99_43:                              ;   in Loop: Header=BB99_3 Depth=1
	v_add_co_u32_e32 v21, vcc, v53, v19
	v_addc_co_u32_e32 v22, vcc, v54, v20, vcc
	global_load_ushort v4, v[21:22], off
	v_add_co_u32_e32 v21, vcc, v55, v19
	v_addc_co_u32_e32 v22, vcc, v57, v20, vcc
	global_load_ushort v12, v[21:22], off
	s_waitcnt vmcnt(1)
	v_lshlrev_b32_e32 v4, 16, v4
	s_waitcnt vmcnt(0)
	v_lshlrev_b32_e32 v12, 16, v12
	s_or_b64 exec, exec, s[10:11]
	s_and_saveexec_b64 s[10:11], s[2:3]
	s_cbranch_execz .LBB99_33
.LBB99_44:                              ;   in Loop: Header=BB99_3 Depth=1
	v_add_co_u32_e32 v21, vcc, v49, v19
	v_addc_co_u32_e32 v22, vcc, v50, v20, vcc
	global_load_ushort v5, v[21:22], off
	v_add_co_u32_e32 v21, vcc, v51, v19
	v_addc_co_u32_e32 v22, vcc, v52, v20, vcc
	global_load_ushort v13, v[21:22], off
	s_waitcnt vmcnt(1)
	v_lshlrev_b32_e32 v5, 16, v5
	s_waitcnt vmcnt(0)
	v_lshlrev_b32_e32 v13, 16, v13
	s_or_b64 exec, exec, s[10:11]
	s_and_saveexec_b64 s[10:11], s[2:3]
	s_cbranch_execz .LBB99_34
.LBB99_45:                              ;   in Loop: Header=BB99_3 Depth=1
	v_add_co_u32_e32 v21, vcc, v45, v19
	v_addc_co_u32_e32 v22, vcc, v46, v20, vcc
	global_load_ushort v6, v[21:22], off
	v_add_co_u32_e32 v21, vcc, v47, v19
	v_addc_co_u32_e32 v22, vcc, v48, v20, vcc
	global_load_ushort v14, v[21:22], off
	s_waitcnt vmcnt(1)
	v_lshlrev_b32_e32 v6, 16, v6
	s_waitcnt vmcnt(0)
	v_lshlrev_b32_e32 v14, 16, v14
	s_or_b64 exec, exec, s[10:11]
	s_and_saveexec_b64 s[10:11], s[2:3]
	s_cbranch_execz .LBB99_35
.LBB99_46:                              ;   in Loop: Header=BB99_3 Depth=1
	v_add_co_u32_e32 v21, vcc, v41, v19
	v_addc_co_u32_e32 v22, vcc, v42, v20, vcc
	global_load_ushort v7, v[21:22], off
	v_add_co_u32_e32 v21, vcc, v43, v19
	v_addc_co_u32_e32 v22, vcc, v44, v20, vcc
	global_load_ushort v15, v[21:22], off
	s_waitcnt vmcnt(1)
	v_lshlrev_b32_e32 v7, 16, v7
	s_waitcnt vmcnt(0)
	v_lshlrev_b32_e32 v15, 16, v15
	s_or_b64 exec, exec, s[10:11]
	s_and_saveexec_b64 s[10:11], s[2:3]
	s_cbranch_execz .LBB99_36
.LBB99_47:                              ;   in Loop: Header=BB99_3 Depth=1
	v_add_co_u32_e32 v21, vcc, v37, v19
	v_addc_co_u32_e32 v22, vcc, v38, v20, vcc
	global_load_ushort v8, v[21:22], off
	v_add_co_u32_e32 v21, vcc, v39, v19
	v_addc_co_u32_e32 v22, vcc, v40, v20, vcc
	global_load_ushort v16, v[21:22], off
	s_waitcnt vmcnt(1)
	v_lshlrev_b32_e32 v8, 16, v8
	s_waitcnt vmcnt(0)
	v_lshlrev_b32_e32 v16, 16, v16
	s_or_b64 exec, exec, s[10:11]
	s_and_saveexec_b64 s[10:11], s[2:3]
	s_cbranch_execz .LBB99_37
.LBB99_48:                              ;   in Loop: Header=BB99_3 Depth=1
	v_add_co_u32_e32 v21, vcc, v33, v19
	v_addc_co_u32_e32 v22, vcc, v34, v20, vcc
	global_load_ushort v9, v[21:22], off
	v_add_co_u32_e32 v21, vcc, v35, v19
	v_addc_co_u32_e32 v22, vcc, v36, v20, vcc
	global_load_ushort v17, v[21:22], off
	s_waitcnt vmcnt(1)
	v_lshlrev_b32_e32 v9, 16, v9
	s_waitcnt vmcnt(0)
	v_lshlrev_b32_e32 v17, 16, v17
	s_or_b64 exec, exec, s[10:11]
	s_and_saveexec_b64 s[10:11], s[2:3]
	s_cbranch_execnz .LBB99_38
	s_branch .LBB99_39
.LBB99_49:
                                        ; implicit-def: $vgpr3
                                        ; implicit-def: $vgpr56
	s_branch .LBB99_51
.LBB99_50:
	s_cbranch_execnz .LBB99_83
.LBB99_51:
	v_mov_b32_e32 v3, 0
	s_and_b64 vcc, exec, s[0:1]
	v_mov_b32_e32 v56, 0
	s_cbranch_vccnz .LBB99_83
; %bb.52:
	v_lshlrev_b32_e32 v51, 3, v1
	v_add_co_u32_e32 v8, vcc, s24, v51
	v_addc_co_u32_e64 v9, s[0:1], 0, 0, vcc
	v_mul_lo_u32 v4, s15, v8
	v_mul_lo_u32 v5, s14, v9
	v_mad_u64_u32 v[2:3], s[0:1], s14, v8, 0
	v_mov_b32_e32 v6, s17
	s_add_u32 s2, s4, 64
	v_add3_u32 v3, v3, v5, v4
	v_lshlrev_b64 v[4:5], 1, v[2:3]
	s_addc_u32 s3, s5, 0
	v_add_co_u32_e32 v52, vcc, s16, v4
	v_addc_co_u32_e32 v53, vcc, v6, v5, vcc
	v_mov_b32_e32 v6, s19
	v_add_co_u32_e32 v54, vcc, s18, v4
	v_addc_co_u32_e32 v55, vcc, v6, v5, vcc
	v_lshlrev_b32_e32 v4, 4, v1
	s_lshl_b64 s[0:1], s[24:25], 1
	v_mov_b32_e32 v5, s1
	v_add_co_u32_e32 v10, vcc, s0, v4
	v_addc_co_u32_e32 v11, vcc, 0, v5, vcc
	v_add_co_u32_e32 v12, vcc, 2, v10
	v_addc_co_u32_e32 v6, vcc, 0, v11, vcc
	v_mov_b32_e32 v4, s16
	v_mul_lo_u32 v14, s14, v6
	v_mov_b32_e32 v6, s18
	v_mov_b32_e32 v5, s17
	;; [unrolled: 1-line block ×3, first 2 shown]
	v_mad_u64_u32 v[19:20], s[0:1], s14, v12, v[4:5]
	v_mul_lo_u32 v15, s15, v12
	v_mad_u64_u32 v[21:22], s[0:1], s14, v12, v[6:7]
	v_add_co_u32_e32 v12, vcc, 4, v10
	v_addc_co_u32_e32 v16, vcc, 0, v11, vcc
	v_mov_b32_e32 v13, s15
	v_add_co_u32_e32 v2, vcc, s14, v2
	v_addc_co_u32_e32 v3, vcc, v3, v13, vcc
	v_mul_lo_u32 v17, s15, v12
	v_mad_u64_u32 v[23:24], s[0:1], s14, v12, v[4:5]
	v_mad_u64_u32 v[25:26], s[0:1], s14, v12, v[6:7]
	v_add_co_u32_e32 v12, vcc, 6, v10
	v_addc_co_u32_e32 v13, vcc, 0, v11, vcc
	v_add3_u32 v20, v15, v20, v14
	v_add3_u32 v22, v15, v22, v14
	v_mul_lo_u32 v13, s14, v13
	v_mul_lo_u32 v14, s15, v12
	v_mad_u64_u32 v[27:28], s[0:1], s14, v12, v[4:5]
	v_mad_u64_u32 v[29:30], s[0:1], s14, v12, v[6:7]
	v_add_co_u32_e32 v12, vcc, 8, v10
	v_mul_lo_u32 v16, s14, v16
	v_addc_co_u32_e32 v15, vcc, 0, v11, vcc
	v_mul_lo_u32 v18, s15, v12
	v_mad_u64_u32 v[31:32], s[0:1], s14, v12, v[4:5]
	v_mad_u64_u32 v[33:34], s[0:1], s14, v12, v[6:7]
	v_add_co_u32_e32 v12, vcc, 10, v10
	v_add3_u32 v28, v14, v28, v13
	v_add3_u32 v30, v14, v30, v13
	v_addc_co_u32_e32 v13, vcc, 0, v11, vcc
	v_mul_lo_u32 v14, s15, v12
	v_mad_u64_u32 v[35:36], s[0:1], s14, v12, v[4:5]
	v_mad_u64_u32 v[37:38], s[0:1], s14, v12, v[6:7]
	v_add_co_u32_e32 v12, vcc, 12, v10
	v_add3_u32 v24, v17, v24, v16
	v_add3_u32 v26, v17, v26, v16
	v_addc_co_u32_e32 v16, vcc, 0, v11, vcc
	v_add_co_u32_e32 v10, vcc, 14, v10
	v_addc_co_u32_e32 v11, vcc, 0, v11, vcc
	v_mad_u64_u32 v[39:40], s[0:1], s14, v12, v[4:5]
	v_mad_u64_u32 v[43:44], s[0:1], s14, v10, v[4:5]
	v_add_co_u32_e32 v4, vcc, 7, v8
	v_addc_co_u32_e32 v5, vcc, 0, v9, vcc
	v_mad_u64_u32 v[41:42], s[0:1], s14, v12, v[6:7]
	v_mad_u64_u32 v[45:46], s[0:1], s14, v10, v[6:7]
	v_mul_lo_u32 v6, s15, v10
	v_mul_lo_u32 v7, s14, v5
	;; [unrolled: 1-line block ×3, first 2 shown]
	v_mad_u64_u32 v[4:5], s[0:1], s14, v4, 0
	v_mul_lo_u32 v11, s14, v11
	v_mul_lo_u32 v17, s15, v12
	v_add3_u32 v5, v5, v7, v10
	v_lshlrev_b64 v[4:5], 1, v[4:5]
	v_add3_u32 v44, v6, v44, v11
	v_add3_u32 v46, v6, v46, v11
	v_mov_b32_e32 v6, s17
	v_add_co_u32_e32 v57, vcc, s16, v4
	v_addc_co_u32_e32 v58, vcc, v6, v5, vcc
	v_add_co_u32_e32 v6, vcc, 6, v8
	v_addc_co_u32_e32 v7, vcc, 0, v9, vcc
	v_mul_lo_u32 v11, s14, v7
	v_mul_lo_u32 v12, s15, v6
	v_mad_u64_u32 v[6:7], s[0:1], s14, v6, 0
	v_mov_b32_e32 v10, s19
	v_add_co_u32_e32 v59, vcc, s18, v4
	v_add3_u32 v7, v7, v11, v12
	v_addc_co_u32_e32 v60, vcc, v10, v5, vcc
	v_lshlrev_b64 v[4:5], 1, v[6:7]
	v_mov_b32_e32 v6, s17
	v_add_co_u32_e32 v61, vcc, s16, v4
	v_addc_co_u32_e32 v62, vcc, v6, v5, vcc
	v_add_co_u32_e32 v6, vcc, 5, v8
	v_addc_co_u32_e32 v7, vcc, 0, v9, vcc
	v_mul_lo_u32 v11, s14, v7
	v_mul_lo_u32 v12, s15, v6
	v_mad_u64_u32 v[6:7], s[0:1], s14, v6, 0
	v_add_co_u32_e32 v63, vcc, s18, v4
	v_add3_u32 v7, v7, v11, v12
	v_addc_co_u32_e32 v64, vcc, v10, v5, vcc
	v_lshlrev_b64 v[4:5], 1, v[6:7]
	v_mov_b32_e32 v6, s17
	v_add_co_u32_e32 v65, vcc, s16, v4
	v_addc_co_u32_e32 v66, vcc, v6, v5, vcc
	v_add_co_u32_e32 v6, vcc, 4, v8
	v_addc_co_u32_e32 v7, vcc, 0, v9, vcc
	v_mul_lo_u32 v11, s14, v7
	v_mul_lo_u32 v12, s15, v6
	v_mad_u64_u32 v[6:7], s[0:1], s14, v6, 0
	;; [unrolled: 12-line block ×4, first 2 shown]
	v_add_co_u32_e32 v75, vcc, s18, v4
	v_add3_u32 v7, v7, v8, v9
	v_addc_co_u32_e32 v76, vcc, v10, v5, vcc
	v_lshlrev_b64 v[4:5], 1, v[6:7]
	v_mov_b32_e32 v6, s17
	v_add_co_u32_e32 v77, vcc, s16, v4
	v_addc_co_u32_e32 v78, vcc, v6, v5, vcc
	v_mov_b32_e32 v6, s19
	v_add_co_u32_e32 v79, vcc, s18, v4
	v_lshlrev_b64 v[2:3], 1, v[2:3]
	v_addc_co_u32_e32 v80, vcc, v6, v5, vcc
	s_load_dword s0, s[4:5], 0x44
	v_mov_b32_e32 v4, s17
	v_add_co_u32_e32 v81, vcc, s16, v2
	v_addc_co_u32_e32 v82, vcc, v4, v3, vcc
	v_mov_b32_e32 v4, s19
	v_add_co_u32_e32 v83, vcc, s18, v2
	v_mov_b32_e32 v2, 0
	v_mul_lo_u32 v15, s14, v15
	v_mul_lo_u32 v13, s14, v13
	;; [unrolled: 1-line block ×3, first 2 shown]
	v_addc_co_u32_e32 v84, vcc, v4, v3, vcc
	v_add_u32_e32 v3, s7, v0
	v_mov_b32_e32 v4, v2
	s_waitcnt lgkmcnt(0)
	s_lshl_b32 s7, s0, 3
	v_lshlrev_b64 v[47:48], 1, v[3:4]
	v_mbcnt_lo_u32_b32 v3, -1, 0
	s_mul_i32 s0, s15, s7
	s_mul_hi_u32 s1, s14, s7
	v_mbcnt_hi_u32_b32 v3, -1, v3
	s_add_i32 s1, s1, s0
	s_mul_i32 s0, s14, s7
	v_lshlrev_b32_e32 v3, 2, v3
	v_add3_u32 v32, v18, v32, v15
	v_add3_u32 v34, v18, v34, v15
	;; [unrolled: 1-line block ×6, first 2 shown]
	s_lshl_b64 s[10:11], s[0:1], 1
	s_mov_b64 s[16:17], 7
	v_and_b32_e32 v85, 0x100, v3
	s_mov_b64 s[18:19], s[24:25]
	v_mov_b32_e32 v86, v2
	v_mov_b32_e32 v88, 0
	;; [unrolled: 1-line block ×3, first 2 shown]
.LBB99_53:                              ; =>This Inner Loop Header: Depth=1
	s_add_u32 s0, s24, s16
	v_mov_b32_e32 v3, s12
	s_addc_u32 s1, 0, s17
	v_mov_b32_e32 v4, s13
	v_cmp_ge_i64_e32 vcc, s[0:1], v[3:4]
	v_add_co_u32_e64 v49, s[0:1], s24, v51
	v_addc_co_u32_e64 v50, s[0:1], 0, v86, s[0:1]
	s_mov_b64 s[0:1], -1
                                        ; implicit-def: $vgpr56
                                        ; implicit-def: $vgpr3
	s_cbranch_vccz .LBB99_75
; %bb.54:                               ;   in Loop: Header=BB99_53 Depth=1
	s_load_dword s0, s[2:3], 0xc
	v_mov_b32_e32 v56, 0
	v_mov_b32_e32 v89, 0
	s_waitcnt lgkmcnt(0)
	s_and_b32 s0, s0, 0xffff
	v_mad_u32_u24 v3, v1, s0, v0
	v_and_b32_e32 v3, 63, v3
	v_cmp_gt_u32_e32 vcc, 8, v3
	s_and_saveexec_b64 s[0:1], vcc
	s_cbranch_execz .LBB99_58
; %bb.55:                               ;   in Loop: Header=BB99_53 Depth=1
	v_add_co_u32_e32 v3, vcc, v49, v3
	v_addc_co_u32_e32 v4, vcc, 0, v50, vcc
	v_cmp_gt_i64_e32 vcc, s[12:13], v[3:4]
	v_mov_b32_e32 v89, 0
	v_mov_b32_e32 v56, 0
	s_and_saveexec_b64 s[26:27], vcc
	s_cbranch_execz .LBB99_57
; %bb.56:                               ;   in Loop: Header=BB99_53 Depth=1
	v_lshlrev_b64 v[3:4], 2, v[3:4]
	v_mov_b32_e32 v6, s23
	v_add_co_u32_e32 v5, vcc, s22, v3
	v_addc_co_u32_e32 v6, vcc, v6, v4, vcc
	v_mov_b32_e32 v7, s21
	v_add_co_u32_e32 v3, vcc, s20, v3
	v_addc_co_u32_e32 v4, vcc, v7, v4, vcc
	global_load_dword v89, v[3:4], off
	global_load_dword v56, v[5:6], off
.LBB99_57:                              ;   in Loop: Header=BB99_53 Depth=1
	s_or_b64 exec, exec, s[26:27]
.LBB99_58:                              ;   in Loop: Header=BB99_53 Depth=1
	s_or_b64 exec, exec, s[0:1]
	v_mov_b32_e32 v9, v2
	v_mov_b32_e32 v3, v2
	;; [unrolled: 1-line block ×8, first 2 shown]
	v_cmp_gt_i64_e32 vcc, s[12:13], v[49:50]
	v_mov_b32_e32 v17, v8
	v_mov_b32_e32 v16, v7
	;; [unrolled: 1-line block ×15, first 2 shown]
	s_and_saveexec_b64 s[0:1], vcc
	s_cbranch_execz .LBB99_60
; %bb.59:                               ;   in Loop: Header=BB99_53 Depth=1
	v_add_co_u32_e32 v3, vcc, v52, v47
	v_addc_co_u32_e32 v4, vcc, v53, v48, vcc
	global_load_ushort v11, v[3:4], off
	v_add_co_u32_e32 v3, vcc, v54, v47
	v_addc_co_u32_e32 v4, vcc, v55, v48, vcc
	global_load_ushort v18, v[3:4], off
	v_mov_b32_e32 v4, v2
	v_mov_b32_e32 v5, v2
	;; [unrolled: 1-line block ×13, first 2 shown]
	s_waitcnt vmcnt(1)
	v_lshlrev_b32_e32 v3, 16, v11
	s_waitcnt vmcnt(0)
	v_lshlrev_b32_e32 v11, 16, v18
	v_mov_b32_e32 v18, v2
.LBB99_60:                              ;   in Loop: Header=BB99_53 Depth=1
	s_or_b64 exec, exec, s[0:1]
	v_add_co_u32_e32 v90, vcc, 1, v49
	v_addc_co_u32_e32 v91, vcc, 0, v50, vcc
	v_cmp_gt_i64_e32 vcc, s[12:13], v[90:91]
	s_and_saveexec_b64 s[0:1], vcc
	s_cbranch_execz .LBB99_62
; %bb.61:                               ;   in Loop: Header=BB99_53 Depth=1
	v_add_co_u32_e32 v90, vcc, v81, v47
	v_addc_co_u32_e32 v91, vcc, v82, v48, vcc
	global_load_ushort v4, v[90:91], off
	v_add_co_u32_e32 v90, vcc, v83, v47
	v_addc_co_u32_e32 v91, vcc, v84, v48, vcc
	global_load_ushort v12, v[90:91], off
	s_waitcnt vmcnt(1)
	v_lshlrev_b32_e32 v4, 16, v4
	s_waitcnt vmcnt(0)
	v_lshlrev_b32_e32 v12, 16, v12
.LBB99_62:                              ;   in Loop: Header=BB99_53 Depth=1
	s_or_b64 exec, exec, s[0:1]
	v_add_co_u32_e32 v90, vcc, 2, v49
	v_addc_co_u32_e32 v91, vcc, 0, v50, vcc
	v_cmp_gt_i64_e32 vcc, s[12:13], v[90:91]
	s_and_saveexec_b64 s[0:1], vcc
	s_cbranch_execz .LBB99_64
; %bb.63:                               ;   in Loop: Header=BB99_53 Depth=1
	v_add_co_u32_e32 v90, vcc, v77, v47
	v_addc_co_u32_e32 v91, vcc, v78, v48, vcc
	global_load_ushort v5, v[90:91], off
	v_add_co_u32_e32 v90, vcc, v79, v47
	v_addc_co_u32_e32 v91, vcc, v80, v48, vcc
	global_load_ushort v13, v[90:91], off
	s_waitcnt vmcnt(1)
	v_lshlrev_b32_e32 v5, 16, v5
	s_waitcnt vmcnt(0)
	v_lshlrev_b32_e32 v13, 16, v13
.LBB99_64:                              ;   in Loop: Header=BB99_53 Depth=1
	s_or_b64 exec, exec, s[0:1]
	v_add_co_u32_e32 v90, vcc, 3, v49
	v_addc_co_u32_e32 v91, vcc, 0, v50, vcc
	v_cmp_gt_i64_e32 vcc, s[12:13], v[90:91]
	s_and_saveexec_b64 s[0:1], vcc
	s_cbranch_execz .LBB99_66
; %bb.65:                               ;   in Loop: Header=BB99_53 Depth=1
	v_add_co_u32_e32 v90, vcc, v73, v47
	v_addc_co_u32_e32 v91, vcc, v74, v48, vcc
	global_load_ushort v6, v[90:91], off
	v_add_co_u32_e32 v90, vcc, v75, v47
	v_addc_co_u32_e32 v91, vcc, v76, v48, vcc
	global_load_ushort v14, v[90:91], off
	s_waitcnt vmcnt(1)
	v_lshlrev_b32_e32 v6, 16, v6
	s_waitcnt vmcnt(0)
	v_lshlrev_b32_e32 v14, 16, v14
.LBB99_66:                              ;   in Loop: Header=BB99_53 Depth=1
	s_or_b64 exec, exec, s[0:1]
	v_add_co_u32_e32 v90, vcc, 4, v49
	v_addc_co_u32_e32 v91, vcc, 0, v50, vcc
	v_cmp_gt_i64_e32 vcc, s[12:13], v[90:91]
	s_and_saveexec_b64 s[0:1], vcc
	s_cbranch_execz .LBB99_68
; %bb.67:                               ;   in Loop: Header=BB99_53 Depth=1
	v_add_co_u32_e32 v90, vcc, v69, v47
	v_addc_co_u32_e32 v91, vcc, v70, v48, vcc
	global_load_ushort v7, v[90:91], off
	v_add_co_u32_e32 v90, vcc, v71, v47
	v_addc_co_u32_e32 v91, vcc, v72, v48, vcc
	global_load_ushort v15, v[90:91], off
	s_waitcnt vmcnt(1)
	v_lshlrev_b32_e32 v7, 16, v7
	s_waitcnt vmcnt(0)
	v_lshlrev_b32_e32 v15, 16, v15
.LBB99_68:                              ;   in Loop: Header=BB99_53 Depth=1
	s_or_b64 exec, exec, s[0:1]
	v_add_co_u32_e32 v90, vcc, 5, v49
	v_addc_co_u32_e32 v91, vcc, 0, v50, vcc
	v_cmp_gt_i64_e32 vcc, s[12:13], v[90:91]
	s_and_saveexec_b64 s[0:1], vcc
	s_cbranch_execz .LBB99_70
; %bb.69:                               ;   in Loop: Header=BB99_53 Depth=1
	v_add_co_u32_e32 v90, vcc, v65, v47
	v_addc_co_u32_e32 v91, vcc, v66, v48, vcc
	global_load_ushort v8, v[90:91], off
	v_add_co_u32_e32 v90, vcc, v67, v47
	v_addc_co_u32_e32 v91, vcc, v68, v48, vcc
	global_load_ushort v16, v[90:91], off
	s_waitcnt vmcnt(1)
	v_lshlrev_b32_e32 v8, 16, v8
	s_waitcnt vmcnt(0)
	v_lshlrev_b32_e32 v16, 16, v16
.LBB99_70:                              ;   in Loop: Header=BB99_53 Depth=1
	s_or_b64 exec, exec, s[0:1]
	v_add_co_u32_e32 v90, vcc, 6, v49
	v_addc_co_u32_e32 v91, vcc, 0, v50, vcc
	v_cmp_gt_i64_e32 vcc, s[12:13], v[90:91]
	s_and_saveexec_b64 s[0:1], vcc
	s_cbranch_execz .LBB99_72
; %bb.71:                               ;   in Loop: Header=BB99_53 Depth=1
	v_add_co_u32_e32 v90, vcc, v61, v47
	v_addc_co_u32_e32 v91, vcc, v62, v48, vcc
	global_load_ushort v9, v[90:91], off
	v_add_co_u32_e32 v90, vcc, v63, v47
	v_addc_co_u32_e32 v91, vcc, v64, v48, vcc
	global_load_ushort v17, v[90:91], off
	s_waitcnt vmcnt(1)
	v_lshlrev_b32_e32 v9, 16, v9
	s_waitcnt vmcnt(0)
	v_lshlrev_b32_e32 v17, 16, v17
.LBB99_72:                              ;   in Loop: Header=BB99_53 Depth=1
	s_or_b64 exec, exec, s[0:1]
	v_add_co_u32_e32 v90, vcc, 7, v49
	v_addc_co_u32_e32 v91, vcc, 0, v50, vcc
	v_cmp_gt_i64_e32 vcc, s[12:13], v[90:91]
	s_and_saveexec_b64 s[0:1], vcc
	s_cbranch_execz .LBB99_74
; %bb.73:                               ;   in Loop: Header=BB99_53 Depth=1
	v_add_co_u32_e32 v90, vcc, v57, v47
	v_addc_co_u32_e32 v91, vcc, v58, v48, vcc
	global_load_ushort v10, v[90:91], off
	v_add_co_u32_e32 v90, vcc, v59, v47
	v_addc_co_u32_e32 v91, vcc, v60, v48, vcc
	global_load_ushort v18, v[90:91], off
	s_waitcnt vmcnt(1)
	v_lshlrev_b32_e32 v10, 16, v10
	s_waitcnt vmcnt(0)
	v_lshlrev_b32_e32 v18, 16, v18
.LBB99_74:                              ;   in Loop: Header=BB99_53 Depth=1
	s_or_b64 exec, exec, s[0:1]
	s_waitcnt vmcnt(1)
	ds_bpermute_b32 v90, v85, v89
	ds_bpermute_b32 v93, v85, v89 offset:4
	s_waitcnt vmcnt(0)
	ds_bpermute_b32 v91, v85, v56
	ds_bpermute_b32 v94, v85, v56 offset:4
	v_add_f32_e32 v92, v88, v3
	s_waitcnt lgkmcnt(3)
	v_sub_f32_e32 v11, v11, v90
	v_mul_f32_e32 v3, v3, v11
	s_waitcnt lgkmcnt(2)
	v_sub_f32_e32 v11, v12, v93
	ds_bpermute_b32 v12, v85, v89 offset:8
	s_waitcnt lgkmcnt(2)
	v_fma_f32 v3, v3, v91, v87
	v_mul_f32_e32 v11, v4, v11
	s_waitcnt lgkmcnt(1)
	v_fmac_f32_e32 v3, v11, v94
	ds_bpermute_b32 v11, v85, v56 offset:8
	s_waitcnt lgkmcnt(1)
	v_sub_f32_e32 v12, v13, v12
	ds_bpermute_b32 v13, v85, v89 offset:12
	v_mul_f32_e32 v12, v5, v12
	v_add_f32_e32 v4, v4, v92
	s_waitcnt lgkmcnt(1)
	v_fmac_f32_e32 v3, v12, v11
	ds_bpermute_b32 v11, v85, v56 offset:12
	v_add_f32_e32 v4, v5, v4
	s_waitcnt lgkmcnt(1)
	v_sub_f32_e32 v5, v14, v13
	ds_bpermute_b32 v12, v85, v89 offset:16
	v_mul_f32_e32 v5, v6, v5
	s_waitcnt lgkmcnt(1)
	v_fmac_f32_e32 v3, v5, v11
	ds_bpermute_b32 v5, v85, v56 offset:16
	v_add_f32_e32 v4, v6, v4
	s_waitcnt lgkmcnt(1)
	v_sub_f32_e32 v6, v15, v12
	ds_bpermute_b32 v11, v85, v89 offset:20
	v_mul_f32_e32 v6, v7, v6
	s_waitcnt lgkmcnt(1)
	v_fmac_f32_e32 v3, v6, v5
	ds_bpermute_b32 v5, v85, v56 offset:20
	v_add_f32_e32 v4, v7, v4
	ds_bpermute_b32 v7, v85, v89 offset:24
	s_waitcnt lgkmcnt(2)
	v_sub_f32_e32 v6, v16, v11
	v_mul_f32_e32 v6, v8, v6
	s_waitcnt lgkmcnt(1)
	v_fmac_f32_e32 v3, v6, v5
	ds_bpermute_b32 v5, v85, v56 offset:24
	s_waitcnt lgkmcnt(1)
	v_sub_f32_e32 v6, v17, v7
	ds_bpermute_b32 v7, v85, v89 offset:28
	v_add_f32_e32 v4, v8, v4
	ds_bpermute_b32 v8, v85, v56 offset:28
	v_mul_f32_e32 v6, v9, v6
	s_waitcnt lgkmcnt(2)
	v_fmac_f32_e32 v3, v6, v5
	s_waitcnt lgkmcnt(1)
	v_sub_f32_e32 v5, v18, v7
	v_add_f32_e32 v4, v9, v4
	v_mul_f32_e32 v5, v10, v5
	s_waitcnt lgkmcnt(0)
	v_fmac_f32_e32 v3, v5, v8
	v_add_f32_e32 v56, v10, v4
	s_mov_b64 s[0:1], 0
.LBB99_75:                              ;   in Loop: Header=BB99_53 Depth=1
	s_and_b64 vcc, exec, s[0:1]
	s_cbranch_vccz .LBB99_81
; %bb.76:                               ;   in Loop: Header=BB99_53 Depth=1
	s_load_dword s0, s[2:3], 0x0
	v_mov_b32_e32 v5, 0
	v_mov_b32_e32 v6, 0
	s_waitcnt lgkmcnt(0)
	s_cmp_lt_u32 s6, s0
	s_cselect_b32 s0, 12, 18
	s_add_u32 s0, s2, s0
	s_addc_u32 s1, s3, 0
	global_load_ushort v3, v2, s[0:1]
	s_waitcnt vmcnt(0)
	v_mad_u32_u24 v3, v1, v3, v0
	v_and_b32_e32 v3, 63, v3
	v_cmp_gt_u32_e32 vcc, 8, v3
	s_and_saveexec_b64 s[0:1], vcc
	s_cbranch_execz .LBB99_80
; %bb.77:                               ;   in Loop: Header=BB99_53 Depth=1
	v_add_co_u32_e32 v3, vcc, v49, v3
	v_addc_co_u32_e32 v4, vcc, 0, v50, vcc
	v_cmp_gt_i64_e32 vcc, s[12:13], v[3:4]
	v_mov_b32_e32 v6, 0
	v_mov_b32_e32 v5, 0
	s_and_saveexec_b64 s[26:27], vcc
	s_cbranch_execz .LBB99_79
; %bb.78:                               ;   in Loop: Header=BB99_53 Depth=1
	v_lshlrev_b64 v[3:4], 2, v[3:4]
	v_mov_b32_e32 v5, s23
	v_add_co_u32_e32 v7, vcc, s22, v3
	v_addc_co_u32_e32 v8, vcc, v5, v4, vcc
	v_mov_b32_e32 v5, s21
	v_add_co_u32_e32 v3, vcc, s20, v3
	v_addc_co_u32_e32 v4, vcc, v5, v4, vcc
	global_load_dword v6, v[3:4], off
	global_load_dword v5, v[7:8], off
.LBB99_79:                              ;   in Loop: Header=BB99_53 Depth=1
	s_or_b64 exec, exec, s[26:27]
.LBB99_80:                              ;   in Loop: Header=BB99_53 Depth=1
	s_or_b64 exec, exec, s[0:1]
	v_add_co_u32_e32 v3, vcc, v52, v47
	v_addc_co_u32_e32 v4, vcc, v53, v48, vcc
	global_load_ushort v7, v[3:4], off
	v_add_co_u32_e32 v3, vcc, v54, v47
	v_addc_co_u32_e32 v4, vcc, v55, v48, vcc
	global_load_ushort v8, v[3:4], off
	;; [unrolled: 3-line block ×16, first 2 shown]
	s_waitcnt vmcnt(16)
	ds_bpermute_b32 v89, v85, v5
	s_waitcnt vmcnt(15)
	v_lshlrev_b32_e32 v4, 16, v7
	s_waitcnt vmcnt(14)
	v_lshlrev_b32_e32 v7, 16, v8
	;; [unrolled: 2-line block ×13, first 2 shown]
	ds_bpermute_b32 v49, v85, v6
	s_waitcnt vmcnt(2)
	v_lshlrev_b32_e32 v50, 16, v50
	s_waitcnt lgkmcnt(0)
	v_sub_f32_e32 v7, v7, v49
	ds_bpermute_b32 v49, v85, v6 offset:4
	v_mul_f32_e32 v7, v7, v4
	v_fmac_f32_e32 v87, v7, v89
	ds_bpermute_b32 v7, v85, v5 offset:4
	v_add_f32_e32 v4, v88, v4
	s_waitcnt lgkmcnt(1)
	v_sub_f32_e32 v9, v9, v49
	ds_bpermute_b32 v49, v85, v6 offset:8
	v_mul_f32_e32 v9, v9, v8
	s_waitcnt lgkmcnt(1)
	v_fmac_f32_e32 v87, v9, v7
	ds_bpermute_b32 v7, v85, v5 offset:8
	v_add_f32_e32 v4, v4, v8
	s_waitcnt lgkmcnt(1)
	v_sub_f32_e32 v8, v11, v49
	ds_bpermute_b32 v9, v85, v6 offset:12
	v_mul_f32_e32 v8, v8, v10
	s_waitcnt lgkmcnt(1)
	;; [unrolled: 8-line block ×3, first 2 shown]
	v_fmac_f32_e32 v87, v8, v7
	ds_bpermute_b32 v7, v85, v5 offset:16
	s_waitcnt vmcnt(0)
	v_lshlrev_b32_e32 v3, 16, v3
	s_waitcnt lgkmcnt(1)
	v_sub_f32_e32 v8, v15, v9
	ds_bpermute_b32 v9, v85, v6 offset:20
	v_mul_f32_e32 v8, v8, v14
	s_waitcnt lgkmcnt(1)
	v_fmac_f32_e32 v87, v8, v7
	ds_bpermute_b32 v7, v85, v5 offset:20
	v_add_f32_e32 v4, v4, v12
	s_waitcnt lgkmcnt(1)
	v_sub_f32_e32 v8, v17, v9
	ds_bpermute_b32 v9, v85, v6 offset:24
	v_mul_f32_e32 v8, v8, v16
	ds_bpermute_b32 v6, v85, v6 offset:28
	s_waitcnt lgkmcnt(2)
	v_fmac_f32_e32 v87, v8, v7
	ds_bpermute_b32 v7, v85, v5 offset:24
	ds_bpermute_b32 v5, v85, v5 offset:28
	s_waitcnt lgkmcnt(3)
	v_sub_f32_e32 v8, v50, v9
	v_lshlrev_b32_e32 v56, 16, v56
	v_add_f32_e32 v4, v4, v14
	v_mul_f32_e32 v8, v8, v18
	s_waitcnt lgkmcnt(2)
	v_sub_f32_e32 v3, v3, v6
	v_add_f32_e32 v4, v4, v16
	s_waitcnt lgkmcnt(1)
	v_fmac_f32_e32 v87, v8, v7
	v_mul_f32_e32 v3, v3, v56
	v_add_f32_e32 v4, v4, v18
	s_waitcnt lgkmcnt(0)
	v_fmac_f32_e32 v87, v3, v5
	v_add_f32_e32 v56, v4, v56
	v_mov_b32_e32 v3, v87
.LBB99_81:                              ;   in Loop: Header=BB99_53 Depth=1
	v_mov_b32_e32 v4, s11
	v_add_co_u32_e32 v52, vcc, s10, v52
	v_addc_co_u32_e32 v53, vcc, v53, v4, vcc
	v_add_co_u32_e32 v54, vcc, s10, v54
	v_addc_co_u32_e32 v55, vcc, v55, v4, vcc
	v_add_co_u32_e32 v51, vcc, s7, v51
	v_addc_co_u32_e32 v86, vcc, 0, v86, vcc
	v_add_co_u32_e32 v19, vcc, s10, v19
	v_addc_co_u32_e32 v20, vcc, v20, v4, vcc
	v_add_co_u32_e32 v23, vcc, s10, v23
	v_addc_co_u32_e32 v24, vcc, v24, v4, vcc
	v_add_co_u32_e32 v27, vcc, s10, v27
	v_addc_co_u32_e32 v28, vcc, v28, v4, vcc
	v_add_co_u32_e32 v31, vcc, s10, v31
	v_addc_co_u32_e32 v32, vcc, v32, v4, vcc
	v_add_co_u32_e32 v35, vcc, s10, v35
	v_addc_co_u32_e32 v36, vcc, v36, v4, vcc
	v_add_co_u32_e32 v39, vcc, s10, v39
	v_addc_co_u32_e32 v40, vcc, v40, v4, vcc
	v_add_co_u32_e32 v43, vcc, s10, v43
	v_addc_co_u32_e32 v44, vcc, v44, v4, vcc
	v_add_co_u32_e32 v21, vcc, s10, v21
	v_addc_co_u32_e32 v22, vcc, v22, v4, vcc
	v_add_co_u32_e32 v25, vcc, s10, v25
	v_addc_co_u32_e32 v26, vcc, v26, v4, vcc
	v_add_co_u32_e32 v29, vcc, s10, v29
	v_addc_co_u32_e32 v30, vcc, v30, v4, vcc
	v_add_co_u32_e32 v33, vcc, s10, v33
	v_addc_co_u32_e32 v34, vcc, v34, v4, vcc
	v_add_co_u32_e32 v37, vcc, s10, v37
	v_addc_co_u32_e32 v38, vcc, v38, v4, vcc
	v_add_co_u32_e32 v41, vcc, s10, v41
	v_addc_co_u32_e32 v42, vcc, v42, v4, vcc
	v_add_co_u32_e32 v45, vcc, s10, v45
	v_addc_co_u32_e32 v46, vcc, v46, v4, vcc
	v_add_co_u32_e32 v57, vcc, s10, v57
	v_addc_co_u32_e32 v58, vcc, v58, v4, vcc
	v_add_co_u32_e32 v59, vcc, s10, v59
	v_addc_co_u32_e32 v60, vcc, v60, v4, vcc
	v_add_co_u32_e32 v61, vcc, s10, v61
	v_addc_co_u32_e32 v62, vcc, v62, v4, vcc
	v_add_co_u32_e32 v63, vcc, s10, v63
	v_addc_co_u32_e32 v64, vcc, v64, v4, vcc
	v_add_co_u32_e32 v65, vcc, s10, v65
	v_addc_co_u32_e32 v66, vcc, v66, v4, vcc
	v_add_co_u32_e32 v67, vcc, s10, v67
	v_addc_co_u32_e32 v68, vcc, v68, v4, vcc
	v_add_co_u32_e32 v69, vcc, s10, v69
	v_addc_co_u32_e32 v70, vcc, v70, v4, vcc
	v_add_co_u32_e32 v71, vcc, s10, v71
	v_addc_co_u32_e32 v72, vcc, v72, v4, vcc
	v_add_co_u32_e32 v73, vcc, s10, v73
	v_addc_co_u32_e32 v74, vcc, v74, v4, vcc
	v_add_co_u32_e32 v75, vcc, s10, v75
	v_addc_co_u32_e32 v76, vcc, v76, v4, vcc
	v_add_co_u32_e32 v77, vcc, s10, v77
	v_addc_co_u32_e32 v78, vcc, v78, v4, vcc
	v_add_co_u32_e32 v79, vcc, s10, v79
	v_addc_co_u32_e32 v80, vcc, v80, v4, vcc
	v_add_co_u32_e32 v81, vcc, s10, v81
	v_addc_co_u32_e32 v82, vcc, v82, v4, vcc
	v_add_co_u32_e32 v83, vcc, s10, v83
	s_add_u32 s18, s18, s7
	v_addc_co_u32_e32 v84, vcc, v84, v4, vcc
	v_mov_b32_e32 v4, s12
	s_addc_u32 s19, s19, 0
	v_mov_b32_e32 v5, s13
	v_cmp_ge_i64_e32 vcc, s[18:19], v[4:5]
	s_add_u32 s16, s16, s7
	s_addc_u32 s17, 0, s17
	s_cbranch_vccnz .LBB99_83
; %bb.82:                               ;   in Loop: Header=BB99_53 Depth=1
	v_mov_b32_e32 v88, v56
	v_mov_b32_e32 v87, v3
	s_branch .LBB99_53
.LBB99_83:
	s_mov_b32 s7, 0
	s_lshl_b64 s[0:1], s[6:7], 6
	v_or_b32_e32 v6, s0, v0
	v_mov_b32_e32 v7, s1
	v_cmp_gt_i64_e32 vcc, s[14:15], v[6:7]
	s_and_saveexec_b64 s[0:1], vcc
	s_cbranch_execz .LBB99_88
; %bb.84:
	s_load_dword s0, s[4:5], 0x4c
	v_mov_b32_e32 v2, 0
	v_mov_b32_e32 v0, s8
	s_waitcnt lgkmcnt(0)
	s_lshr_b32 s0, s0, 16
	v_mad_u64_u32 v[4:5], s[0:1], s0, v0, v[1:2]
	s_load_dwordx4 s[0:3], s[4:5], 0x30
	v_lshlrev_b64 v[0:1], 1, v[6:7]
	v_mul_lo_u32 v2, v5, s14
	v_mul_lo_u32 v5, v4, s15
	s_waitcnt lgkmcnt(0)
	s_cmp_eq_u64 s[0:1], 0
	s_cbranch_scc1 .LBB99_86
; %bb.85:
	v_bfe_u32 v6, v3, 16, 1
	s_movk_i32 s4, 0x7fff
	v_add3_u32 v8, v3, v6, s4
	v_mad_u64_u32 v[6:7], s[4:5], v4, s14, 0
	v_cmp_o_f32_e32 vcc, v3, v3
	v_mov_b32_e32 v3, 0x7fc0
	v_add3_u32 v7, v7, v5, v2
	v_lshlrev_b64 v[6:7], 1, v[6:7]
	v_cndmask_b32_sdwa v3, v3, v8, vcc dst_sel:DWORD dst_unused:UNUSED_PAD src0_sel:DWORD src1_sel:WORD_1
	v_mov_b32_e32 v8, s1
	v_add_co_u32_e32 v6, vcc, s0, v6
	v_addc_co_u32_e32 v7, vcc, v8, v7, vcc
	v_add_co_u32_e32 v6, vcc, v6, v0
	v_addc_co_u32_e32 v7, vcc, v7, v1, vcc
	global_store_short v[6:7], v3, off
.LBB99_86:
	s_cmp_eq_u64 s[2:3], 0
	s_cbranch_scc1 .LBB99_88
; %bb.87:
	v_bfe_u32 v3, v56, 16, 1
	s_movk_i32 s0, 0x7fff
	v_add3_u32 v6, v56, v3, s0
	v_mad_u64_u32 v[3:4], s[0:1], v4, s14, 0
	v_cmp_o_f32_e32 vcc, v56, v56
	v_mov_b32_e32 v7, 0x7fc0
	v_add3_u32 v4, v4, v5, v2
	v_lshlrev_b64 v[2:3], 1, v[3:4]
	v_cndmask_b32_sdwa v6, v7, v6, vcc dst_sel:DWORD dst_unused:UNUSED_PAD src0_sel:DWORD src1_sel:WORD_1
	v_mov_b32_e32 v4, s3
	v_add_co_u32_e32 v2, vcc, s2, v2
	v_addc_co_u32_e32 v3, vcc, v4, v3, vcc
	v_add_co_u32_e32 v0, vcc, v2, v0
	v_addc_co_u32_e32 v1, vcc, v3, v1, vcc
	global_store_short v[0:1], v6, off
.LBB99_88:
	s_endpgm
	.section	.rodata,"a",@progbits
	.p2align	6, 0x0
	.amdhsa_kernel _ZN2at6native12_GLOBAL__N_135GammaBetaBackwardCUDAKernelTemplateIN3c108BFloat16EfLj64ELj1ELj8ELb1ELb0ELb0EEEvllPKT_S7_PKT0_SA_PS5_SB_
		.amdhsa_group_segment_fixed_size 0
		.amdhsa_private_segment_fixed_size 0
		.amdhsa_kernarg_size 320
		.amdhsa_user_sgpr_count 6
		.amdhsa_user_sgpr_private_segment_buffer 1
		.amdhsa_user_sgpr_dispatch_ptr 0
		.amdhsa_user_sgpr_queue_ptr 0
		.amdhsa_user_sgpr_kernarg_segment_ptr 1
		.amdhsa_user_sgpr_dispatch_id 0
		.amdhsa_user_sgpr_flat_scratch_init 0
		.amdhsa_user_sgpr_private_segment_size 0
		.amdhsa_uses_dynamic_stack 0
		.amdhsa_system_sgpr_private_segment_wavefront_offset 0
		.amdhsa_system_sgpr_workgroup_id_x 1
		.amdhsa_system_sgpr_workgroup_id_y 1
		.amdhsa_system_sgpr_workgroup_id_z 0
		.amdhsa_system_sgpr_workgroup_info 0
		.amdhsa_system_vgpr_workitem_id 1
		.amdhsa_next_free_vgpr 95
		.amdhsa_next_free_sgpr 38
		.amdhsa_reserve_vcc 1
		.amdhsa_reserve_flat_scratch 0
		.amdhsa_float_round_mode_32 0
		.amdhsa_float_round_mode_16_64 0
		.amdhsa_float_denorm_mode_32 3
		.amdhsa_float_denorm_mode_16_64 3
		.amdhsa_dx10_clamp 1
		.amdhsa_ieee_mode 1
		.amdhsa_fp16_overflow 0
		.amdhsa_exception_fp_ieee_invalid_op 0
		.amdhsa_exception_fp_denorm_src 0
		.amdhsa_exception_fp_ieee_div_zero 0
		.amdhsa_exception_fp_ieee_overflow 0
		.amdhsa_exception_fp_ieee_underflow 0
		.amdhsa_exception_fp_ieee_inexact 0
		.amdhsa_exception_int_div_zero 0
	.end_amdhsa_kernel
	.section	.text._ZN2at6native12_GLOBAL__N_135GammaBetaBackwardCUDAKernelTemplateIN3c108BFloat16EfLj64ELj1ELj8ELb1ELb0ELb0EEEvllPKT_S7_PKT0_SA_PS5_SB_,"axG",@progbits,_ZN2at6native12_GLOBAL__N_135GammaBetaBackwardCUDAKernelTemplateIN3c108BFloat16EfLj64ELj1ELj8ELb1ELb0ELb0EEEvllPKT_S7_PKT0_SA_PS5_SB_,comdat
.Lfunc_end99:
	.size	_ZN2at6native12_GLOBAL__N_135GammaBetaBackwardCUDAKernelTemplateIN3c108BFloat16EfLj64ELj1ELj8ELb1ELb0ELb0EEEvllPKT_S7_PKT0_SA_PS5_SB_, .Lfunc_end99-_ZN2at6native12_GLOBAL__N_135GammaBetaBackwardCUDAKernelTemplateIN3c108BFloat16EfLj64ELj1ELj8ELb1ELb0ELb0EEEvllPKT_S7_PKT0_SA_PS5_SB_
                                        ; -- End function
	.set _ZN2at6native12_GLOBAL__N_135GammaBetaBackwardCUDAKernelTemplateIN3c108BFloat16EfLj64ELj1ELj8ELb1ELb0ELb0EEEvllPKT_S7_PKT0_SA_PS5_SB_.num_vgpr, 95
	.set _ZN2at6native12_GLOBAL__N_135GammaBetaBackwardCUDAKernelTemplateIN3c108BFloat16EfLj64ELj1ELj8ELb1ELb0ELb0EEEvllPKT_S7_PKT0_SA_PS5_SB_.num_agpr, 0
	.set _ZN2at6native12_GLOBAL__N_135GammaBetaBackwardCUDAKernelTemplateIN3c108BFloat16EfLj64ELj1ELj8ELb1ELb0ELb0EEEvllPKT_S7_PKT0_SA_PS5_SB_.numbered_sgpr, 38
	.set _ZN2at6native12_GLOBAL__N_135GammaBetaBackwardCUDAKernelTemplateIN3c108BFloat16EfLj64ELj1ELj8ELb1ELb0ELb0EEEvllPKT_S7_PKT0_SA_PS5_SB_.num_named_barrier, 0
	.set _ZN2at6native12_GLOBAL__N_135GammaBetaBackwardCUDAKernelTemplateIN3c108BFloat16EfLj64ELj1ELj8ELb1ELb0ELb0EEEvllPKT_S7_PKT0_SA_PS5_SB_.private_seg_size, 0
	.set _ZN2at6native12_GLOBAL__N_135GammaBetaBackwardCUDAKernelTemplateIN3c108BFloat16EfLj64ELj1ELj8ELb1ELb0ELb0EEEvllPKT_S7_PKT0_SA_PS5_SB_.uses_vcc, 1
	.set _ZN2at6native12_GLOBAL__N_135GammaBetaBackwardCUDAKernelTemplateIN3c108BFloat16EfLj64ELj1ELj8ELb1ELb0ELb0EEEvllPKT_S7_PKT0_SA_PS5_SB_.uses_flat_scratch, 0
	.set _ZN2at6native12_GLOBAL__N_135GammaBetaBackwardCUDAKernelTemplateIN3c108BFloat16EfLj64ELj1ELj8ELb1ELb0ELb0EEEvllPKT_S7_PKT0_SA_PS5_SB_.has_dyn_sized_stack, 0
	.set _ZN2at6native12_GLOBAL__N_135GammaBetaBackwardCUDAKernelTemplateIN3c108BFloat16EfLj64ELj1ELj8ELb1ELb0ELb0EEEvllPKT_S7_PKT0_SA_PS5_SB_.has_recursion, 0
	.set _ZN2at6native12_GLOBAL__N_135GammaBetaBackwardCUDAKernelTemplateIN3c108BFloat16EfLj64ELj1ELj8ELb1ELb0ELb0EEEvllPKT_S7_PKT0_SA_PS5_SB_.has_indirect_call, 0
	.section	.AMDGPU.csdata,"",@progbits
; Kernel info:
; codeLenInByte = 7188
; TotalNumSgprs: 42
; NumVgprs: 95
; ScratchSize: 0
; MemoryBound: 0
; FloatMode: 240
; IeeeMode: 1
; LDSByteSize: 0 bytes/workgroup (compile time only)
; SGPRBlocks: 5
; VGPRBlocks: 23
; NumSGPRsForWavesPerEU: 42
; NumVGPRsForWavesPerEU: 95
; Occupancy: 2
; WaveLimiterHint : 0
; COMPUTE_PGM_RSRC2:SCRATCH_EN: 0
; COMPUTE_PGM_RSRC2:USER_SGPR: 6
; COMPUTE_PGM_RSRC2:TRAP_HANDLER: 0
; COMPUTE_PGM_RSRC2:TGID_X_EN: 1
; COMPUTE_PGM_RSRC2:TGID_Y_EN: 1
; COMPUTE_PGM_RSRC2:TGID_Z_EN: 0
; COMPUTE_PGM_RSRC2:TIDIG_COMP_CNT: 1
	.section	.text._ZN2at6native12_GLOBAL__N_135GammaBetaBackwardCUDAKernelTemplateIN3c108BFloat16EfLj64ELj8ELj64ELb0ELb1ELb0EEEvllPKT_S7_PKT0_SA_PS5_SB_,"axG",@progbits,_ZN2at6native12_GLOBAL__N_135GammaBetaBackwardCUDAKernelTemplateIN3c108BFloat16EfLj64ELj8ELj64ELb0ELb1ELb0EEEvllPKT_S7_PKT0_SA_PS5_SB_,comdat
	.globl	_ZN2at6native12_GLOBAL__N_135GammaBetaBackwardCUDAKernelTemplateIN3c108BFloat16EfLj64ELj8ELj64ELb0ELb1ELb0EEEvllPKT_S7_PKT0_SA_PS5_SB_ ; -- Begin function _ZN2at6native12_GLOBAL__N_135GammaBetaBackwardCUDAKernelTemplateIN3c108BFloat16EfLj64ELj8ELj64ELb0ELb1ELb0EEEvllPKT_S7_PKT0_SA_PS5_SB_
	.p2align	8
	.type	_ZN2at6native12_GLOBAL__N_135GammaBetaBackwardCUDAKernelTemplateIN3c108BFloat16EfLj64ELj8ELj64ELb0ELb1ELb0EEEvllPKT_S7_PKT0_SA_PS5_SB_,@function
_ZN2at6native12_GLOBAL__N_135GammaBetaBackwardCUDAKernelTemplateIN3c108BFloat16EfLj64ELj8ELj64ELb0ELb1ELb0EEEvllPKT_S7_PKT0_SA_PS5_SB_: ; @_ZN2at6native12_GLOBAL__N_135GammaBetaBackwardCUDAKernelTemplateIN3c108BFloat16EfLj64ELj8ELj64ELb0ELb1ELb0EEEvllPKT_S7_PKT0_SA_PS5_SB_
; %bb.0:
	s_load_dwordx4 s[20:23], s[4:5], 0x0
	s_lshl_b32 s24, s7, 6
	s_mov_b32 s25, 0
	v_mov_b32_e32 v2, s24
	v_mov_b32_e32 v3, s25
	s_waitcnt lgkmcnt(0)
	v_cmp_gt_i64_e32 vcc, s[20:21], v[2:3]
	s_cbranch_vccnz .LBB100_2
; %bb.1:
	s_mov_b64 s[0:1], 0
	s_branch .LBB100_3
.LBB100_2:
	s_mov_b64 s[0:1], -1
.LBB100_3:
	s_load_dwordx4 s[16:19], s[4:5], 0x30
	v_mov_b32_e32 v16, 0
	s_andn2_b64 vcc, exec, s[0:1]
	v_mbcnt_lo_u32_b32 v7, -1, 0
	v_mov_b32_e32 v6, 0
	s_cbranch_vccnz .LBB100_10
; %bb.4:
	s_load_dword s0, s[4:5], 0x4c
	s_load_dword s2, s[4:5], 0x44
	s_load_dwordx8 s[8:15], s[4:5], 0x10
	v_lshlrev_b32_e32 v2, 3, v1
	v_mbcnt_hi_u32_b32 v4, -1, v7
	v_lshlrev_b32_e32 v4, 2, v4
	v_add_co_u32_e32 v2, vcc, s24, v2
	v_and_b32_e32 v8, 0x100, v4
	s_waitcnt lgkmcnt(0)
	s_lshl_b32 s4, s2, 6
	v_addc_co_u32_e64 v4, s[2:3], 0, 0, vcc
	v_mul_lo_u32 v18, s23, v2
	v_mul_lo_u32 v19, s22, v4
	v_mad_u64_u32 v[16:17], s[2:3], s22, v2, 0
	s_and_b32 s0, s0, 0xffff
	v_mad_u32_u24 v3, v1, s0, v0
	v_and_b32_e32 v3, 63, v3
	v_mov_b32_e32 v6, 0
	v_lshl_add_u32 v5, s6, 6, v0
	v_add_co_u32_e32 v2, vcc, v2, v3
	v_add3_u32 v17, v17, v19, v18
	v_cmp_gt_u32_e64 s[0:1], 8, v3
	v_addc_co_u32_e32 v3, vcc, 0, v4, vcc
	v_lshlrev_b64 v[17:18], 1, v[16:17]
	v_lshlrev_b64 v[4:5], 1, v[5:6]
	s_mul_i32 s2, s23, s4
	v_add_co_u32_e32 v17, vcc, v17, v4
	s_mul_hi_u32 s3, s22, s4
	s_mov_b32 s5, 0
	v_addc_co_u32_e32 v18, vcc, v18, v5, vcc
	v_lshlrev_b64 v[4:5], 2, v[2:3]
	s_add_i32 s3, s3, s2
	s_mul_i32 s2, s22, s4
	v_or_b32_e32 v9, 4, v8
	v_or_b32_e32 v10, 8, v8
	;; [unrolled: 1-line block ×7, first 2 shown]
	s_lshl_b64 s[26:27], s[4:5], 2
	s_lshl_b64 s[28:29], s[2:3], 1
	;; [unrolled: 1-line block ×3, first 2 shown]
	v_mov_b32_e32 v16, v6
	s_branch .LBB100_7
.LBB100_5:                              ;   in Loop: Header=BB100_7 Depth=1
	s_or_b64 exec, exec, s[30:31]
.LBB100_6:                              ;   in Loop: Header=BB100_7 Depth=1
	s_or_b64 exec, exec, s[2:3]
	v_mov_b32_e32 v21, s11
	v_add_co_u32_e32 v22, vcc, s10, v17
	v_addc_co_u32_e32 v23, vcc, v21, v18, vcc
	global_load_ushort v28, v[22:23], off
	v_mov_b32_e32 v21, s23
	v_add_co_u32_e32 v24, vcc, s22, v22
	v_addc_co_u32_e32 v25, vcc, v23, v21, vcc
	v_mov_b32_e32 v23, s9
	v_add_co_u32_e32 v22, vcc, s8, v17
	v_addc_co_u32_e32 v23, vcc, v23, v18, vcc
	v_add_co_u32_e32 v26, vcc, s22, v22
	global_load_ushort v22, v[22:23], off
	v_addc_co_u32_e32 v27, vcc, v23, v21, vcc
	s_add_u32 s24, s24, s4
	s_addc_u32 s25, s25, 0
	v_add_co_u32_e64 v17, s[2:3], s28, v17
	s_waitcnt vmcnt(1)
	v_lshlrev_b32_e32 v23, 16, v28
	ds_bpermute_b32 v28, v8, v20
	s_waitcnt lgkmcnt(0)
	v_sub_f32_e32 v23, v23, v28
	global_load_ushort v28, v[24:25], off
	s_waitcnt vmcnt(1)
	v_lshlrev_b32_e32 v22, 16, v22
	v_add_f32_e32 v6, v6, v22
	v_mul_f32_e32 v22, v23, v22
	ds_bpermute_b32 v23, v8, v19
	s_waitcnt lgkmcnt(0)
	v_fmac_f32_e32 v16, v22, v23
	v_add_co_u32_e32 v22, vcc, s22, v24
	v_addc_co_u32_e32 v23, vcc, v25, v21, vcc
	global_load_ushort v29, v[22:23], off
	v_add_co_u32_e32 v24, vcc, s22, v26
	global_load_ushort v26, v[26:27], off
	v_addc_co_u32_e32 v25, vcc, v27, v21, vcc
	s_waitcnt vmcnt(2)
	v_lshlrev_b32_e32 v27, 16, v28
	ds_bpermute_b32 v28, v9, v20
	s_waitcnt lgkmcnt(0)
	v_sub_f32_e32 v27, v27, v28
	s_waitcnt vmcnt(0)
	v_lshlrev_b32_e32 v28, 16, v26
	v_mul_f32_e32 v26, v27, v28
	ds_bpermute_b32 v27, v9, v19
	v_add_f32_e32 v6, v6, v28
	s_waitcnt lgkmcnt(0)
	v_fmac_f32_e32 v16, v26, v27
	v_add_co_u32_e32 v26, vcc, s22, v22
	v_addc_co_u32_e32 v27, vcc, v23, v21, vcc
	v_add_co_u32_e32 v22, vcc, s22, v24
	global_load_ushort v24, v[24:25], off
	v_addc_co_u32_e32 v23, vcc, v25, v21, vcc
	v_lshlrev_b32_e32 v25, 16, v29
	ds_bpermute_b32 v29, v10, v20
	global_load_ushort v30, v[26:27], off
	s_waitcnt lgkmcnt(0)
	v_sub_f32_e32 v25, v25, v29
	s_waitcnt vmcnt(1)
	v_lshlrev_b32_e32 v29, 16, v24
	v_mul_f32_e32 v24, v25, v29
	ds_bpermute_b32 v25, v10, v19
	v_add_f32_e32 v6, v6, v29
	s_waitcnt lgkmcnt(0)
	v_fmac_f32_e32 v16, v24, v25
	v_add_co_u32_e32 v24, vcc, s22, v26
	v_addc_co_u32_e32 v25, vcc, v27, v21, vcc
	global_load_ushort v31, v[24:25], off
	v_add_co_u32_e32 v26, vcc, s22, v22
	global_load_ushort v22, v[22:23], off
	v_addc_co_u32_e32 v27, vcc, v23, v21, vcc
	s_waitcnt vmcnt(2)
	v_lshlrev_b32_e32 v23, 16, v30
	ds_bpermute_b32 v30, v11, v20
	s_waitcnt lgkmcnt(0)
	v_sub_f32_e32 v23, v23, v30
	s_waitcnt vmcnt(0)
	v_lshlrev_b32_e32 v30, 16, v22
	v_mul_f32_e32 v22, v23, v30
	ds_bpermute_b32 v23, v11, v19
	v_add_f32_e32 v6, v6, v30
	s_waitcnt lgkmcnt(0)
	v_fmac_f32_e32 v16, v22, v23
	v_add_co_u32_e32 v22, vcc, s22, v24
	v_addc_co_u32_e32 v23, vcc, v25, v21, vcc
	global_load_ushort v32, v[22:23], off
	v_add_co_u32_e32 v24, vcc, s22, v26
	global_load_ushort v26, v[26:27], off
	v_addc_co_u32_e32 v25, vcc, v27, v21, vcc
	v_lshlrev_b32_e32 v27, 16, v31
	ds_bpermute_b32 v31, v12, v20
	s_waitcnt lgkmcnt(0)
	v_sub_f32_e32 v27, v27, v31
	s_waitcnt vmcnt(0)
	v_lshlrev_b32_e32 v31, 16, v26
	v_mul_f32_e32 v26, v27, v31
	ds_bpermute_b32 v27, v12, v19
	v_add_f32_e32 v6, v6, v31
	s_waitcnt lgkmcnt(0)
	v_fmac_f32_e32 v16, v26, v27
	v_add_co_u32_e32 v26, vcc, s22, v22
	v_addc_co_u32_e32 v27, vcc, v23, v21, vcc
	v_add_co_u32_e32 v22, vcc, s22, v24
	global_load_ushort v24, v[24:25], off
	v_addc_co_u32_e32 v23, vcc, v25, v21, vcc
	v_lshlrev_b32_e32 v25, 16, v32
	ds_bpermute_b32 v32, v13, v20
	global_load_ushort v33, v[26:27], off
	s_waitcnt lgkmcnt(0)
	v_sub_f32_e32 v25, v25, v32
	s_waitcnt vmcnt(1)
	v_lshlrev_b32_e32 v32, 16, v24
	v_mul_f32_e32 v24, v25, v32
	ds_bpermute_b32 v25, v13, v19
	v_add_f32_e32 v6, v6, v32
	s_waitcnt lgkmcnt(0)
	v_fmac_f32_e32 v16, v24, v25
	v_add_co_u32_e32 v24, vcc, s22, v26
	v_addc_co_u32_e32 v25, vcc, v27, v21, vcc
	v_add_co_u32_e32 v26, vcc, s22, v22
	v_addc_co_u32_e32 v27, vcc, v23, v21, vcc
	global_load_ushort v21, v[22:23], off
	ds_bpermute_b32 v23, v14, v20
	s_waitcnt vmcnt(1)
	v_lshlrev_b32_e32 v22, 16, v33
	ds_bpermute_b32 v20, v15, v20
	v_add_co_u32_e32 v4, vcc, s26, v4
	s_waitcnt lgkmcnt(1)
	v_sub_f32_e32 v22, v22, v23
	ds_bpermute_b32 v23, v14, v19
	ds_bpermute_b32 v19, v15, v19
	s_waitcnt vmcnt(0)
	v_lshlrev_b32_e32 v21, 16, v21
	v_mul_f32_e32 v22, v22, v21
	s_waitcnt lgkmcnt(1)
	v_fmac_f32_e32 v16, v22, v23
	global_load_ushort v22, v[26:27], off
	global_load_ushort v23, v[24:25], off
	v_add_f32_e32 v6, v6, v21
	s_waitcnt vmcnt(1)
	v_lshlrev_b32_e32 v21, 16, v22
	s_waitcnt vmcnt(0)
	v_lshlrev_b32_e32 v22, 16, v23
	v_sub_f32_e32 v20, v22, v20
	v_mul_f32_e32 v20, v20, v21
	s_waitcnt lgkmcnt(0)
	v_fmac_f32_e32 v16, v20, v19
	v_mov_b32_e32 v19, s27
	v_addc_co_u32_e32 v5, vcc, v5, v19, vcc
	v_add_co_u32_e32 v2, vcc, s4, v2
	v_mov_b32_e32 v19, s20
	v_addc_co_u32_e32 v3, vcc, 0, v3, vcc
	v_mov_b32_e32 v20, s21
	v_cmp_lt_i64_e32 vcc, s[24:25], v[19:20]
	v_add_f32_e32 v6, v6, v21
	v_mov_b32_e32 v21, s29
	v_addc_co_u32_e64 v18, s[2:3], v18, v21, s[2:3]
	s_cbranch_vccz .LBB100_10
.LBB100_7:                              ; =>This Inner Loop Header: Depth=1
	v_mov_b32_e32 v19, 0
	v_mov_b32_e32 v20, 0
	s_and_saveexec_b64 s[2:3], s[0:1]
	s_cbranch_execz .LBB100_6
; %bb.8:                                ;   in Loop: Header=BB100_7 Depth=1
	v_cmp_gt_i64_e32 vcc, s[20:21], v[2:3]
	v_mov_b32_e32 v20, 0
	v_mov_b32_e32 v19, 0
	s_and_saveexec_b64 s[30:31], vcc
	s_cbranch_execz .LBB100_5
; %bb.9:                                ;   in Loop: Header=BB100_7 Depth=1
	v_mov_b32_e32 v19, s15
	v_add_co_u32_e32 v21, vcc, s14, v4
	v_addc_co_u32_e32 v22, vcc, v19, v5, vcc
	v_mov_b32_e32 v19, s13
	v_add_co_u32_e32 v23, vcc, s12, v4
	v_addc_co_u32_e32 v24, vcc, v19, v5, vcc
	global_load_dword v20, v[23:24], off
	global_load_dword v19, v[21:22], off
	s_branch .LBB100_5
.LBB100_10:
	s_movk_i32 s0, 0x41
	v_mad_u32_u24 v2, v1, s0, v0
	v_lshl_add_u32 v2, v2, 2, 0
	ds_write_b32 v2, v16
	ds_write_b32 v2, v6 offset:2080
	v_lshrrev_b32_e32 v2, 6, v0
	v_add_u32_e32 v2, v2, v1
	v_cmp_gt_u32_e32 vcc, 64, v2
	s_waitcnt lgkmcnt(0)
	s_barrier
	s_and_saveexec_b64 s[0:1], vcc
	s_cbranch_execz .LBB100_74
; %bb.11:
	v_and_b32_e32 v1, 63, v0
	v_cmp_gt_u32_e64 s[0:1], 8, v1
	v_mul_u32_u24_e32 v3, 0x41, v1
                                        ; implicit-def: $vgpr1
                                        ; implicit-def: $vgpr5
	s_and_saveexec_b64 s[2:3], s[0:1]
	s_cbranch_execz .LBB100_13
; %bb.12:
	v_add_u32_e32 v1, v2, v3
	v_lshl_add_u32 v1, v1, 2, 0
	ds_read_b32 v5, v1
	ds_read_b32 v1, v1 offset:2080
.LBB100_13:
	s_or_b64 exec, exec, s[2:3]
	v_mbcnt_hi_u32_b32 v6, -1, v7
	v_and_b32_e32 v4, 64, v6
	v_add_u32_e32 v7, 64, v4
	v_xor_b32_e32 v4, 4, v6
	v_cmp_lt_i32_e32 vcc, v4, v7
	v_cndmask_b32_e32 v4, v6, v4, vcc
	v_lshlrev_b32_e32 v4, 2, v4
	s_waitcnt lgkmcnt(1)
	ds_bpermute_b32 v8, v4, v5
	s_waitcnt lgkmcnt(1)
	ds_bpermute_b32 v9, v4, v1
	v_cmp_eq_u32_e64 s[2:3], 0, v0
	s_mov_b32 s7, 0
	s_lshl_b64 s[4:5], s[6:7], 6
	s_waitcnt lgkmcnt(1)
	v_add_f32_e32 v8, v5, v8
	v_xor_b32_e32 v5, 2, v6
	v_cmp_lt_i32_e32 vcc, v5, v7
	v_cndmask_b32_e32 v5, v6, v5, vcc
	v_lshlrev_b32_e32 v5, 2, v5
	s_waitcnt lgkmcnt(0)
	v_add_f32_e32 v1, v1, v9
	ds_bpermute_b32 v9, v5, v8
	ds_bpermute_b32 v10, v5, v1
	s_cmp_lg_u64 s[16:17], 0
	s_cselect_b64 s[8:9], -1, 0
	s_cmp_lg_u64 s[18:19], 0
	s_waitcnt lgkmcnt(1)
	v_add_f32_e32 v0, v8, v9
	v_xor_b32_e32 v8, 1, v6
	v_cmp_lt_i32_e32 vcc, v8, v7
	v_cndmask_b32_e32 v6, v6, v8, vcc
	s_waitcnt lgkmcnt(0)
	v_add_f32_e32 v1, v1, v10
	v_lshlrev_b32_e32 v6, 2, v6
	ds_bpermute_b32 v7, v6, v0
	ds_bpermute_b32 v8, v6, v1
	s_cselect_b64 s[6:7], -1, 0
	s_waitcnt lgkmcnt(1)
	v_add_f32_e32 v7, v0, v7
	s_waitcnt lgkmcnt(0)
	v_add_f32_e32 v8, v1, v8
	s_and_saveexec_b64 s[10:11], s[2:3]
	s_cbranch_execz .LBB100_18
; %bb.14:
	v_mov_b32_e32 v1, s5
	v_or_b32_e32 v0, s4, v2
	v_lshlrev_b64 v[0:1], 1, v[0:1]
	s_andn2_b64 vcc, exec, s[8:9]
	s_cbranch_vccnz .LBB100_16
; %bb.15:
	v_bfe_u32 v9, v7, 16, 1
	s_movk_i32 s12, 0x7fff
	v_add3_u32 v9, v7, v9, s12
	v_cmp_o_f32_e32 vcc, v7, v7
	v_mov_b32_e32 v10, 0x7fc0
	v_cndmask_b32_sdwa v11, v10, v9, vcc dst_sel:DWORD dst_unused:UNUSED_PAD src0_sel:DWORD src1_sel:WORD_1
	v_mov_b32_e32 v10, s17
	v_add_co_u32_e32 v9, vcc, s16, v0
	v_addc_co_u32_e32 v10, vcc, v10, v1, vcc
	global_store_short v[9:10], v11, off
.LBB100_16:
	s_andn2_b64 vcc, exec, s[6:7]
	s_cbranch_vccnz .LBB100_18
; %bb.17:
	v_bfe_u32 v9, v8, 16, 1
	s_movk_i32 s12, 0x7fff
	v_add3_u32 v9, v8, v9, s12
	v_cmp_o_f32_e32 vcc, v8, v8
	v_mov_b32_e32 v10, 0x7fc0
	v_cndmask_b32_sdwa v9, v10, v9, vcc dst_sel:DWORD dst_unused:UNUSED_PAD src0_sel:DWORD src1_sel:WORD_1
	v_mov_b32_e32 v10, s19
	v_add_co_u32_e32 v0, vcc, s18, v0
	v_addc_co_u32_e32 v1, vcc, v10, v1, vcc
	global_store_short v[0:1], v9, off
.LBB100_18:
	s_or_b64 exec, exec, s[10:11]
	v_cmp_gt_u32_e32 vcc, 56, v2
	s_and_b64 exec, exec, vcc
	s_cbranch_execz .LBB100_74
; %bb.19:
	s_and_saveexec_b64 s[10:11], s[0:1]
	s_cbranch_execz .LBB100_21
; %bb.20:
	v_add_u32_e32 v0, v2, v3
	v_lshl_add_u32 v0, v0, 2, 0
	ds_read_b32 v7, v0 offset:32
	ds_read_b32 v8, v0 offset:2112
.LBB100_21:
	s_or_b64 exec, exec, s[10:11]
	s_waitcnt lgkmcnt(1)
	ds_bpermute_b32 v0, v4, v7
	s_waitcnt lgkmcnt(1)
	ds_bpermute_b32 v1, v4, v8
	s_waitcnt lgkmcnt(1)
	v_add_f32_e32 v0, v7, v0
	s_waitcnt lgkmcnt(0)
	v_add_f32_e32 v1, v8, v1
	ds_bpermute_b32 v7, v5, v0
	ds_bpermute_b32 v8, v5, v1
	s_waitcnt lgkmcnt(1)
	v_add_f32_e32 v0, v0, v7
	s_waitcnt lgkmcnt(0)
	v_add_f32_e32 v1, v1, v8
	ds_bpermute_b32 v7, v6, v0
	ds_bpermute_b32 v8, v6, v1
	s_waitcnt lgkmcnt(1)
	v_add_f32_e32 v0, v0, v7
	s_waitcnt lgkmcnt(0)
	v_add_f32_e32 v1, v1, v8
	s_and_saveexec_b64 s[10:11], s[2:3]
	s_cbranch_execz .LBB100_26
; %bb.22:
	s_andn2_b64 vcc, exec, s[8:9]
	s_cbranch_vccnz .LBB100_24
; %bb.23:
	v_bfe_u32 v7, v0, 16, 1
	s_movk_i32 s12, 0x7fff
	v_add3_u32 v7, v0, v7, s12
	v_cmp_o_f32_e32 vcc, v0, v0
	v_mov_b32_e32 v8, 0x7fc0
	v_cndmask_b32_sdwa v9, v8, v7, vcc dst_sel:DWORD dst_unused:UNUSED_PAD src0_sel:DWORD src1_sel:WORD_1
	v_mov_b32_e32 v8, s5
	v_add_co_u32_e32 v7, vcc, s4, v2
	v_addc_co_u32_e32 v8, vcc, 0, v8, vcc
	v_lshlrev_b64 v[7:8], 1, v[7:8]
	v_mov_b32_e32 v10, s17
	v_add_co_u32_e32 v7, vcc, s16, v7
	v_addc_co_u32_e32 v8, vcc, v10, v8, vcc
	global_store_short v[7:8], v9, off offset:16
.LBB100_24:
	s_andn2_b64 vcc, exec, s[6:7]
	s_cbranch_vccnz .LBB100_26
; %bb.25:
	v_bfe_u32 v7, v1, 16, 1
	s_movk_i32 s12, 0x7fff
	v_add3_u32 v7, v1, v7, s12
	v_cmp_o_f32_e32 vcc, v1, v1
	v_mov_b32_e32 v8, 0x7fc0
	v_cndmask_b32_sdwa v9, v8, v7, vcc dst_sel:DWORD dst_unused:UNUSED_PAD src0_sel:DWORD src1_sel:WORD_1
	v_mov_b32_e32 v8, s5
	v_add_co_u32_e32 v7, vcc, s4, v2
	v_addc_co_u32_e32 v8, vcc, 0, v8, vcc
	v_lshlrev_b64 v[7:8], 1, v[7:8]
	v_mov_b32_e32 v10, s19
	v_add_co_u32_e32 v7, vcc, s18, v7
	v_addc_co_u32_e32 v8, vcc, v10, v8, vcc
	global_store_short v[7:8], v9, off offset:16
.LBB100_26:
	s_or_b64 exec, exec, s[10:11]
	v_cmp_gt_u32_e32 vcc, 48, v2
	s_and_b64 exec, exec, vcc
	s_cbranch_execz .LBB100_74
; %bb.27:
	s_and_saveexec_b64 s[10:11], s[0:1]
	s_cbranch_execz .LBB100_29
; %bb.28:
	v_add_u32_e32 v0, v2, v3
	v_lshl_add_u32 v1, v0, 2, 0
	ds_read_b32 v0, v1 offset:64
	ds_read_b32 v1, v1 offset:2144
.LBB100_29:
	s_or_b64 exec, exec, s[10:11]
	s_waitcnt lgkmcnt(1)
	ds_bpermute_b32 v7, v4, v0
	s_waitcnt lgkmcnt(1)
	ds_bpermute_b32 v8, v4, v1
	s_waitcnt lgkmcnt(1)
	v_add_f32_e32 v0, v0, v7
	s_waitcnt lgkmcnt(0)
	v_add_f32_e32 v1, v1, v8
	ds_bpermute_b32 v7, v5, v0
	ds_bpermute_b32 v8, v5, v1
	s_waitcnt lgkmcnt(1)
	v_add_f32_e32 v0, v0, v7
	s_waitcnt lgkmcnt(0)
	v_add_f32_e32 v1, v1, v8
	ds_bpermute_b32 v7, v6, v0
	ds_bpermute_b32 v8, v6, v1
	s_waitcnt lgkmcnt(1)
	v_add_f32_e32 v0, v0, v7
	s_waitcnt lgkmcnt(0)
	v_add_f32_e32 v1, v1, v8
	s_and_saveexec_b64 s[10:11], s[2:3]
	s_cbranch_execz .LBB100_34
; %bb.30:
	s_andn2_b64 vcc, exec, s[8:9]
	s_cbranch_vccnz .LBB100_32
; %bb.31:
	v_bfe_u32 v7, v0, 16, 1
	s_movk_i32 s12, 0x7fff
	v_add3_u32 v7, v0, v7, s12
	v_cmp_o_f32_e32 vcc, v0, v0
	v_mov_b32_e32 v8, 0x7fc0
	v_cndmask_b32_sdwa v9, v8, v7, vcc dst_sel:DWORD dst_unused:UNUSED_PAD src0_sel:DWORD src1_sel:WORD_1
	v_mov_b32_e32 v8, s5
	v_add_co_u32_e32 v7, vcc, s4, v2
	v_addc_co_u32_e32 v8, vcc, 0, v8, vcc
	v_lshlrev_b64 v[7:8], 1, v[7:8]
	v_mov_b32_e32 v10, s17
	v_add_co_u32_e32 v7, vcc, s16, v7
	v_addc_co_u32_e32 v8, vcc, v10, v8, vcc
	global_store_short v[7:8], v9, off offset:32
.LBB100_32:
	s_andn2_b64 vcc, exec, s[6:7]
	s_cbranch_vccnz .LBB100_34
; %bb.33:
	v_bfe_u32 v7, v1, 16, 1
	s_movk_i32 s12, 0x7fff
	v_add3_u32 v7, v1, v7, s12
	v_cmp_o_f32_e32 vcc, v1, v1
	v_mov_b32_e32 v8, 0x7fc0
	v_cndmask_b32_sdwa v9, v8, v7, vcc dst_sel:DWORD dst_unused:UNUSED_PAD src0_sel:DWORD src1_sel:WORD_1
	v_mov_b32_e32 v8, s5
	v_add_co_u32_e32 v7, vcc, s4, v2
	v_addc_co_u32_e32 v8, vcc, 0, v8, vcc
	v_lshlrev_b64 v[7:8], 1, v[7:8]
	v_mov_b32_e32 v10, s19
	v_add_co_u32_e32 v7, vcc, s18, v7
	v_addc_co_u32_e32 v8, vcc, v10, v8, vcc
	global_store_short v[7:8], v9, off offset:32
.LBB100_34:
	s_or_b64 exec, exec, s[10:11]
	v_cmp_gt_u32_e32 vcc, 40, v2
	s_and_b64 exec, exec, vcc
	s_cbranch_execz .LBB100_74
; %bb.35:
	s_and_saveexec_b64 s[10:11], s[0:1]
	s_cbranch_execz .LBB100_37
; %bb.36:
	v_add_u32_e32 v0, v2, v3
	v_lshl_add_u32 v1, v0, 2, 0
	ds_read_b32 v0, v1 offset:96
	ds_read_b32 v1, v1 offset:2176
.LBB100_37:
	s_or_b64 exec, exec, s[10:11]
	s_waitcnt lgkmcnt(1)
	ds_bpermute_b32 v7, v4, v0
	s_waitcnt lgkmcnt(1)
	ds_bpermute_b32 v8, v4, v1
	s_waitcnt lgkmcnt(1)
	v_add_f32_e32 v0, v0, v7
	s_waitcnt lgkmcnt(0)
	v_add_f32_e32 v1, v1, v8
	ds_bpermute_b32 v7, v5, v0
	ds_bpermute_b32 v8, v5, v1
	s_waitcnt lgkmcnt(1)
	v_add_f32_e32 v0, v0, v7
	s_waitcnt lgkmcnt(0)
	v_add_f32_e32 v1, v1, v8
	ds_bpermute_b32 v7, v6, v0
	ds_bpermute_b32 v8, v6, v1
	s_waitcnt lgkmcnt(1)
	v_add_f32_e32 v0, v0, v7
	s_waitcnt lgkmcnt(0)
	v_add_f32_e32 v1, v1, v8
	s_and_saveexec_b64 s[10:11], s[2:3]
	s_cbranch_execz .LBB100_42
; %bb.38:
	s_andn2_b64 vcc, exec, s[8:9]
	s_cbranch_vccnz .LBB100_40
; %bb.39:
	v_bfe_u32 v7, v0, 16, 1
	s_movk_i32 s12, 0x7fff
	v_add3_u32 v7, v0, v7, s12
	v_cmp_o_f32_e32 vcc, v0, v0
	v_mov_b32_e32 v8, 0x7fc0
	v_cndmask_b32_sdwa v9, v8, v7, vcc dst_sel:DWORD dst_unused:UNUSED_PAD src0_sel:DWORD src1_sel:WORD_1
	v_mov_b32_e32 v8, s5
	v_add_co_u32_e32 v7, vcc, s4, v2
	v_addc_co_u32_e32 v8, vcc, 0, v8, vcc
	v_lshlrev_b64 v[7:8], 1, v[7:8]
	v_mov_b32_e32 v10, s17
	v_add_co_u32_e32 v7, vcc, s16, v7
	v_addc_co_u32_e32 v8, vcc, v10, v8, vcc
	global_store_short v[7:8], v9, off offset:48
.LBB100_40:
	s_andn2_b64 vcc, exec, s[6:7]
	s_cbranch_vccnz .LBB100_42
; %bb.41:
	v_bfe_u32 v7, v1, 16, 1
	s_movk_i32 s12, 0x7fff
	v_add3_u32 v7, v1, v7, s12
	v_cmp_o_f32_e32 vcc, v1, v1
	v_mov_b32_e32 v8, 0x7fc0
	v_cndmask_b32_sdwa v9, v8, v7, vcc dst_sel:DWORD dst_unused:UNUSED_PAD src0_sel:DWORD src1_sel:WORD_1
	v_mov_b32_e32 v8, s5
	v_add_co_u32_e32 v7, vcc, s4, v2
	v_addc_co_u32_e32 v8, vcc, 0, v8, vcc
	v_lshlrev_b64 v[7:8], 1, v[7:8]
	v_mov_b32_e32 v10, s19
	v_add_co_u32_e32 v7, vcc, s18, v7
	v_addc_co_u32_e32 v8, vcc, v10, v8, vcc
	global_store_short v[7:8], v9, off offset:48
.LBB100_42:
	s_or_b64 exec, exec, s[10:11]
	v_cmp_gt_u32_e32 vcc, 32, v2
	s_and_b64 exec, exec, vcc
	s_cbranch_execz .LBB100_74
; %bb.43:
	s_and_saveexec_b64 s[10:11], s[0:1]
	s_cbranch_execz .LBB100_45
; %bb.44:
	v_add_u32_e32 v0, v2, v3
	v_lshl_add_u32 v1, v0, 2, 0
	ds_read_b32 v0, v1 offset:128
	ds_read_b32 v1, v1 offset:2208
.LBB100_45:
	s_or_b64 exec, exec, s[10:11]
	s_waitcnt lgkmcnt(1)
	ds_bpermute_b32 v7, v4, v0
	s_waitcnt lgkmcnt(1)
	ds_bpermute_b32 v8, v4, v1
	s_waitcnt lgkmcnt(1)
	v_add_f32_e32 v0, v0, v7
	s_waitcnt lgkmcnt(0)
	v_add_f32_e32 v1, v1, v8
	ds_bpermute_b32 v7, v5, v0
	ds_bpermute_b32 v8, v5, v1
	s_waitcnt lgkmcnt(1)
	v_add_f32_e32 v0, v0, v7
	s_waitcnt lgkmcnt(0)
	v_add_f32_e32 v1, v1, v8
	ds_bpermute_b32 v7, v6, v0
	ds_bpermute_b32 v8, v6, v1
	s_waitcnt lgkmcnt(1)
	v_add_f32_e32 v0, v0, v7
	s_waitcnt lgkmcnt(0)
	v_add_f32_e32 v1, v1, v8
	s_and_saveexec_b64 s[10:11], s[2:3]
	s_cbranch_execz .LBB100_50
; %bb.46:
	s_andn2_b64 vcc, exec, s[8:9]
	s_cbranch_vccnz .LBB100_48
; %bb.47:
	v_bfe_u32 v7, v0, 16, 1
	s_movk_i32 s12, 0x7fff
	v_add3_u32 v7, v0, v7, s12
	v_cmp_o_f32_e32 vcc, v0, v0
	v_mov_b32_e32 v8, 0x7fc0
	v_cndmask_b32_sdwa v9, v8, v7, vcc dst_sel:DWORD dst_unused:UNUSED_PAD src0_sel:DWORD src1_sel:WORD_1
	v_mov_b32_e32 v8, s5
	v_add_co_u32_e32 v7, vcc, s4, v2
	v_addc_co_u32_e32 v8, vcc, 0, v8, vcc
	v_lshlrev_b64 v[7:8], 1, v[7:8]
	v_mov_b32_e32 v10, s17
	v_add_co_u32_e32 v7, vcc, s16, v7
	v_addc_co_u32_e32 v8, vcc, v10, v8, vcc
	global_store_short v[7:8], v9, off offset:64
.LBB100_48:
	s_andn2_b64 vcc, exec, s[6:7]
	s_cbranch_vccnz .LBB100_50
; %bb.49:
	v_bfe_u32 v7, v1, 16, 1
	s_movk_i32 s12, 0x7fff
	v_add3_u32 v7, v1, v7, s12
	v_cmp_o_f32_e32 vcc, v1, v1
	v_mov_b32_e32 v8, 0x7fc0
	v_cndmask_b32_sdwa v9, v8, v7, vcc dst_sel:DWORD dst_unused:UNUSED_PAD src0_sel:DWORD src1_sel:WORD_1
	v_mov_b32_e32 v8, s5
	v_add_co_u32_e32 v7, vcc, s4, v2
	v_addc_co_u32_e32 v8, vcc, 0, v8, vcc
	v_lshlrev_b64 v[7:8], 1, v[7:8]
	v_mov_b32_e32 v10, s19
	v_add_co_u32_e32 v7, vcc, s18, v7
	v_addc_co_u32_e32 v8, vcc, v10, v8, vcc
	global_store_short v[7:8], v9, off offset:64
.LBB100_50:
	s_or_b64 exec, exec, s[10:11]
	v_cmp_gt_u32_e32 vcc, 24, v2
	s_and_b64 exec, exec, vcc
	s_cbranch_execz .LBB100_74
; %bb.51:
	s_and_saveexec_b64 s[10:11], s[0:1]
	s_cbranch_execz .LBB100_53
; %bb.52:
	v_add_u32_e32 v0, v2, v3
	v_lshl_add_u32 v1, v0, 2, 0
	ds_read_b32 v0, v1 offset:160
	ds_read_b32 v1, v1 offset:2240
.LBB100_53:
	s_or_b64 exec, exec, s[10:11]
	s_waitcnt lgkmcnt(1)
	ds_bpermute_b32 v7, v4, v0
	s_waitcnt lgkmcnt(1)
	ds_bpermute_b32 v8, v4, v1
	s_waitcnt lgkmcnt(1)
	v_add_f32_e32 v0, v0, v7
	s_waitcnt lgkmcnt(0)
	v_add_f32_e32 v1, v1, v8
	ds_bpermute_b32 v7, v5, v0
	ds_bpermute_b32 v8, v5, v1
	s_waitcnt lgkmcnt(1)
	v_add_f32_e32 v0, v0, v7
	s_waitcnt lgkmcnt(0)
	v_add_f32_e32 v1, v1, v8
	ds_bpermute_b32 v7, v6, v0
	ds_bpermute_b32 v8, v6, v1
	s_waitcnt lgkmcnt(1)
	v_add_f32_e32 v0, v0, v7
	s_waitcnt lgkmcnt(0)
	v_add_f32_e32 v1, v1, v8
	s_and_saveexec_b64 s[10:11], s[2:3]
	s_cbranch_execz .LBB100_58
; %bb.54:
	s_andn2_b64 vcc, exec, s[8:9]
	s_cbranch_vccnz .LBB100_56
; %bb.55:
	v_bfe_u32 v7, v0, 16, 1
	s_movk_i32 s12, 0x7fff
	v_add3_u32 v7, v0, v7, s12
	v_cmp_o_f32_e32 vcc, v0, v0
	v_mov_b32_e32 v8, 0x7fc0
	v_cndmask_b32_sdwa v9, v8, v7, vcc dst_sel:DWORD dst_unused:UNUSED_PAD src0_sel:DWORD src1_sel:WORD_1
	v_mov_b32_e32 v8, s5
	v_add_co_u32_e32 v7, vcc, s4, v2
	v_addc_co_u32_e32 v8, vcc, 0, v8, vcc
	v_lshlrev_b64 v[7:8], 1, v[7:8]
	v_mov_b32_e32 v10, s17
	v_add_co_u32_e32 v7, vcc, s16, v7
	v_addc_co_u32_e32 v8, vcc, v10, v8, vcc
	global_store_short v[7:8], v9, off offset:80
.LBB100_56:
	s_andn2_b64 vcc, exec, s[6:7]
	s_cbranch_vccnz .LBB100_58
; %bb.57:
	v_bfe_u32 v7, v1, 16, 1
	s_movk_i32 s12, 0x7fff
	v_add3_u32 v7, v1, v7, s12
	v_cmp_o_f32_e32 vcc, v1, v1
	v_mov_b32_e32 v8, 0x7fc0
	v_cndmask_b32_sdwa v9, v8, v7, vcc dst_sel:DWORD dst_unused:UNUSED_PAD src0_sel:DWORD src1_sel:WORD_1
	v_mov_b32_e32 v8, s5
	v_add_co_u32_e32 v7, vcc, s4, v2
	v_addc_co_u32_e32 v8, vcc, 0, v8, vcc
	v_lshlrev_b64 v[7:8], 1, v[7:8]
	v_mov_b32_e32 v10, s19
	v_add_co_u32_e32 v7, vcc, s18, v7
	v_addc_co_u32_e32 v8, vcc, v10, v8, vcc
	global_store_short v[7:8], v9, off offset:80
.LBB100_58:
	s_or_b64 exec, exec, s[10:11]
	v_cmp_gt_u32_e32 vcc, 16, v2
	s_and_b64 exec, exec, vcc
	s_cbranch_execz .LBB100_74
; %bb.59:
	s_and_saveexec_b64 s[10:11], s[0:1]
	s_cbranch_execz .LBB100_61
; %bb.60:
	v_add_u32_e32 v0, v2, v3
	v_lshl_add_u32 v1, v0, 2, 0
	ds_read_b32 v0, v1 offset:192
	ds_read_b32 v1, v1 offset:2272
.LBB100_61:
	s_or_b64 exec, exec, s[10:11]
	s_waitcnt lgkmcnt(1)
	ds_bpermute_b32 v7, v4, v0
	s_waitcnt lgkmcnt(1)
	ds_bpermute_b32 v8, v4, v1
	s_waitcnt lgkmcnt(1)
	v_add_f32_e32 v0, v0, v7
	s_waitcnt lgkmcnt(0)
	v_add_f32_e32 v1, v1, v8
	ds_bpermute_b32 v7, v5, v0
	ds_bpermute_b32 v8, v5, v1
	s_waitcnt lgkmcnt(1)
	v_add_f32_e32 v0, v0, v7
	s_waitcnt lgkmcnt(0)
	v_add_f32_e32 v1, v1, v8
	ds_bpermute_b32 v7, v6, v0
	ds_bpermute_b32 v8, v6, v1
	s_waitcnt lgkmcnt(1)
	v_add_f32_e32 v0, v0, v7
	s_waitcnt lgkmcnt(0)
	v_add_f32_e32 v1, v1, v8
	s_and_saveexec_b64 s[10:11], s[2:3]
	s_cbranch_execz .LBB100_66
; %bb.62:
	s_andn2_b64 vcc, exec, s[8:9]
	s_cbranch_vccnz .LBB100_64
; %bb.63:
	v_bfe_u32 v7, v0, 16, 1
	s_movk_i32 s12, 0x7fff
	v_add3_u32 v7, v0, v7, s12
	v_cmp_o_f32_e32 vcc, v0, v0
	v_mov_b32_e32 v8, 0x7fc0
	v_cndmask_b32_sdwa v9, v8, v7, vcc dst_sel:DWORD dst_unused:UNUSED_PAD src0_sel:DWORD src1_sel:WORD_1
	v_mov_b32_e32 v8, s5
	v_add_co_u32_e32 v7, vcc, s4, v2
	v_addc_co_u32_e32 v8, vcc, 0, v8, vcc
	v_lshlrev_b64 v[7:8], 1, v[7:8]
	v_mov_b32_e32 v10, s17
	v_add_co_u32_e32 v7, vcc, s16, v7
	v_addc_co_u32_e32 v8, vcc, v10, v8, vcc
	global_store_short v[7:8], v9, off offset:96
.LBB100_64:
	s_andn2_b64 vcc, exec, s[6:7]
	s_cbranch_vccnz .LBB100_66
; %bb.65:
	v_bfe_u32 v7, v1, 16, 1
	s_movk_i32 s12, 0x7fff
	v_add3_u32 v7, v1, v7, s12
	v_cmp_o_f32_e32 vcc, v1, v1
	v_mov_b32_e32 v8, 0x7fc0
	v_cndmask_b32_sdwa v9, v8, v7, vcc dst_sel:DWORD dst_unused:UNUSED_PAD src0_sel:DWORD src1_sel:WORD_1
	v_mov_b32_e32 v8, s5
	v_add_co_u32_e32 v7, vcc, s4, v2
	v_addc_co_u32_e32 v8, vcc, 0, v8, vcc
	v_lshlrev_b64 v[7:8], 1, v[7:8]
	v_mov_b32_e32 v10, s19
	v_add_co_u32_e32 v7, vcc, s18, v7
	v_addc_co_u32_e32 v8, vcc, v10, v8, vcc
	global_store_short v[7:8], v9, off offset:96
.LBB100_66:
	s_or_b64 exec, exec, s[10:11]
	v_cmp_gt_u32_e32 vcc, 8, v2
	s_and_b64 exec, exec, vcc
	s_cbranch_execz .LBB100_74
; %bb.67:
	s_and_saveexec_b64 s[10:11], s[0:1]
	s_cbranch_execz .LBB100_69
; %bb.68:
	v_add_u32_e32 v0, v2, v3
	v_lshl_add_u32 v1, v0, 2, 0
	ds_read_b32 v0, v1 offset:224
	ds_read_b32 v1, v1 offset:2304
.LBB100_69:
	s_or_b64 exec, exec, s[10:11]
	s_waitcnt lgkmcnt(1)
	ds_bpermute_b32 v3, v4, v0
	s_waitcnt lgkmcnt(1)
	ds_bpermute_b32 v4, v4, v1
	s_waitcnt lgkmcnt(1)
	v_add_f32_e32 v0, v0, v3
	s_waitcnt lgkmcnt(0)
	v_add_f32_e32 v1, v1, v4
	ds_bpermute_b32 v3, v5, v0
	ds_bpermute_b32 v4, v5, v1
	s_waitcnt lgkmcnt(1)
	v_add_f32_e32 v3, v0, v3
	s_waitcnt lgkmcnt(0)
	v_add_f32_e32 v0, v1, v4
	ds_bpermute_b32 v4, v6, v3
	ds_bpermute_b32 v1, v6, v0
	s_and_b64 exec, exec, s[2:3]
	s_cbranch_execz .LBB100_74
; %bb.70:
	s_andn2_b64 vcc, exec, s[8:9]
	s_cbranch_vccnz .LBB100_72
; %bb.71:
	s_waitcnt lgkmcnt(1)
	v_add_f32_e32 v3, v3, v4
	v_bfe_u32 v4, v3, 16, 1
	s_movk_i32 s0, 0x7fff
	v_add3_u32 v4, v3, v4, s0
	v_cmp_o_f32_e32 vcc, v3, v3
	v_mov_b32_e32 v3, 0x7fc0
	v_cndmask_b32_sdwa v5, v3, v4, vcc dst_sel:DWORD dst_unused:UNUSED_PAD src0_sel:DWORD src1_sel:WORD_1
	v_mov_b32_e32 v4, s5
	v_add_co_u32_e32 v3, vcc, s4, v2
	v_addc_co_u32_e32 v4, vcc, 0, v4, vcc
	v_lshlrev_b64 v[3:4], 1, v[3:4]
	v_mov_b32_e32 v6, s17
	v_add_co_u32_e32 v3, vcc, s16, v3
	v_addc_co_u32_e32 v4, vcc, v6, v4, vcc
	global_store_short v[3:4], v5, off offset:112
.LBB100_72:
	s_andn2_b64 vcc, exec, s[6:7]
	s_cbranch_vccnz .LBB100_74
; %bb.73:
	s_waitcnt lgkmcnt(0)
	v_add_f32_e32 v0, v0, v1
	v_bfe_u32 v1, v0, 16, 1
	s_movk_i32 s0, 0x7fff
	v_add3_u32 v1, v0, v1, s0
	v_cmp_o_f32_e32 vcc, v0, v0
	v_mov_b32_e32 v0, 0x7fc0
	v_cndmask_b32_sdwa v3, v0, v1, vcc dst_sel:DWORD dst_unused:UNUSED_PAD src0_sel:DWORD src1_sel:WORD_1
	v_mov_b32_e32 v1, s5
	v_add_co_u32_e32 v0, vcc, s4, v2
	v_addc_co_u32_e32 v1, vcc, 0, v1, vcc
	v_lshlrev_b64 v[0:1], 1, v[0:1]
	v_mov_b32_e32 v2, s19
	v_add_co_u32_e32 v0, vcc, s18, v0
	v_addc_co_u32_e32 v1, vcc, v2, v1, vcc
	global_store_short v[0:1], v3, off offset:112
.LBB100_74:
	s_endpgm
	.section	.rodata,"a",@progbits
	.p2align	6, 0x0
	.amdhsa_kernel _ZN2at6native12_GLOBAL__N_135GammaBetaBackwardCUDAKernelTemplateIN3c108BFloat16EfLj64ELj8ELj64ELb0ELb1ELb0EEEvllPKT_S7_PKT0_SA_PS5_SB_
		.amdhsa_group_segment_fixed_size 0
		.amdhsa_private_segment_fixed_size 0
		.amdhsa_kernarg_size 320
		.amdhsa_user_sgpr_count 6
		.amdhsa_user_sgpr_private_segment_buffer 1
		.amdhsa_user_sgpr_dispatch_ptr 0
		.amdhsa_user_sgpr_queue_ptr 0
		.amdhsa_user_sgpr_kernarg_segment_ptr 1
		.amdhsa_user_sgpr_dispatch_id 0
		.amdhsa_user_sgpr_flat_scratch_init 0
		.amdhsa_user_sgpr_private_segment_size 0
		.amdhsa_uses_dynamic_stack 0
		.amdhsa_system_sgpr_private_segment_wavefront_offset 0
		.amdhsa_system_sgpr_workgroup_id_x 1
		.amdhsa_system_sgpr_workgroup_id_y 1
		.amdhsa_system_sgpr_workgroup_id_z 0
		.amdhsa_system_sgpr_workgroup_info 0
		.amdhsa_system_vgpr_workitem_id 1
		.amdhsa_next_free_vgpr 34
		.amdhsa_next_free_sgpr 32
		.amdhsa_reserve_vcc 1
		.amdhsa_reserve_flat_scratch 0
		.amdhsa_float_round_mode_32 0
		.amdhsa_float_round_mode_16_64 0
		.amdhsa_float_denorm_mode_32 3
		.amdhsa_float_denorm_mode_16_64 3
		.amdhsa_dx10_clamp 1
		.amdhsa_ieee_mode 1
		.amdhsa_fp16_overflow 0
		.amdhsa_exception_fp_ieee_invalid_op 0
		.amdhsa_exception_fp_denorm_src 0
		.amdhsa_exception_fp_ieee_div_zero 0
		.amdhsa_exception_fp_ieee_overflow 0
		.amdhsa_exception_fp_ieee_underflow 0
		.amdhsa_exception_fp_ieee_inexact 0
		.amdhsa_exception_int_div_zero 0
	.end_amdhsa_kernel
	.section	.text._ZN2at6native12_GLOBAL__N_135GammaBetaBackwardCUDAKernelTemplateIN3c108BFloat16EfLj64ELj8ELj64ELb0ELb1ELb0EEEvllPKT_S7_PKT0_SA_PS5_SB_,"axG",@progbits,_ZN2at6native12_GLOBAL__N_135GammaBetaBackwardCUDAKernelTemplateIN3c108BFloat16EfLj64ELj8ELj64ELb0ELb1ELb0EEEvllPKT_S7_PKT0_SA_PS5_SB_,comdat
.Lfunc_end100:
	.size	_ZN2at6native12_GLOBAL__N_135GammaBetaBackwardCUDAKernelTemplateIN3c108BFloat16EfLj64ELj8ELj64ELb0ELb1ELb0EEEvllPKT_S7_PKT0_SA_PS5_SB_, .Lfunc_end100-_ZN2at6native12_GLOBAL__N_135GammaBetaBackwardCUDAKernelTemplateIN3c108BFloat16EfLj64ELj8ELj64ELb0ELb1ELb0EEEvllPKT_S7_PKT0_SA_PS5_SB_
                                        ; -- End function
	.set _ZN2at6native12_GLOBAL__N_135GammaBetaBackwardCUDAKernelTemplateIN3c108BFloat16EfLj64ELj8ELj64ELb0ELb1ELb0EEEvllPKT_S7_PKT0_SA_PS5_SB_.num_vgpr, 34
	.set _ZN2at6native12_GLOBAL__N_135GammaBetaBackwardCUDAKernelTemplateIN3c108BFloat16EfLj64ELj8ELj64ELb0ELb1ELb0EEEvllPKT_S7_PKT0_SA_PS5_SB_.num_agpr, 0
	.set _ZN2at6native12_GLOBAL__N_135GammaBetaBackwardCUDAKernelTemplateIN3c108BFloat16EfLj64ELj8ELj64ELb0ELb1ELb0EEEvllPKT_S7_PKT0_SA_PS5_SB_.numbered_sgpr, 32
	.set _ZN2at6native12_GLOBAL__N_135GammaBetaBackwardCUDAKernelTemplateIN3c108BFloat16EfLj64ELj8ELj64ELb0ELb1ELb0EEEvllPKT_S7_PKT0_SA_PS5_SB_.num_named_barrier, 0
	.set _ZN2at6native12_GLOBAL__N_135GammaBetaBackwardCUDAKernelTemplateIN3c108BFloat16EfLj64ELj8ELj64ELb0ELb1ELb0EEEvllPKT_S7_PKT0_SA_PS5_SB_.private_seg_size, 0
	.set _ZN2at6native12_GLOBAL__N_135GammaBetaBackwardCUDAKernelTemplateIN3c108BFloat16EfLj64ELj8ELj64ELb0ELb1ELb0EEEvllPKT_S7_PKT0_SA_PS5_SB_.uses_vcc, 1
	.set _ZN2at6native12_GLOBAL__N_135GammaBetaBackwardCUDAKernelTemplateIN3c108BFloat16EfLj64ELj8ELj64ELb0ELb1ELb0EEEvllPKT_S7_PKT0_SA_PS5_SB_.uses_flat_scratch, 0
	.set _ZN2at6native12_GLOBAL__N_135GammaBetaBackwardCUDAKernelTemplateIN3c108BFloat16EfLj64ELj8ELj64ELb0ELb1ELb0EEEvllPKT_S7_PKT0_SA_PS5_SB_.has_dyn_sized_stack, 0
	.set _ZN2at6native12_GLOBAL__N_135GammaBetaBackwardCUDAKernelTemplateIN3c108BFloat16EfLj64ELj8ELj64ELb0ELb1ELb0EEEvllPKT_S7_PKT0_SA_PS5_SB_.has_recursion, 0
	.set _ZN2at6native12_GLOBAL__N_135GammaBetaBackwardCUDAKernelTemplateIN3c108BFloat16EfLj64ELj8ELj64ELb0ELb1ELb0EEEvllPKT_S7_PKT0_SA_PS5_SB_.has_indirect_call, 0
	.section	.AMDGPU.csdata,"",@progbits
; Kernel info:
; codeLenInByte = 4076
; TotalNumSgprs: 36
; NumVgprs: 34
; ScratchSize: 0
; MemoryBound: 0
; FloatMode: 240
; IeeeMode: 1
; LDSByteSize: 0 bytes/workgroup (compile time only)
; SGPRBlocks: 4
; VGPRBlocks: 8
; NumSGPRsForWavesPerEU: 36
; NumVGPRsForWavesPerEU: 34
; Occupancy: 7
; WaveLimiterHint : 0
; COMPUTE_PGM_RSRC2:SCRATCH_EN: 0
; COMPUTE_PGM_RSRC2:USER_SGPR: 6
; COMPUTE_PGM_RSRC2:TRAP_HANDLER: 0
; COMPUTE_PGM_RSRC2:TGID_X_EN: 1
; COMPUTE_PGM_RSRC2:TGID_Y_EN: 1
; COMPUTE_PGM_RSRC2:TGID_Z_EN: 0
; COMPUTE_PGM_RSRC2:TIDIG_COMP_CNT: 1
	.section	.text._ZN2at6native12_GLOBAL__N_135GammaBetaBackwardCUDAKernelTemplateIN3c108BFloat16EfLj64ELj8ELj64ELb0ELb0ELb0EEEvllPKT_S7_PKT0_SA_PS5_SB_,"axG",@progbits,_ZN2at6native12_GLOBAL__N_135GammaBetaBackwardCUDAKernelTemplateIN3c108BFloat16EfLj64ELj8ELj64ELb0ELb0ELb0EEEvllPKT_S7_PKT0_SA_PS5_SB_,comdat
	.globl	_ZN2at6native12_GLOBAL__N_135GammaBetaBackwardCUDAKernelTemplateIN3c108BFloat16EfLj64ELj8ELj64ELb0ELb0ELb0EEEvllPKT_S7_PKT0_SA_PS5_SB_ ; -- Begin function _ZN2at6native12_GLOBAL__N_135GammaBetaBackwardCUDAKernelTemplateIN3c108BFloat16EfLj64ELj8ELj64ELb0ELb0ELb0EEEvllPKT_S7_PKT0_SA_PS5_SB_
	.p2align	8
	.type	_ZN2at6native12_GLOBAL__N_135GammaBetaBackwardCUDAKernelTemplateIN3c108BFloat16EfLj64ELj8ELj64ELb0ELb0ELb0EEEvllPKT_S7_PKT0_SA_PS5_SB_,@function
_ZN2at6native12_GLOBAL__N_135GammaBetaBackwardCUDAKernelTemplateIN3c108BFloat16EfLj64ELj8ELj64ELb0ELb0ELb0EEEvllPKT_S7_PKT0_SA_PS5_SB_: ; @_ZN2at6native12_GLOBAL__N_135GammaBetaBackwardCUDAKernelTemplateIN3c108BFloat16EfLj64ELj8ELj64ELb0ELb0ELb0EEEvllPKT_S7_PKT0_SA_PS5_SB_
; %bb.0:
	s_load_dwordx8 s[12:19], s[4:5], 0x0
	s_load_dwordx4 s[20:23], s[4:5], 0x20
	s_lshl_b32 s10, s7, 6
	s_lshl_b32 s33, s6, 6
	s_mov_b32 s11, 0
	v_mov_b32_e32 v4, s10
	s_or_b32 s0, s33, 63
	v_mov_b32_e32 v5, s11
	v_mov_b32_e32 v2, s0
	;; [unrolled: 1-line block ×3, first 2 shown]
	s_waitcnt lgkmcnt(0)
	v_cmp_gt_i64_e64 s[0:1], s[12:13], v[4:5]
	v_cmp_le_i64_e32 vcc, s[14:15], v[2:3]
	v_cndmask_b32_e64 v2, 0, 1, s[0:1]
	v_cmp_ne_u32_e64 s[0:1], 1, v2
	s_cbranch_vccz .LBB101_49
; %bb.1:
	s_and_b64 vcc, exec, s[0:1]
	v_mov_b32_e32 v54, 0
	s_cbranch_vccnz .LBB101_50
; %bb.2:
	v_lshlrev_b32_e32 v21, 3, v1
	v_add_co_u32_e32 v9, vcc, s10, v21
	v_addc_co_u32_e64 v10, s[2:3], 0, 0, vcc
	v_mul_lo_u32 v7, s15, v9
	v_mul_lo_u32 v8, s14, v10
	v_mad_u64_u32 v[5:6], s[2:3], s14, v9, 0
	v_mov_b32_e32 v2, 0
	s_load_dword s7, s[4:5], 0x44
	v_add_u32_e32 v3, s33, v0
	v_mov_b32_e32 v4, v2
	v_add3_u32 v6, v6, v8, v7
	v_cmp_gt_i64_e64 s[2:3], s[14:15], v[3:4]
	v_lshlrev_b64 v[19:20], 1, v[3:4]
	v_lshlrev_b64 v[3:4], 1, v[5:6]
	s_add_u32 s24, s4, 64
	v_mov_b32_e32 v7, s17
	v_add_co_u32_e32 v22, vcc, s16, v3
	s_addc_u32 s25, s5, 0
	s_waitcnt lgkmcnt(0)
	s_lshl_b32 s7, s7, 6
	v_addc_co_u32_e32 v23, vcc, v7, v4, vcc
	s_mul_i32 s8, s15, s7
	s_mul_hi_u32 s9, s14, s7
	v_add_co_u32_e32 v7, vcc, 7, v9
	s_add_i32 s9, s9, s8
	s_mul_i32 s8, s14, s7
	v_addc_co_u32_e32 v8, vcc, 0, v10, vcc
	s_lshl_b64 s[26:27], s[8:9], 1
	v_mul_lo_u32 v12, s15, v7
	v_mul_lo_u32 v13, s14, v8
	v_mad_u64_u32 v[7:8], s[8:9], s14, v7, 0
	v_mov_b32_e32 v11, s19
	v_add_co_u32_e32 v24, vcc, s18, v3
	v_add3_u32 v8, v8, v13, v12
	v_addc_co_u32_e32 v25, vcc, v11, v4, vcc
	v_lshlrev_b64 v[3:4], 1, v[7:8]
	v_mov_b32_e32 v7, s17
	v_add_co_u32_e32 v26, vcc, s16, v3
	v_addc_co_u32_e32 v27, vcc, v7, v4, vcc
	v_add_co_u32_e32 v7, vcc, 6, v9
	v_addc_co_u32_e32 v8, vcc, 0, v10, vcc
	v_mul_lo_u32 v12, s15, v7
	v_mul_lo_u32 v13, s14, v8
	v_mad_u64_u32 v[7:8], s[8:9], s14, v7, 0
	v_add_co_u32_e32 v28, vcc, s18, v3
	v_add3_u32 v8, v8, v13, v12
	v_addc_co_u32_e32 v29, vcc, v11, v4, vcc
	v_lshlrev_b64 v[3:4], 1, v[7:8]
	v_mov_b32_e32 v7, s17
	v_add_co_u32_e32 v30, vcc, s16, v3
	v_addc_co_u32_e32 v31, vcc, v7, v4, vcc
	v_add_co_u32_e32 v7, vcc, 5, v9
	v_addc_co_u32_e32 v8, vcc, 0, v10, vcc
	v_mul_lo_u32 v12, s15, v7
	v_mul_lo_u32 v13, s14, v8
	v_mad_u64_u32 v[7:8], s[8:9], s14, v7, 0
	;; [unrolled: 12-line block ×5, first 2 shown]
	v_add_co_u32_e32 v44, vcc, s18, v3
	v_add3_u32 v8, v8, v10, v9
	v_addc_co_u32_e32 v45, vcc, v11, v4, vcc
	v_lshlrev_b64 v[3:4], 1, v[7:8]
	v_mov_b32_e32 v7, s17
	v_add_co_u32_e32 v46, vcc, s16, v3
	v_addc_co_u32_e32 v47, vcc, v7, v4, vcc
	v_mov_b32_e32 v7, s19
	v_add_co_u32_e32 v48, vcc, s18, v3
	v_addc_co_u32_e32 v49, vcc, v7, v4, vcc
	;; [unrolled: 3-line block ×3, first 2 shown]
	v_lshlrev_b64 v[3:4], 1, v[3:4]
	v_mov_b32_e32 v5, s17
	v_add_co_u32_e32 v50, vcc, s16, v3
	v_addc_co_u32_e32 v51, vcc, v5, v4, vcc
	v_add_co_u32_e32 v52, vcc, s18, v3
	v_mbcnt_lo_u32_b32 v3, -1, 0
	v_mbcnt_hi_u32_b32 v3, -1, v3
	v_mov_b32_e32 v5, s19
	s_add_u32 s28, s10, 63
	v_lshlrev_b32_e32 v3, 2, v3
	v_addc_co_u32_e32 v53, vcc, v5, v4, vcc
	s_addc_u32 s29, 0, 0
	v_and_b32_e32 v55, 0x100, v3
	v_mov_b32_e32 v54, 0
	v_mov_b32_e32 v56, 0
	s_mov_b64 s[30:31], s[10:11]
.LBB101_3:                              ; =>This Inner Loop Header: Depth=1
	v_mov_b32_e32 v3, s12
	v_mov_b32_e32 v4, s13
	v_cmp_ge_i64_e32 vcc, s[28:29], v[3:4]
	v_mov_b32_e32 v3, s29
	v_add_co_u32_e64 v57, s[8:9], s28, v21
	v_addc_co_u32_e64 v58, s[8:9], 0, v3, s[8:9]
	s_mov_b64 s[8:9], -1
	s_and_b64 vcc, exec, vcc
                                        ; implicit-def: $vgpr3_vgpr4_vgpr5_vgpr6_vgpr7_vgpr8_vgpr9_vgpr10
                                        ; implicit-def: $vgpr59
                                        ; implicit-def: $vgpr11_vgpr12_vgpr13_vgpr14_vgpr15_vgpr16_vgpr17_vgpr18
                                        ; implicit-def: $vgpr4
                                        ; implicit-def: $vgpr3
                                        ; implicit-def: $vgpr5
	s_cbranch_vccz .LBB101_25
; %bb.4:                                ;   in Loop: Header=BB101_3 Depth=1
	s_load_dword s8, s[24:25], 0xc
	v_mov_b32_e32 v59, 0
	v_mov_b32_e32 v60, 0
	s_waitcnt lgkmcnt(0)
	s_and_b32 s8, s8, 0xffff
	v_mad_u32_u24 v3, v1, s8, v0
	v_and_b32_e32 v3, 63, v3
	v_cmp_gt_u32_e32 vcc, 8, v3
	s_and_saveexec_b64 s[8:9], vcc
	s_cbranch_execz .LBB101_8
; %bb.5:                                ;   in Loop: Header=BB101_3 Depth=1
	v_add_co_u32_e32 v3, vcc, v57, v3
	v_addc_co_u32_e32 v4, vcc, 0, v58, vcc
	v_add_co_u32_e32 v3, vcc, 0xffffffc1, v3
	v_addc_co_u32_e32 v4, vcc, -1, v4, vcc
	v_cmp_gt_i64_e32 vcc, s[12:13], v[3:4]
	v_mov_b32_e32 v60, 0
	v_mov_b32_e32 v59, 0
	s_and_saveexec_b64 s[34:35], vcc
	s_cbranch_execz .LBB101_7
; %bb.6:                                ;   in Loop: Header=BB101_3 Depth=1
	v_lshlrev_b64 v[3:4], 2, v[3:4]
	v_mov_b32_e32 v6, s23
	v_add_co_u32_e32 v5, vcc, s22, v3
	v_addc_co_u32_e32 v6, vcc, v6, v4, vcc
	v_mov_b32_e32 v7, s21
	v_add_co_u32_e32 v3, vcc, s20, v3
	v_addc_co_u32_e32 v4, vcc, v7, v4, vcc
	global_load_dword v60, v[3:4], off
	global_load_dword v59, v[5:6], off
.LBB101_7:                              ;   in Loop: Header=BB101_3 Depth=1
	s_or_b64 exec, exec, s[34:35]
.LBB101_8:                              ;   in Loop: Header=BB101_3 Depth=1
	s_or_b64 exec, exec, s[8:9]
	v_add_co_u32_e32 v3, vcc, 0xffffffc1, v57
	v_addc_co_u32_e32 v4, vcc, -1, v58, vcc
	v_mov_b32_e32 v9, v2
	v_cmp_gt_i64_e32 vcc, s[12:13], v[3:4]
	v_mov_b32_e32 v3, v2
	v_mov_b32_e32 v4, v2
	v_mov_b32_e32 v5, v2
	v_mov_b32_e32 v6, v2
	v_mov_b32_e32 v7, v2
	v_mov_b32_e32 v8, v2
	v_mov_b32_e32 v18, v9
	v_mov_b32_e32 v17, v8
	v_mov_b32_e32 v16, v7
	v_mov_b32_e32 v15, v6
	v_mov_b32_e32 v14, v5
	v_mov_b32_e32 v13, v4
	v_mov_b32_e32 v12, v3
	v_mov_b32_e32 v11, v2
	v_mov_b32_e32 v10, v9
	s_and_b64 s[34:35], s[2:3], vcc
	v_mov_b32_e32 v9, v8
	v_mov_b32_e32 v8, v7
	;; [unrolled: 1-line block ×7, first 2 shown]
	s_and_saveexec_b64 s[8:9], s[34:35]
	s_cbranch_execz .LBB101_10
; %bb.9:                                ;   in Loop: Header=BB101_3 Depth=1
	v_add_co_u32_e32 v3, vcc, v22, v19
	v_addc_co_u32_e32 v4, vcc, v23, v20, vcc
	global_load_ushort v11, v[3:4], off
	v_add_co_u32_e32 v3, vcc, v24, v19
	v_addc_co_u32_e32 v4, vcc, v25, v20, vcc
	global_load_ushort v18, v[3:4], off
	v_mov_b32_e32 v4, v2
	v_mov_b32_e32 v5, v2
	;; [unrolled: 1-line block ×13, first 2 shown]
	s_waitcnt vmcnt(1)
	v_lshlrev_b32_e32 v3, 16, v11
	s_waitcnt vmcnt(0)
	v_lshlrev_b32_e32 v11, 16, v18
	v_mov_b32_e32 v18, v2
.LBB101_10:                             ;   in Loop: Header=BB101_3 Depth=1
	s_or_b64 exec, exec, s[8:9]
	v_add_co_u32_e32 v61, vcc, 0xffffffc2, v57
	v_addc_co_u32_e32 v62, vcc, -1, v58, vcc
	v_cmp_gt_i64_e32 vcc, s[12:13], v[61:62]
	s_and_b64 s[34:35], s[2:3], vcc
	s_and_saveexec_b64 s[8:9], s[34:35]
	s_cbranch_execz .LBB101_12
; %bb.11:                               ;   in Loop: Header=BB101_3 Depth=1
	v_add_co_u32_e32 v61, vcc, v50, v19
	v_addc_co_u32_e32 v62, vcc, v51, v20, vcc
	global_load_ushort v4, v[61:62], off
	v_add_co_u32_e32 v61, vcc, v52, v19
	v_addc_co_u32_e32 v62, vcc, v53, v20, vcc
	global_load_ushort v12, v[61:62], off
	s_waitcnt vmcnt(1)
	v_lshlrev_b32_e32 v4, 16, v4
	s_waitcnt vmcnt(0)
	v_lshlrev_b32_e32 v12, 16, v12
.LBB101_12:                             ;   in Loop: Header=BB101_3 Depth=1
	s_or_b64 exec, exec, s[8:9]
	v_add_co_u32_e32 v61, vcc, 0xffffffc3, v57
	v_addc_co_u32_e32 v62, vcc, -1, v58, vcc
	v_cmp_gt_i64_e32 vcc, s[12:13], v[61:62]
	s_and_b64 s[34:35], s[2:3], vcc
	s_and_saveexec_b64 s[8:9], s[34:35]
	s_cbranch_execz .LBB101_14
; %bb.13:                               ;   in Loop: Header=BB101_3 Depth=1
	v_add_co_u32_e32 v61, vcc, v46, v19
	v_addc_co_u32_e32 v62, vcc, v47, v20, vcc
	global_load_ushort v5, v[61:62], off
	v_add_co_u32_e32 v61, vcc, v48, v19
	v_addc_co_u32_e32 v62, vcc, v49, v20, vcc
	global_load_ushort v13, v[61:62], off
	s_waitcnt vmcnt(1)
	v_lshlrev_b32_e32 v5, 16, v5
	s_waitcnt vmcnt(0)
	v_lshlrev_b32_e32 v13, 16, v13
.LBB101_14:                             ;   in Loop: Header=BB101_3 Depth=1
	;; [unrolled: 19-line block ×7, first 2 shown]
	s_or_b64 exec, exec, s[8:9]
	s_waitcnt vmcnt(1)
	ds_bpermute_b32 v61, v55, v60
	ds_bpermute_b32 v64, v55, v60 offset:4
	s_waitcnt vmcnt(0)
	ds_bpermute_b32 v62, v55, v59
	ds_bpermute_b32 v65, v55, v59 offset:4
	v_add_f32_e32 v63, v54, v3
	s_waitcnt lgkmcnt(3)
	v_sub_f32_e32 v11, v11, v61
	v_mul_f32_e32 v3, v3, v11
	s_waitcnt lgkmcnt(2)
	v_sub_f32_e32 v11, v12, v64
	ds_bpermute_b32 v12, v55, v60 offset:8
	s_waitcnt lgkmcnt(2)
	v_fma_f32 v3, v3, v62, v56
	v_mul_f32_e32 v11, v4, v11
	s_waitcnt lgkmcnt(1)
	v_fmac_f32_e32 v3, v11, v65
	ds_bpermute_b32 v11, v55, v59 offset:8
	s_waitcnt lgkmcnt(1)
	v_sub_f32_e32 v12, v13, v12
	ds_bpermute_b32 v13, v55, v60 offset:12
	v_mul_f32_e32 v12, v5, v12
	v_add_f32_e32 v4, v4, v63
	s_waitcnt lgkmcnt(1)
	v_fmac_f32_e32 v3, v12, v11
	ds_bpermute_b32 v11, v55, v59 offset:12
	v_add_f32_e32 v4, v5, v4
	s_waitcnt lgkmcnt(1)
	v_sub_f32_e32 v5, v14, v13
	ds_bpermute_b32 v12, v55, v60 offset:16
	v_mul_f32_e32 v5, v6, v5
	s_waitcnt lgkmcnt(1)
	v_fmac_f32_e32 v3, v5, v11
	ds_bpermute_b32 v5, v55, v59 offset:16
	v_add_f32_e32 v4, v6, v4
	s_waitcnt lgkmcnt(1)
	v_sub_f32_e32 v6, v15, v12
	ds_bpermute_b32 v11, v55, v60 offset:20
	v_mul_f32_e32 v6, v7, v6
	;; [unrolled: 8-line block ×3, first 2 shown]
	s_waitcnt lgkmcnt(1)
	v_fmac_f32_e32 v3, v6, v5
	ds_bpermute_b32 v6, v55, v59 offset:24
	v_add_f32_e32 v5, v8, v4
	ds_bpermute_b32 v59, v55, v59 offset:28
	ds_bpermute_b32 v4, v55, v60 offset:28
	s_waitcnt lgkmcnt(3)
	v_sub_f32_e32 v7, v17, v7
	v_mul_f32_e32 v7, v9, v7
	s_waitcnt lgkmcnt(2)
	v_fmac_f32_e32 v3, v7, v6
	v_add_f32_e32 v5, v9, v5
	s_mov_b64 s[8:9], 0
.LBB101_25:                             ;   in Loop: Header=BB101_3 Depth=1
	s_and_b64 vcc, exec, s[8:9]
	s_cbranch_vccz .LBB101_40
; %bb.26:                               ;   in Loop: Header=BB101_3 Depth=1
	s_load_dword s8, s[24:25], 0x0
	s_waitcnt lgkmcnt(0)
	v_mov_b32_e32 v59, 0
	v_mov_b32_e32 v60, 0
	s_cmp_lt_u32 s6, s8
	s_cselect_b32 s8, 12, 18
	s_add_u32 s8, s24, s8
	s_addc_u32 s9, s25, 0
	global_load_ushort v3, v2, s[8:9]
	s_waitcnt vmcnt(0)
	v_mad_u32_u24 v3, v1, v3, v0
	v_and_b32_e32 v3, 63, v3
	v_cmp_gt_u32_e32 vcc, 8, v3
	s_and_saveexec_b64 s[8:9], vcc
	s_cbranch_execz .LBB101_30
; %bb.27:                               ;   in Loop: Header=BB101_3 Depth=1
	v_add_co_u32_e32 v3, vcc, v57, v3
	v_addc_co_u32_e32 v4, vcc, 0, v58, vcc
	v_add_co_u32_e32 v3, vcc, 0xffffffc1, v3
	v_addc_co_u32_e32 v4, vcc, -1, v4, vcc
	v_cmp_gt_i64_e32 vcc, s[12:13], v[3:4]
	v_mov_b32_e32 v60, 0
	v_mov_b32_e32 v59, 0
	s_and_saveexec_b64 s[34:35], vcc
	s_cbranch_execz .LBB101_29
; %bb.28:                               ;   in Loop: Header=BB101_3 Depth=1
	v_lshlrev_b64 v[3:4], 2, v[3:4]
	v_mov_b32_e32 v6, s23
	v_add_co_u32_e32 v5, vcc, s22, v3
	v_addc_co_u32_e32 v6, vcc, v6, v4, vcc
	v_mov_b32_e32 v7, s21
	v_add_co_u32_e32 v3, vcc, s20, v3
	v_addc_co_u32_e32 v4, vcc, v7, v4, vcc
	global_load_dword v60, v[3:4], off
	global_load_dword v59, v[5:6], off
.LBB101_29:                             ;   in Loop: Header=BB101_3 Depth=1
	s_or_b64 exec, exec, s[34:35]
.LBB101_30:                             ;   in Loop: Header=BB101_3 Depth=1
	s_or_b64 exec, exec, s[8:9]
	v_mov_b32_e32 v9, v2
	v_mov_b32_e32 v3, v2
	;; [unrolled: 1-line block ×23, first 2 shown]
	s_and_saveexec_b64 s[8:9], s[2:3]
	s_cbranch_execnz .LBB101_42
; %bb.31:                               ;   in Loop: Header=BB101_3 Depth=1
	s_or_b64 exec, exec, s[8:9]
	s_and_saveexec_b64 s[8:9], s[2:3]
	s_cbranch_execnz .LBB101_43
.LBB101_32:                             ;   in Loop: Header=BB101_3 Depth=1
	s_or_b64 exec, exec, s[8:9]
	s_and_saveexec_b64 s[8:9], s[2:3]
	s_cbranch_execnz .LBB101_44
.LBB101_33:                             ;   in Loop: Header=BB101_3 Depth=1
	s_or_b64 exec, exec, s[8:9]
	s_and_saveexec_b64 s[8:9], s[2:3]
	s_cbranch_execnz .LBB101_45
.LBB101_34:                             ;   in Loop: Header=BB101_3 Depth=1
	s_or_b64 exec, exec, s[8:9]
	s_and_saveexec_b64 s[8:9], s[2:3]
	s_cbranch_execnz .LBB101_46
.LBB101_35:                             ;   in Loop: Header=BB101_3 Depth=1
	s_or_b64 exec, exec, s[8:9]
	s_and_saveexec_b64 s[8:9], s[2:3]
	s_cbranch_execnz .LBB101_47
.LBB101_36:                             ;   in Loop: Header=BB101_3 Depth=1
	s_or_b64 exec, exec, s[8:9]
	s_and_saveexec_b64 s[8:9], s[2:3]
	s_cbranch_execnz .LBB101_48
.LBB101_37:                             ;   in Loop: Header=BB101_3 Depth=1
	s_or_b64 exec, exec, s[8:9]
	s_and_saveexec_b64 s[8:9], s[2:3]
	s_cbranch_execz .LBB101_39
.LBB101_38:                             ;   in Loop: Header=BB101_3 Depth=1
	v_add_co_u32_e32 v57, vcc, v26, v19
	v_addc_co_u32_e32 v58, vcc, v27, v20, vcc
	global_load_ushort v10, v[57:58], off
	v_add_co_u32_e32 v57, vcc, v28, v19
	v_addc_co_u32_e32 v58, vcc, v29, v20, vcc
	global_load_ushort v18, v[57:58], off
	s_waitcnt vmcnt(1)
	v_lshlrev_b32_e32 v10, 16, v10
	s_waitcnt vmcnt(0)
	v_lshlrev_b32_e32 v18, 16, v18
.LBB101_39:                             ;   in Loop: Header=BB101_3 Depth=1
	s_or_b64 exec, exec, s[8:9]
	s_waitcnt vmcnt(1)
	ds_bpermute_b32 v57, v55, v60
	s_waitcnt vmcnt(0)
	ds_bpermute_b32 v58, v55, v59
	ds_bpermute_b32 v61, v55, v60 offset:4
	ds_bpermute_b32 v62, v55, v59 offset:4
	v_add_f32_e32 v54, v54, v3
	s_waitcnt lgkmcnt(3)
	v_sub_f32_e32 v11, v11, v57
	v_mul_f32_e32 v3, v3, v11
	s_waitcnt lgkmcnt(2)
	v_fmac_f32_e32 v56, v3, v58
	s_waitcnt lgkmcnt(1)
	v_sub_f32_e32 v3, v12, v61
	ds_bpermute_b32 v11, v55, v60 offset:8
	v_mul_f32_e32 v3, v4, v3
	s_waitcnt lgkmcnt(1)
	v_fmac_f32_e32 v56, v3, v62
	ds_bpermute_b32 v3, v55, v59 offset:8
	ds_bpermute_b32 v12, v55, v60 offset:12
	s_waitcnt lgkmcnt(2)
	v_sub_f32_e32 v11, v13, v11
	v_mul_f32_e32 v11, v5, v11
	v_add_f32_e32 v4, v4, v54
	s_waitcnt lgkmcnt(1)
	v_fmac_f32_e32 v56, v11, v3
	ds_bpermute_b32 v3, v55, v59 offset:12
	v_add_f32_e32 v4, v5, v4
	s_waitcnt lgkmcnt(1)
	v_sub_f32_e32 v5, v14, v12
	ds_bpermute_b32 v11, v55, v60 offset:16
	v_mul_f32_e32 v5, v6, v5
	s_waitcnt lgkmcnt(1)
	v_fmac_f32_e32 v56, v5, v3
	ds_bpermute_b32 v3, v55, v59 offset:16
	v_add_f32_e32 v4, v6, v4
	s_waitcnt lgkmcnt(1)
	v_sub_f32_e32 v5, v15, v11
	ds_bpermute_b32 v6, v55, v60 offset:20
	v_mul_f32_e32 v5, v7, v5
	;; [unrolled: 8-line block ×3, first 2 shown]
	s_waitcnt lgkmcnt(1)
	v_fmac_f32_e32 v56, v5, v3
	ds_bpermute_b32 v5, v55, v59 offset:24
	v_add_f32_e32 v3, v8, v4
	ds_bpermute_b32 v59, v55, v59 offset:28
	ds_bpermute_b32 v4, v55, v60 offset:28
	s_waitcnt lgkmcnt(3)
	v_sub_f32_e32 v6, v17, v6
	v_mul_f32_e32 v6, v9, v6
	s_waitcnt lgkmcnt(2)
	v_fmac_f32_e32 v56, v6, v5
	v_add_f32_e32 v5, v9, v3
	v_mov_b32_e32 v3, v56
.LBB101_40:                             ;   in Loop: Header=BB101_3 Depth=1
	s_waitcnt lgkmcnt(0)
	v_sub_f32_e32 v4, v18, v4
	v_mul_f32_e32 v4, v10, v4
	v_fmac_f32_e32 v3, v4, v59
	v_mov_b32_e32 v4, s27
	v_add_co_u32_e32 v22, vcc, s26, v22
	v_addc_co_u32_e32 v23, vcc, v23, v4, vcc
	v_add_co_u32_e32 v24, vcc, s26, v24
	v_addc_co_u32_e32 v25, vcc, v25, v4, vcc
	;; [unrolled: 2-line block ×15, first 2 shown]
	v_add_co_u32_e32 v52, vcc, s26, v52
	v_add_f32_e32 v54, v5, v10
	s_add_u32 s30, s30, s7
	v_addc_co_u32_e32 v53, vcc, v53, v4, vcc
	v_mov_b32_e32 v4, s12
	s_addc_u32 s31, s31, 0
	v_mov_b32_e32 v5, s13
	v_cmp_lt_i64_e32 vcc, s[30:31], v[4:5]
	s_add_u32 s28, s28, s7
	s_addc_u32 s29, s29, 0
	s_cbranch_vccz .LBB101_50
; %bb.41:                               ;   in Loop: Header=BB101_3 Depth=1
	v_mov_b32_e32 v56, v3
	s_branch .LBB101_3
.LBB101_42:                             ;   in Loop: Header=BB101_3 Depth=1
	v_add_co_u32_e32 v3, vcc, v22, v19
	v_addc_co_u32_e32 v4, vcc, v23, v20, vcc
	global_load_ushort v11, v[3:4], off
	v_add_co_u32_e32 v3, vcc, v24, v19
	v_addc_co_u32_e32 v4, vcc, v25, v20, vcc
	global_load_ushort v18, v[3:4], off
	v_mov_b32_e32 v4, v2
	v_mov_b32_e32 v5, v2
	;; [unrolled: 1-line block ×13, first 2 shown]
	s_waitcnt vmcnt(1)
	v_lshlrev_b32_e32 v3, 16, v11
	s_waitcnt vmcnt(0)
	v_lshlrev_b32_e32 v11, 16, v18
	v_mov_b32_e32 v18, v2
	s_or_b64 exec, exec, s[8:9]
	s_and_saveexec_b64 s[8:9], s[2:3]
	s_cbranch_execz .LBB101_32
.LBB101_43:                             ;   in Loop: Header=BB101_3 Depth=1
	v_add_co_u32_e32 v57, vcc, v50, v19
	v_addc_co_u32_e32 v58, vcc, v51, v20, vcc
	global_load_ushort v4, v[57:58], off
	v_add_co_u32_e32 v57, vcc, v52, v19
	v_addc_co_u32_e32 v58, vcc, v53, v20, vcc
	global_load_ushort v12, v[57:58], off
	s_waitcnt vmcnt(1)
	v_lshlrev_b32_e32 v4, 16, v4
	s_waitcnt vmcnt(0)
	v_lshlrev_b32_e32 v12, 16, v12
	s_or_b64 exec, exec, s[8:9]
	s_and_saveexec_b64 s[8:9], s[2:3]
	s_cbranch_execz .LBB101_33
.LBB101_44:                             ;   in Loop: Header=BB101_3 Depth=1
	v_add_co_u32_e32 v57, vcc, v46, v19
	v_addc_co_u32_e32 v58, vcc, v47, v20, vcc
	global_load_ushort v5, v[57:58], off
	v_add_co_u32_e32 v57, vcc, v48, v19
	v_addc_co_u32_e32 v58, vcc, v49, v20, vcc
	global_load_ushort v13, v[57:58], off
	s_waitcnt vmcnt(1)
	v_lshlrev_b32_e32 v5, 16, v5
	s_waitcnt vmcnt(0)
	v_lshlrev_b32_e32 v13, 16, v13
	s_or_b64 exec, exec, s[8:9]
	s_and_saveexec_b64 s[8:9], s[2:3]
	s_cbranch_execz .LBB101_34
.LBB101_45:                             ;   in Loop: Header=BB101_3 Depth=1
	v_add_co_u32_e32 v57, vcc, v42, v19
	v_addc_co_u32_e32 v58, vcc, v43, v20, vcc
	global_load_ushort v6, v[57:58], off
	v_add_co_u32_e32 v57, vcc, v44, v19
	v_addc_co_u32_e32 v58, vcc, v45, v20, vcc
	global_load_ushort v14, v[57:58], off
	s_waitcnt vmcnt(1)
	v_lshlrev_b32_e32 v6, 16, v6
	s_waitcnt vmcnt(0)
	v_lshlrev_b32_e32 v14, 16, v14
	s_or_b64 exec, exec, s[8:9]
	s_and_saveexec_b64 s[8:9], s[2:3]
	s_cbranch_execz .LBB101_35
.LBB101_46:                             ;   in Loop: Header=BB101_3 Depth=1
	v_add_co_u32_e32 v57, vcc, v38, v19
	v_addc_co_u32_e32 v58, vcc, v39, v20, vcc
	global_load_ushort v7, v[57:58], off
	v_add_co_u32_e32 v57, vcc, v40, v19
	v_addc_co_u32_e32 v58, vcc, v41, v20, vcc
	global_load_ushort v15, v[57:58], off
	s_waitcnt vmcnt(1)
	v_lshlrev_b32_e32 v7, 16, v7
	s_waitcnt vmcnt(0)
	v_lshlrev_b32_e32 v15, 16, v15
	s_or_b64 exec, exec, s[8:9]
	s_and_saveexec_b64 s[8:9], s[2:3]
	s_cbranch_execz .LBB101_36
.LBB101_47:                             ;   in Loop: Header=BB101_3 Depth=1
	v_add_co_u32_e32 v57, vcc, v34, v19
	v_addc_co_u32_e32 v58, vcc, v35, v20, vcc
	global_load_ushort v8, v[57:58], off
	v_add_co_u32_e32 v57, vcc, v36, v19
	v_addc_co_u32_e32 v58, vcc, v37, v20, vcc
	global_load_ushort v16, v[57:58], off
	s_waitcnt vmcnt(1)
	v_lshlrev_b32_e32 v8, 16, v8
	s_waitcnt vmcnt(0)
	v_lshlrev_b32_e32 v16, 16, v16
	s_or_b64 exec, exec, s[8:9]
	s_and_saveexec_b64 s[8:9], s[2:3]
	s_cbranch_execz .LBB101_37
.LBB101_48:                             ;   in Loop: Header=BB101_3 Depth=1
	v_add_co_u32_e32 v57, vcc, v30, v19
	v_addc_co_u32_e32 v58, vcc, v31, v20, vcc
	global_load_ushort v9, v[57:58], off
	v_add_co_u32_e32 v57, vcc, v32, v19
	v_addc_co_u32_e32 v58, vcc, v33, v20, vcc
	global_load_ushort v17, v[57:58], off
	s_waitcnt vmcnt(1)
	v_lshlrev_b32_e32 v9, 16, v9
	s_waitcnt vmcnt(0)
	v_lshlrev_b32_e32 v17, 16, v17
	s_or_b64 exec, exec, s[8:9]
	s_and_saveexec_b64 s[8:9], s[2:3]
	s_cbranch_execnz .LBB101_38
	s_branch .LBB101_39
.LBB101_49:
                                        ; implicit-def: $vgpr3
                                        ; implicit-def: $vgpr54
	s_branch .LBB101_51
.LBB101_50:
	s_cbranch_execnz .LBB101_83
.LBB101_51:
	v_mov_b32_e32 v3, 0
	s_and_b64 vcc, exec, s[0:1]
	v_mov_b32_e32 v54, 0
	s_cbranch_vccnz .LBB101_83
; %bb.52:
	v_lshlrev_b32_e32 v49, 3, v1
	v_add_co_u32_e32 v6, vcc, s10, v49
	v_addc_co_u32_e64 v7, s[0:1], 0, 0, vcc
	s_load_dword s7, s[4:5], 0x44
	v_mul_lo_u32 v2, s15, v6
	v_mul_lo_u32 v3, s14, v7
	v_mad_u64_u32 v[4:5], s[0:1], s14, v6, 0
	s_add_u32 s2, s4, 64
	s_addc_u32 s3, s5, 0
	v_add3_u32 v5, v5, v3, v2
	s_waitcnt lgkmcnt(0)
	s_lshl_b32 s7, s7, 6
	v_lshlrev_b64 v[2:3], 1, v[4:5]
	s_mul_i32 s0, s15, s7
	s_mul_hi_u32 s1, s14, s7
	v_mov_b32_e32 v8, s17
	v_add_co_u32_e32 v50, vcc, s16, v2
	s_add_i32 s1, s1, s0
	s_mul_i32 s0, s14, s7
	v_addc_co_u32_e32 v51, vcc, v8, v3, vcc
	s_lshl_b64 s[8:9], s[0:1], 1
	v_mov_b32_e32 v8, s19
	v_add_co_u32_e32 v52, vcc, s18, v2
	s_add_u32 s24, s10, 63
	v_addc_co_u32_e32 v53, vcc, v8, v3, vcc
	s_addc_u32 s25, 0, 0
	v_lshlrev_b32_e32 v2, 4, v1
	s_lshl_b64 s[0:1], s[10:11], 1
	v_mov_b32_e32 v3, s1
	v_add_co_u32_e32 v8, vcc, s0, v2
	v_addc_co_u32_e32 v9, vcc, 0, v3, vcc
	v_add_co_u32_e32 v12, vcc, 2, v8
	v_addc_co_u32_e32 v10, vcc, 0, v9, vcc
	v_mov_b32_e32 v2, s16
	v_mul_lo_u32 v14, s14, v10
	v_mov_b32_e32 v10, s18
	v_mov_b32_e32 v3, s17
	v_mov_b32_e32 v11, s19
	v_mad_u64_u32 v[19:20], s[0:1], s14, v12, v[2:3]
	v_mul_lo_u32 v15, s15, v12
	v_mad_u64_u32 v[21:22], s[0:1], s14, v12, v[10:11]
	v_add_co_u32_e32 v12, vcc, 4, v8
	v_addc_co_u32_e32 v16, vcc, 0, v9, vcc
	v_mov_b32_e32 v13, s15
	v_add_co_u32_e32 v4, vcc, s14, v4
	v_addc_co_u32_e32 v5, vcc, v5, v13, vcc
	v_mul_lo_u32 v17, s15, v12
	v_mad_u64_u32 v[23:24], s[0:1], s14, v12, v[2:3]
	v_mad_u64_u32 v[25:26], s[0:1], s14, v12, v[10:11]
	v_add_co_u32_e32 v12, vcc, 6, v8
	v_addc_co_u32_e32 v13, vcc, 0, v9, vcc
	v_add3_u32 v20, v15, v20, v14
	v_add3_u32 v22, v15, v22, v14
	v_mul_lo_u32 v13, s14, v13
	v_mul_lo_u32 v14, s15, v12
	v_mad_u64_u32 v[27:28], s[0:1], s14, v12, v[2:3]
	v_mad_u64_u32 v[29:30], s[0:1], s14, v12, v[10:11]
	v_add_co_u32_e32 v12, vcc, 8, v8
	v_mul_lo_u32 v16, s14, v16
	v_addc_co_u32_e32 v15, vcc, 0, v9, vcc
	v_mul_lo_u32 v18, s15, v12
	v_mad_u64_u32 v[31:32], s[0:1], s14, v12, v[2:3]
	v_mad_u64_u32 v[33:34], s[0:1], s14, v12, v[10:11]
	v_add_co_u32_e32 v12, vcc, 10, v8
	v_add3_u32 v28, v14, v28, v13
	v_add3_u32 v30, v14, v30, v13
	v_addc_co_u32_e32 v13, vcc, 0, v9, vcc
	v_mul_lo_u32 v14, s15, v12
	v_mad_u64_u32 v[35:36], s[0:1], s14, v12, v[2:3]
	v_mad_u64_u32 v[37:38], s[0:1], s14, v12, v[10:11]
	v_add_co_u32_e32 v12, vcc, 12, v8
	v_add3_u32 v24, v17, v24, v16
	v_add3_u32 v26, v17, v26, v16
	v_addc_co_u32_e32 v16, vcc, 0, v9, vcc
	v_add_co_u32_e32 v8, vcc, 14, v8
	v_addc_co_u32_e32 v9, vcc, 0, v9, vcc
	v_mad_u64_u32 v[39:40], s[0:1], s14, v12, v[2:3]
	v_mad_u64_u32 v[43:44], s[0:1], s14, v8, v[2:3]
	v_add_co_u32_e32 v2, vcc, 7, v6
	v_addc_co_u32_e32 v3, vcc, 0, v7, vcc
	v_mad_u64_u32 v[41:42], s[0:1], s14, v12, v[10:11]
	v_mad_u64_u32 v[45:46], s[0:1], s14, v8, v[10:11]
	v_mul_lo_u32 v10, s14, v3
	v_mul_lo_u32 v11, s15, v2
	v_mad_u64_u32 v[2:3], s[0:1], s14, v2, 0
	v_mul_lo_u32 v9, s14, v9
	v_mul_lo_u32 v8, s15, v8
	v_add3_u32 v3, v3, v10, v11
	v_lshlrev_b64 v[2:3], 1, v[2:3]
	v_mul_lo_u32 v17, s15, v12
	v_add3_u32 v44, v8, v44, v9
	v_add3_u32 v46, v8, v46, v9
	v_mov_b32_e32 v8, s17
	v_add_co_u32_e32 v55, vcc, s16, v2
	v_addc_co_u32_e32 v56, vcc, v8, v3, vcc
	v_add_co_u32_e32 v8, vcc, 6, v6
	v_addc_co_u32_e32 v9, vcc, 0, v7, vcc
	v_mul_lo_u32 v11, s14, v9
	v_mul_lo_u32 v12, s15, v8
	v_mad_u64_u32 v[8:9], s[0:1], s14, v8, 0
	v_mov_b32_e32 v10, s19
	v_add_co_u32_e32 v57, vcc, s18, v2
	v_add3_u32 v9, v9, v11, v12
	v_addc_co_u32_e32 v58, vcc, v10, v3, vcc
	v_lshlrev_b64 v[2:3], 1, v[8:9]
	v_mov_b32_e32 v8, s17
	v_add_co_u32_e32 v59, vcc, s16, v2
	v_addc_co_u32_e32 v60, vcc, v8, v3, vcc
	v_add_co_u32_e32 v8, vcc, 5, v6
	v_addc_co_u32_e32 v9, vcc, 0, v7, vcc
	v_mul_lo_u32 v11, s14, v9
	v_mul_lo_u32 v12, s15, v8
	v_mad_u64_u32 v[8:9], s[0:1], s14, v8, 0
	v_add_co_u32_e32 v61, vcc, s18, v2
	v_add3_u32 v9, v9, v11, v12
	v_addc_co_u32_e32 v62, vcc, v10, v3, vcc
	v_lshlrev_b64 v[2:3], 1, v[8:9]
	v_mov_b32_e32 v8, s17
	v_add_co_u32_e32 v63, vcc, s16, v2
	v_addc_co_u32_e32 v64, vcc, v8, v3, vcc
	v_add_co_u32_e32 v8, vcc, 4, v6
	v_addc_co_u32_e32 v9, vcc, 0, v7, vcc
	v_mul_lo_u32 v11, s14, v9
	v_mul_lo_u32 v12, s15, v8
	v_mad_u64_u32 v[8:9], s[0:1], s14, v8, 0
	;; [unrolled: 12-line block ×4, first 2 shown]
	v_mov_b32_e32 v8, s19
	v_add_co_u32_e32 v73, vcc, s18, v2
	v_add3_u32 v7, v7, v9, v10
	v_addc_co_u32_e32 v74, vcc, v8, v3, vcc
	v_lshlrev_b64 v[2:3], 1, v[6:7]
	v_mov_b32_e32 v6, s17
	v_add_co_u32_e32 v75, vcc, s16, v2
	v_addc_co_u32_e32 v76, vcc, v6, v3, vcc
	v_mov_b32_e32 v6, s19
	v_add_co_u32_e32 v77, vcc, s18, v2
	v_addc_co_u32_e32 v78, vcc, v6, v3, vcc
	v_lshlrev_b64 v[2:3], 1, v[4:5]
	v_mov_b32_e32 v4, s17
	v_add_co_u32_e32 v79, vcc, s16, v2
	v_addc_co_u32_e32 v80, vcc, v4, v3, vcc
	v_mov_b32_e32 v4, s19
	v_add_co_u32_e32 v81, vcc, s18, v2
	v_mov_b32_e32 v2, 0
	v_mul_lo_u32 v15, s14, v15
	v_mul_lo_u32 v13, s14, v13
	v_mul_lo_u32 v16, s14, v16
	v_addc_co_u32_e32 v82, vcc, v4, v3, vcc
	v_add_u32_e32 v3, s33, v0
	v_mov_b32_e32 v4, v2
	v_lshlrev_b64 v[47:48], 1, v[3:4]
	v_mbcnt_lo_u32_b32 v3, -1, 0
	v_mbcnt_hi_u32_b32 v3, -1, v3
	v_lshlrev_b32_e32 v3, 2, v3
	v_add3_u32 v32, v18, v32, v15
	v_add3_u32 v34, v18, v34, v15
	;; [unrolled: 1-line block ×6, first 2 shown]
	v_and_b32_e32 v83, 0x100, v3
	v_mov_b32_e32 v85, 0
	v_mov_b32_e32 v84, 0
.LBB101_53:                             ; =>This Inner Loop Header: Depth=1
	v_mov_b32_e32 v3, s12
	v_mov_b32_e32 v4, s13
	v_cmp_ge_i64_e32 vcc, s[24:25], v[3:4]
	v_mov_b32_e32 v3, s25
	v_add_co_u32_e64 v86, s[0:1], s24, v49
	v_addc_co_u32_e64 v87, s[0:1], 0, v3, s[0:1]
	s_mov_b64 s[0:1], -1
                                        ; implicit-def: $vgpr54
                                        ; implicit-def: $vgpr3
	s_cbranch_vccz .LBB101_75
; %bb.54:                               ;   in Loop: Header=BB101_53 Depth=1
	s_load_dword s0, s[2:3], 0xc
	v_mov_b32_e32 v54, 0
	v_mov_b32_e32 v88, 0
	s_waitcnt lgkmcnt(0)
	s_and_b32 s0, s0, 0xffff
	v_mad_u32_u24 v3, v1, s0, v0
	v_and_b32_e32 v3, 63, v3
	v_cmp_gt_u32_e32 vcc, 8, v3
	s_and_saveexec_b64 s[0:1], vcc
	s_cbranch_execz .LBB101_58
; %bb.55:                               ;   in Loop: Header=BB101_53 Depth=1
	v_add_co_u32_e32 v3, vcc, v86, v3
	v_addc_co_u32_e32 v4, vcc, 0, v87, vcc
	v_add_co_u32_e32 v3, vcc, 0xffffffc1, v3
	v_addc_co_u32_e32 v4, vcc, -1, v4, vcc
	v_cmp_gt_i64_e32 vcc, s[12:13], v[3:4]
	v_mov_b32_e32 v88, 0
	v_mov_b32_e32 v54, 0
	s_and_saveexec_b64 s[16:17], vcc
	s_cbranch_execz .LBB101_57
; %bb.56:                               ;   in Loop: Header=BB101_53 Depth=1
	v_lshlrev_b64 v[3:4], 2, v[3:4]
	v_mov_b32_e32 v6, s23
	v_add_co_u32_e32 v5, vcc, s22, v3
	v_addc_co_u32_e32 v6, vcc, v6, v4, vcc
	v_mov_b32_e32 v7, s21
	v_add_co_u32_e32 v3, vcc, s20, v3
	v_addc_co_u32_e32 v4, vcc, v7, v4, vcc
	global_load_dword v88, v[3:4], off
	global_load_dword v54, v[5:6], off
.LBB101_57:                             ;   in Loop: Header=BB101_53 Depth=1
	s_or_b64 exec, exec, s[16:17]
.LBB101_58:                             ;   in Loop: Header=BB101_53 Depth=1
	s_or_b64 exec, exec, s[0:1]
	v_add_co_u32_e32 v3, vcc, 0xffffffc1, v86
	v_addc_co_u32_e32 v4, vcc, -1, v87, vcc
	v_mov_b32_e32 v9, v2
	v_cmp_gt_i64_e32 vcc, s[12:13], v[3:4]
	v_mov_b32_e32 v3, v2
	v_mov_b32_e32 v4, v2
	;; [unrolled: 1-line block ×22, first 2 shown]
	s_and_saveexec_b64 s[0:1], vcc
	s_cbranch_execz .LBB101_60
; %bb.59:                               ;   in Loop: Header=BB101_53 Depth=1
	v_add_co_u32_e32 v3, vcc, v50, v47
	v_addc_co_u32_e32 v4, vcc, v51, v48, vcc
	global_load_ushort v11, v[3:4], off
	v_add_co_u32_e32 v3, vcc, v52, v47
	v_addc_co_u32_e32 v4, vcc, v53, v48, vcc
	global_load_ushort v18, v[3:4], off
	v_mov_b32_e32 v4, v2
	v_mov_b32_e32 v5, v2
	;; [unrolled: 1-line block ×13, first 2 shown]
	s_waitcnt vmcnt(1)
	v_lshlrev_b32_e32 v3, 16, v11
	s_waitcnt vmcnt(0)
	v_lshlrev_b32_e32 v11, 16, v18
	v_mov_b32_e32 v18, v2
.LBB101_60:                             ;   in Loop: Header=BB101_53 Depth=1
	s_or_b64 exec, exec, s[0:1]
	v_add_co_u32_e32 v89, vcc, 0xffffffc2, v86
	v_addc_co_u32_e32 v90, vcc, -1, v87, vcc
	v_cmp_gt_i64_e32 vcc, s[12:13], v[89:90]
	s_and_saveexec_b64 s[0:1], vcc
	s_cbranch_execz .LBB101_62
; %bb.61:                               ;   in Loop: Header=BB101_53 Depth=1
	v_add_co_u32_e32 v89, vcc, v79, v47
	v_addc_co_u32_e32 v90, vcc, v80, v48, vcc
	global_load_ushort v4, v[89:90], off
	v_add_co_u32_e32 v89, vcc, v81, v47
	v_addc_co_u32_e32 v90, vcc, v82, v48, vcc
	global_load_ushort v12, v[89:90], off
	s_waitcnt vmcnt(1)
	v_lshlrev_b32_e32 v4, 16, v4
	s_waitcnt vmcnt(0)
	v_lshlrev_b32_e32 v12, 16, v12
.LBB101_62:                             ;   in Loop: Header=BB101_53 Depth=1
	s_or_b64 exec, exec, s[0:1]
	v_add_co_u32_e32 v89, vcc, 0xffffffc3, v86
	v_addc_co_u32_e32 v90, vcc, -1, v87, vcc
	v_cmp_gt_i64_e32 vcc, s[12:13], v[89:90]
	s_and_saveexec_b64 s[0:1], vcc
	s_cbranch_execz .LBB101_64
; %bb.63:                               ;   in Loop: Header=BB101_53 Depth=1
	v_add_co_u32_e32 v89, vcc, v75, v47
	v_addc_co_u32_e32 v90, vcc, v76, v48, vcc
	global_load_ushort v5, v[89:90], off
	v_add_co_u32_e32 v89, vcc, v77, v47
	v_addc_co_u32_e32 v90, vcc, v78, v48, vcc
	global_load_ushort v13, v[89:90], off
	s_waitcnt vmcnt(1)
	v_lshlrev_b32_e32 v5, 16, v5
	s_waitcnt vmcnt(0)
	v_lshlrev_b32_e32 v13, 16, v13
.LBB101_64:                             ;   in Loop: Header=BB101_53 Depth=1
	;; [unrolled: 18-line block ×7, first 2 shown]
	s_or_b64 exec, exec, s[0:1]
	s_waitcnt vmcnt(1)
	ds_bpermute_b32 v89, v83, v88
	ds_bpermute_b32 v92, v83, v88 offset:4
	s_waitcnt vmcnt(0)
	ds_bpermute_b32 v90, v83, v54
	ds_bpermute_b32 v93, v83, v54 offset:4
	v_add_f32_e32 v91, v85, v3
	s_waitcnt lgkmcnt(3)
	v_sub_f32_e32 v11, v11, v89
	v_mul_f32_e32 v3, v3, v11
	s_waitcnt lgkmcnt(2)
	v_sub_f32_e32 v11, v12, v92
	ds_bpermute_b32 v12, v83, v88 offset:8
	s_waitcnt lgkmcnt(2)
	v_fma_f32 v3, v3, v90, v84
	v_mul_f32_e32 v11, v4, v11
	s_waitcnt lgkmcnt(1)
	v_fmac_f32_e32 v3, v11, v93
	ds_bpermute_b32 v11, v83, v54 offset:8
	s_waitcnt lgkmcnt(1)
	v_sub_f32_e32 v12, v13, v12
	ds_bpermute_b32 v13, v83, v88 offset:12
	v_mul_f32_e32 v12, v5, v12
	v_add_f32_e32 v4, v4, v91
	s_waitcnt lgkmcnt(1)
	v_fmac_f32_e32 v3, v12, v11
	ds_bpermute_b32 v11, v83, v54 offset:12
	v_add_f32_e32 v4, v5, v4
	s_waitcnt lgkmcnt(1)
	v_sub_f32_e32 v5, v14, v13
	ds_bpermute_b32 v12, v83, v88 offset:16
	v_mul_f32_e32 v5, v6, v5
	s_waitcnt lgkmcnt(1)
	v_fmac_f32_e32 v3, v5, v11
	ds_bpermute_b32 v5, v83, v54 offset:16
	v_add_f32_e32 v4, v6, v4
	s_waitcnt lgkmcnt(1)
	v_sub_f32_e32 v6, v15, v12
	ds_bpermute_b32 v11, v83, v88 offset:20
	v_mul_f32_e32 v6, v7, v6
	s_waitcnt lgkmcnt(1)
	v_fmac_f32_e32 v3, v6, v5
	ds_bpermute_b32 v5, v83, v54 offset:20
	v_add_f32_e32 v4, v7, v4
	ds_bpermute_b32 v7, v83, v88 offset:24
	s_waitcnt lgkmcnt(2)
	v_sub_f32_e32 v6, v16, v11
	v_mul_f32_e32 v6, v8, v6
	s_waitcnt lgkmcnt(1)
	v_fmac_f32_e32 v3, v6, v5
	ds_bpermute_b32 v5, v83, v54 offset:24
	s_waitcnt lgkmcnt(1)
	v_sub_f32_e32 v6, v17, v7
	ds_bpermute_b32 v7, v83, v88 offset:28
	v_add_f32_e32 v4, v8, v4
	ds_bpermute_b32 v8, v83, v54 offset:28
	v_mul_f32_e32 v6, v9, v6
	s_waitcnt lgkmcnt(2)
	v_fmac_f32_e32 v3, v6, v5
	s_waitcnt lgkmcnt(1)
	v_sub_f32_e32 v5, v18, v7
	v_add_f32_e32 v4, v9, v4
	v_mul_f32_e32 v5, v10, v5
	s_waitcnt lgkmcnt(0)
	v_fmac_f32_e32 v3, v5, v8
	v_add_f32_e32 v54, v10, v4
	s_mov_b64 s[0:1], 0
.LBB101_75:                             ;   in Loop: Header=BB101_53 Depth=1
	s_and_b64 vcc, exec, s[0:1]
	s_cbranch_vccz .LBB101_81
; %bb.76:                               ;   in Loop: Header=BB101_53 Depth=1
	s_load_dword s0, s[2:3], 0x0
	v_mov_b32_e32 v5, 0
	v_mov_b32_e32 v6, 0
	s_waitcnt lgkmcnt(0)
	s_cmp_lt_u32 s6, s0
	s_cselect_b32 s0, 12, 18
	s_add_u32 s0, s2, s0
	s_addc_u32 s1, s3, 0
	global_load_ushort v3, v2, s[0:1]
	s_waitcnt vmcnt(0)
	v_mad_u32_u24 v3, v1, v3, v0
	v_and_b32_e32 v3, 63, v3
	v_cmp_gt_u32_e32 vcc, 8, v3
	s_and_saveexec_b64 s[0:1], vcc
	s_cbranch_execz .LBB101_80
; %bb.77:                               ;   in Loop: Header=BB101_53 Depth=1
	v_add_co_u32_e32 v3, vcc, v86, v3
	v_addc_co_u32_e32 v4, vcc, 0, v87, vcc
	v_add_co_u32_e32 v3, vcc, 0xffffffc1, v3
	v_addc_co_u32_e32 v4, vcc, -1, v4, vcc
	v_cmp_gt_i64_e32 vcc, s[12:13], v[3:4]
	v_mov_b32_e32 v6, 0
	v_mov_b32_e32 v5, 0
	s_and_saveexec_b64 s[16:17], vcc
	s_cbranch_execz .LBB101_79
; %bb.78:                               ;   in Loop: Header=BB101_53 Depth=1
	v_lshlrev_b64 v[3:4], 2, v[3:4]
	v_mov_b32_e32 v5, s23
	v_add_co_u32_e32 v7, vcc, s22, v3
	v_addc_co_u32_e32 v8, vcc, v5, v4, vcc
	v_mov_b32_e32 v5, s21
	v_add_co_u32_e32 v3, vcc, s20, v3
	v_addc_co_u32_e32 v4, vcc, v5, v4, vcc
	global_load_dword v6, v[3:4], off
	global_load_dword v5, v[7:8], off
.LBB101_79:                             ;   in Loop: Header=BB101_53 Depth=1
	s_or_b64 exec, exec, s[16:17]
.LBB101_80:                             ;   in Loop: Header=BB101_53 Depth=1
	s_or_b64 exec, exec, s[0:1]
	v_add_co_u32_e32 v3, vcc, v50, v47
	v_addc_co_u32_e32 v4, vcc, v51, v48, vcc
	global_load_ushort v7, v[3:4], off
	v_add_co_u32_e32 v3, vcc, v52, v47
	v_addc_co_u32_e32 v4, vcc, v53, v48, vcc
	global_load_ushort v8, v[3:4], off
	;; [unrolled: 3-line block ×16, first 2 shown]
	s_waitcnt vmcnt(16)
	ds_bpermute_b32 v88, v83, v5
	s_waitcnt vmcnt(15)
	v_lshlrev_b32_e32 v4, 16, v7
	s_waitcnt vmcnt(14)
	v_lshlrev_b32_e32 v7, 16, v8
	;; [unrolled: 2-line block ×13, first 2 shown]
	ds_bpermute_b32 v54, v83, v6
	s_waitcnt vmcnt(2)
	v_lshlrev_b32_e32 v86, 16, v86
	s_waitcnt lgkmcnt(0)
	v_sub_f32_e32 v7, v7, v54
	ds_bpermute_b32 v54, v83, v6 offset:4
	v_mul_f32_e32 v7, v7, v4
	v_fmac_f32_e32 v84, v7, v88
	ds_bpermute_b32 v7, v83, v5 offset:4
	v_add_f32_e32 v4, v85, v4
	s_waitcnt lgkmcnt(1)
	v_sub_f32_e32 v9, v9, v54
	ds_bpermute_b32 v54, v83, v6 offset:8
	v_mul_f32_e32 v9, v9, v8
	s_waitcnt lgkmcnt(1)
	v_fmac_f32_e32 v84, v9, v7
	ds_bpermute_b32 v7, v83, v5 offset:8
	v_add_f32_e32 v4, v4, v8
	s_waitcnt lgkmcnt(1)
	v_sub_f32_e32 v8, v11, v54
	ds_bpermute_b32 v9, v83, v6 offset:12
	v_mul_f32_e32 v8, v8, v10
	s_waitcnt lgkmcnt(1)
	;; [unrolled: 8-line block ×3, first 2 shown]
	v_fmac_f32_e32 v84, v8, v7
	ds_bpermute_b32 v7, v83, v5 offset:16
	s_waitcnt vmcnt(0)
	v_lshlrev_b32_e32 v3, 16, v3
	s_waitcnt lgkmcnt(1)
	v_sub_f32_e32 v8, v15, v9
	ds_bpermute_b32 v9, v83, v6 offset:20
	v_mul_f32_e32 v8, v8, v14
	s_waitcnt lgkmcnt(1)
	v_fmac_f32_e32 v84, v8, v7
	ds_bpermute_b32 v7, v83, v5 offset:20
	v_add_f32_e32 v4, v4, v12
	s_waitcnt lgkmcnt(1)
	v_sub_f32_e32 v8, v17, v9
	ds_bpermute_b32 v9, v83, v6 offset:24
	v_mul_f32_e32 v8, v8, v16
	ds_bpermute_b32 v6, v83, v6 offset:28
	s_waitcnt lgkmcnt(2)
	v_fmac_f32_e32 v84, v8, v7
	ds_bpermute_b32 v7, v83, v5 offset:24
	ds_bpermute_b32 v5, v83, v5 offset:28
	s_waitcnt lgkmcnt(3)
	v_sub_f32_e32 v8, v86, v9
	v_lshlrev_b32_e32 v87, 16, v87
	v_add_f32_e32 v4, v4, v14
	v_mul_f32_e32 v8, v8, v18
	s_waitcnt lgkmcnt(2)
	v_sub_f32_e32 v3, v3, v6
	v_add_f32_e32 v4, v4, v16
	s_waitcnt lgkmcnt(1)
	v_fmac_f32_e32 v84, v8, v7
	v_mul_f32_e32 v3, v3, v87
	v_add_f32_e32 v4, v4, v18
	s_waitcnt lgkmcnt(0)
	v_fmac_f32_e32 v84, v3, v5
	v_add_f32_e32 v54, v4, v87
	v_mov_b32_e32 v3, v84
.LBB101_81:                             ;   in Loop: Header=BB101_53 Depth=1
	v_mov_b32_e32 v6, s9
	v_add_co_u32_e32 v50, vcc, s8, v50
	v_addc_co_u32_e32 v51, vcc, v51, v6, vcc
	v_add_co_u32_e32 v52, vcc, s8, v52
	v_addc_co_u32_e32 v53, vcc, v53, v6, vcc
	;; [unrolled: 2-line block ×28, first 2 shown]
	s_add_u32 s10, s10, s7
	v_add_co_u32_e32 v79, vcc, s8, v79
	v_mov_b32_e32 v4, s12
	s_addc_u32 s11, s11, 0
	v_addc_co_u32_e32 v80, vcc, v80, v6, vcc
	v_mov_b32_e32 v5, s13
	v_cmp_ge_i64_e32 vcc, s[10:11], v[4:5]
	s_add_u32 s24, s24, s7
	v_add_co_u32_e64 v81, s[0:1], s8, v81
	s_addc_u32 s25, s25, 0
	v_addc_co_u32_e64 v82, s[0:1], v82, v6, s[0:1]
	s_cbranch_vccnz .LBB101_83
; %bb.82:                               ;   in Loop: Header=BB101_53 Depth=1
	v_mov_b32_e32 v85, v54
	v_mov_b32_e32 v84, v3
	s_branch .LBB101_53
.LBB101_83:
	s_movk_i32 s0, 0x41
	v_mad_u32_u24 v2, v1, s0, v0
	v_lshl_add_u32 v2, v2, 2, 0
	ds_write_b32 v2, v3
	ds_write_b32 v2, v54 offset:2080
	v_lshrrev_b32_e32 v2, 6, v0
	v_add_u32_e32 v2, v2, v1
	v_cmp_gt_u32_e32 vcc, 64, v2
	s_waitcnt lgkmcnt(0)
	s_barrier
	s_and_saveexec_b64 s[0:1], vcc
	s_cbranch_execz .LBB101_147
; %bb.84:
	s_load_dwordx4 s[8:11], s[4:5], 0x30
	v_and_b32_e32 v1, 63, v0
	v_cmp_gt_u32_e64 s[0:1], 8, v1
	v_mul_u32_u24_e32 v3, 0x41, v1
                                        ; implicit-def: $vgpr1
                                        ; implicit-def: $vgpr5
	s_and_saveexec_b64 s[2:3], s[0:1]
	s_cbranch_execz .LBB101_86
; %bb.85:
	v_add_u32_e32 v1, v2, v3
	v_lshl_add_u32 v1, v1, 2, 0
	ds_read_b32 v5, v1
	ds_read_b32 v1, v1 offset:2080
.LBB101_86:
	s_or_b64 exec, exec, s[2:3]
	v_mbcnt_lo_u32_b32 v4, -1, 0
	v_mbcnt_hi_u32_b32 v6, -1, v4
	v_and_b32_e32 v4, 64, v6
	v_add_u32_e32 v7, 64, v4
	v_xor_b32_e32 v4, 4, v6
	v_cmp_lt_i32_e32 vcc, v4, v7
	v_cndmask_b32_e32 v4, v6, v4, vcc
	v_lshlrev_b32_e32 v4, 2, v4
	s_waitcnt lgkmcnt(0)
	ds_bpermute_b32 v8, v4, v5
	ds_bpermute_b32 v9, v4, v1
	v_cmp_eq_u32_e64 s[2:3], 0, v0
	s_mov_b32 s7, 0
	s_lshl_b64 s[4:5], s[6:7], 6
	s_waitcnt lgkmcnt(1)
	v_add_f32_e32 v8, v5, v8
	v_xor_b32_e32 v5, 2, v6
	v_cmp_lt_i32_e32 vcc, v5, v7
	v_cndmask_b32_e32 v5, v6, v5, vcc
	v_lshlrev_b32_e32 v5, 2, v5
	ds_bpermute_b32 v10, v5, v8
	s_waitcnt lgkmcnt(1)
	v_add_f32_e32 v0, v1, v9
	v_xor_b32_e32 v9, 1, v6
	v_cmp_lt_i32_e32 vcc, v9, v7
	v_cndmask_b32_e32 v6, v6, v9, vcc
	s_waitcnt lgkmcnt(0)
	v_add_f32_e32 v1, v8, v10
	ds_bpermute_b32 v8, v5, v0
	v_lshlrev_b32_e32 v6, 2, v6
	ds_bpermute_b32 v7, v6, v1
	s_cmp_lg_u64 s[8:9], 0
	s_cselect_b64 s[12:13], -1, 0
	s_waitcnt lgkmcnt(1)
	v_add_f32_e32 v8, v0, v8
	ds_bpermute_b32 v9, v6, v8
	s_waitcnt lgkmcnt(1)
	v_add_f32_e32 v7, v1, v7
	v_or_b32_e32 v0, s4, v2
	v_mov_b32_e32 v1, s5
	v_cmp_gt_i64_e32 vcc, s[14:15], v[0:1]
	s_cmp_lg_u64 s[10:11], 0
	s_cselect_b64 s[6:7], -1, 0
	s_waitcnt lgkmcnt(0)
	v_add_f32_e32 v8, v8, v9
	s_and_b64 s[18:19], s[2:3], vcc
	s_and_saveexec_b64 s[16:17], s[18:19]
	s_cbranch_execz .LBB101_91
; %bb.87:
	v_lshlrev_b64 v[0:1], 1, v[0:1]
	s_andn2_b64 vcc, exec, s[12:13]
	s_cbranch_vccnz .LBB101_89
; %bb.88:
	v_bfe_u32 v9, v7, 16, 1
	s_movk_i32 s18, 0x7fff
	v_add3_u32 v9, v7, v9, s18
	v_cmp_o_f32_e32 vcc, v7, v7
	v_mov_b32_e32 v10, 0x7fc0
	v_cndmask_b32_sdwa v11, v10, v9, vcc dst_sel:DWORD dst_unused:UNUSED_PAD src0_sel:DWORD src1_sel:WORD_1
	v_mov_b32_e32 v10, s9
	v_add_co_u32_e32 v9, vcc, s8, v0
	v_addc_co_u32_e32 v10, vcc, v10, v1, vcc
	global_store_short v[9:10], v11, off
.LBB101_89:
	s_andn2_b64 vcc, exec, s[6:7]
	s_cbranch_vccnz .LBB101_91
; %bb.90:
	v_bfe_u32 v9, v8, 16, 1
	s_movk_i32 s18, 0x7fff
	v_add3_u32 v9, v8, v9, s18
	v_cmp_o_f32_e32 vcc, v8, v8
	v_mov_b32_e32 v10, 0x7fc0
	v_cndmask_b32_sdwa v9, v10, v9, vcc dst_sel:DWORD dst_unused:UNUSED_PAD src0_sel:DWORD src1_sel:WORD_1
	v_mov_b32_e32 v10, s11
	v_add_co_u32_e32 v0, vcc, s10, v0
	v_addc_co_u32_e32 v1, vcc, v10, v1, vcc
	global_store_short v[0:1], v9, off
.LBB101_91:
	s_or_b64 exec, exec, s[16:17]
	v_cmp_gt_u32_e32 vcc, 56, v2
	s_and_b64 exec, exec, vcc
	s_cbranch_execz .LBB101_147
; %bb.92:
	s_and_saveexec_b64 s[16:17], s[0:1]
	s_cbranch_execz .LBB101_94
; %bb.93:
	v_add_u32_e32 v0, v2, v3
	v_lshl_add_u32 v0, v0, 2, 0
	ds_read_b32 v7, v0 offset:32
	ds_read_b32 v8, v0 offset:2112
.LBB101_94:
	s_or_b64 exec, exec, s[16:17]
	s_waitcnt lgkmcnt(1)
	ds_bpermute_b32 v0, v4, v7
	s_waitcnt lgkmcnt(1)
	ds_bpermute_b32 v1, v4, v8
	v_add_u32_e32 v9, 8, v2
	v_mov_b32_e32 v10, s5
	s_waitcnt lgkmcnt(1)
	v_add_f32_e32 v0, v7, v0
	s_waitcnt lgkmcnt(0)
	v_add_f32_e32 v1, v8, v1
	ds_bpermute_b32 v7, v5, v0
	ds_bpermute_b32 v8, v5, v1
	s_waitcnt lgkmcnt(1)
	v_add_f32_e32 v7, v0, v7
	s_waitcnt lgkmcnt(0)
	v_add_f32_e32 v8, v1, v8
	ds_bpermute_b32 v11, v6, v7
	ds_bpermute_b32 v12, v6, v8
	v_add_co_u32_e32 v0, vcc, s4, v9
	v_addc_co_u32_e32 v1, vcc, 0, v10, vcc
	v_cmp_gt_i64_e32 vcc, s[14:15], v[0:1]
	s_waitcnt lgkmcnt(1)
	v_add_f32_e32 v0, v7, v11
	s_waitcnt lgkmcnt(0)
	v_add_f32_e32 v1, v8, v12
	s_and_b64 s[18:19], s[2:3], vcc
	s_and_saveexec_b64 s[16:17], s[18:19]
	s_cbranch_execz .LBB101_99
; %bb.95:
	s_andn2_b64 vcc, exec, s[12:13]
	s_cbranch_vccnz .LBB101_97
; %bb.96:
	v_bfe_u32 v7, v0, 16, 1
	s_movk_i32 s18, 0x7fff
	v_add3_u32 v7, v0, v7, s18
	v_cmp_o_f32_e32 vcc, v0, v0
	v_mov_b32_e32 v8, 0x7fc0
	v_cndmask_b32_sdwa v9, v8, v7, vcc dst_sel:DWORD dst_unused:UNUSED_PAD src0_sel:DWORD src1_sel:WORD_1
	v_mov_b32_e32 v8, s5
	v_add_co_u32_e32 v7, vcc, s4, v2
	v_addc_co_u32_e32 v8, vcc, 0, v8, vcc
	v_lshlrev_b64 v[7:8], 1, v[7:8]
	v_mov_b32_e32 v10, s9
	v_add_co_u32_e32 v7, vcc, s8, v7
	v_addc_co_u32_e32 v8, vcc, v10, v8, vcc
	global_store_short v[7:8], v9, off offset:16
.LBB101_97:
	s_andn2_b64 vcc, exec, s[6:7]
	s_cbranch_vccnz .LBB101_99
; %bb.98:
	v_bfe_u32 v7, v1, 16, 1
	s_movk_i32 s18, 0x7fff
	v_add3_u32 v7, v1, v7, s18
	v_cmp_o_f32_e32 vcc, v1, v1
	v_mov_b32_e32 v8, 0x7fc0
	v_cndmask_b32_sdwa v9, v8, v7, vcc dst_sel:DWORD dst_unused:UNUSED_PAD src0_sel:DWORD src1_sel:WORD_1
	v_mov_b32_e32 v8, s5
	v_add_co_u32_e32 v7, vcc, s4, v2
	v_addc_co_u32_e32 v8, vcc, 0, v8, vcc
	v_lshlrev_b64 v[7:8], 1, v[7:8]
	v_mov_b32_e32 v10, s11
	v_add_co_u32_e32 v7, vcc, s10, v7
	v_addc_co_u32_e32 v8, vcc, v10, v8, vcc
	global_store_short v[7:8], v9, off offset:16
.LBB101_99:
	s_or_b64 exec, exec, s[16:17]
	v_cmp_gt_u32_e32 vcc, 48, v2
	s_and_b64 exec, exec, vcc
	s_cbranch_execz .LBB101_147
; %bb.100:
	s_and_saveexec_b64 s[16:17], s[0:1]
	s_cbranch_execz .LBB101_102
; %bb.101:
	v_add_u32_e32 v0, v2, v3
	v_lshl_add_u32 v1, v0, 2, 0
	ds_read_b32 v0, v1 offset:64
	ds_read_b32 v1, v1 offset:2144
.LBB101_102:
	s_or_b64 exec, exec, s[16:17]
	s_waitcnt lgkmcnt(1)
	ds_bpermute_b32 v7, v4, v0
	s_waitcnt lgkmcnt(1)
	ds_bpermute_b32 v8, v4, v1
	v_add_u32_e32 v9, 16, v2
	v_mov_b32_e32 v10, s5
	s_waitcnt lgkmcnt(1)
	v_add_f32_e32 v0, v0, v7
	s_waitcnt lgkmcnt(0)
	v_add_f32_e32 v1, v1, v8
	ds_bpermute_b32 v7, v5, v0
	ds_bpermute_b32 v8, v5, v1
	s_waitcnt lgkmcnt(1)
	v_add_f32_e32 v7, v0, v7
	s_waitcnt lgkmcnt(0)
	v_add_f32_e32 v8, v1, v8
	ds_bpermute_b32 v11, v6, v7
	ds_bpermute_b32 v12, v6, v8
	v_add_co_u32_e32 v0, vcc, s4, v9
	v_addc_co_u32_e32 v1, vcc, 0, v10, vcc
	v_cmp_gt_i64_e32 vcc, s[14:15], v[0:1]
	s_waitcnt lgkmcnt(1)
	v_add_f32_e32 v0, v7, v11
	s_waitcnt lgkmcnt(0)
	v_add_f32_e32 v1, v8, v12
	s_and_b64 s[18:19], s[2:3], vcc
	s_and_saveexec_b64 s[16:17], s[18:19]
	s_cbranch_execz .LBB101_107
; %bb.103:
	s_andn2_b64 vcc, exec, s[12:13]
	s_cbranch_vccnz .LBB101_105
; %bb.104:
	v_bfe_u32 v7, v0, 16, 1
	s_movk_i32 s18, 0x7fff
	v_add3_u32 v7, v0, v7, s18
	v_cmp_o_f32_e32 vcc, v0, v0
	v_mov_b32_e32 v8, 0x7fc0
	v_cndmask_b32_sdwa v9, v8, v7, vcc dst_sel:DWORD dst_unused:UNUSED_PAD src0_sel:DWORD src1_sel:WORD_1
	v_mov_b32_e32 v8, s5
	v_add_co_u32_e32 v7, vcc, s4, v2
	v_addc_co_u32_e32 v8, vcc, 0, v8, vcc
	v_lshlrev_b64 v[7:8], 1, v[7:8]
	v_mov_b32_e32 v10, s9
	v_add_co_u32_e32 v7, vcc, s8, v7
	v_addc_co_u32_e32 v8, vcc, v10, v8, vcc
	global_store_short v[7:8], v9, off offset:32
.LBB101_105:
	s_andn2_b64 vcc, exec, s[6:7]
	s_cbranch_vccnz .LBB101_107
; %bb.106:
	v_bfe_u32 v7, v1, 16, 1
	s_movk_i32 s18, 0x7fff
	v_add3_u32 v7, v1, v7, s18
	v_cmp_o_f32_e32 vcc, v1, v1
	v_mov_b32_e32 v8, 0x7fc0
	v_cndmask_b32_sdwa v9, v8, v7, vcc dst_sel:DWORD dst_unused:UNUSED_PAD src0_sel:DWORD src1_sel:WORD_1
	v_mov_b32_e32 v8, s5
	v_add_co_u32_e32 v7, vcc, s4, v2
	v_addc_co_u32_e32 v8, vcc, 0, v8, vcc
	v_lshlrev_b64 v[7:8], 1, v[7:8]
	v_mov_b32_e32 v10, s11
	v_add_co_u32_e32 v7, vcc, s10, v7
	v_addc_co_u32_e32 v8, vcc, v10, v8, vcc
	global_store_short v[7:8], v9, off offset:32
.LBB101_107:
	s_or_b64 exec, exec, s[16:17]
	v_cmp_gt_u32_e32 vcc, 40, v2
	s_and_b64 exec, exec, vcc
	s_cbranch_execz .LBB101_147
; %bb.108:
	s_and_saveexec_b64 s[16:17], s[0:1]
	s_cbranch_execz .LBB101_110
; %bb.109:
	v_add_u32_e32 v0, v2, v3
	v_lshl_add_u32 v1, v0, 2, 0
	ds_read_b32 v0, v1 offset:96
	ds_read_b32 v1, v1 offset:2176
.LBB101_110:
	s_or_b64 exec, exec, s[16:17]
	s_waitcnt lgkmcnt(1)
	ds_bpermute_b32 v7, v4, v0
	s_waitcnt lgkmcnt(1)
	ds_bpermute_b32 v8, v4, v1
	v_add_u32_e32 v9, 24, v2
	v_mov_b32_e32 v10, s5
	s_waitcnt lgkmcnt(1)
	v_add_f32_e32 v0, v0, v7
	s_waitcnt lgkmcnt(0)
	v_add_f32_e32 v1, v1, v8
	ds_bpermute_b32 v7, v5, v0
	ds_bpermute_b32 v8, v5, v1
	s_waitcnt lgkmcnt(1)
	v_add_f32_e32 v7, v0, v7
	s_waitcnt lgkmcnt(0)
	v_add_f32_e32 v8, v1, v8
	ds_bpermute_b32 v11, v6, v7
	ds_bpermute_b32 v12, v6, v8
	v_add_co_u32_e32 v0, vcc, s4, v9
	v_addc_co_u32_e32 v1, vcc, 0, v10, vcc
	v_cmp_gt_i64_e32 vcc, s[14:15], v[0:1]
	s_waitcnt lgkmcnt(1)
	v_add_f32_e32 v0, v7, v11
	s_waitcnt lgkmcnt(0)
	v_add_f32_e32 v1, v8, v12
	s_and_b64 s[18:19], s[2:3], vcc
	s_and_saveexec_b64 s[16:17], s[18:19]
	s_cbranch_execz .LBB101_115
; %bb.111:
	s_andn2_b64 vcc, exec, s[12:13]
	s_cbranch_vccnz .LBB101_113
; %bb.112:
	v_bfe_u32 v7, v0, 16, 1
	s_movk_i32 s18, 0x7fff
	v_add3_u32 v7, v0, v7, s18
	v_cmp_o_f32_e32 vcc, v0, v0
	v_mov_b32_e32 v8, 0x7fc0
	v_cndmask_b32_sdwa v9, v8, v7, vcc dst_sel:DWORD dst_unused:UNUSED_PAD src0_sel:DWORD src1_sel:WORD_1
	v_mov_b32_e32 v8, s5
	v_add_co_u32_e32 v7, vcc, s4, v2
	v_addc_co_u32_e32 v8, vcc, 0, v8, vcc
	v_lshlrev_b64 v[7:8], 1, v[7:8]
	v_mov_b32_e32 v10, s9
	v_add_co_u32_e32 v7, vcc, s8, v7
	v_addc_co_u32_e32 v8, vcc, v10, v8, vcc
	global_store_short v[7:8], v9, off offset:48
.LBB101_113:
	s_andn2_b64 vcc, exec, s[6:7]
	s_cbranch_vccnz .LBB101_115
; %bb.114:
	v_bfe_u32 v7, v1, 16, 1
	s_movk_i32 s18, 0x7fff
	v_add3_u32 v7, v1, v7, s18
	v_cmp_o_f32_e32 vcc, v1, v1
	v_mov_b32_e32 v8, 0x7fc0
	v_cndmask_b32_sdwa v9, v8, v7, vcc dst_sel:DWORD dst_unused:UNUSED_PAD src0_sel:DWORD src1_sel:WORD_1
	v_mov_b32_e32 v8, s5
	v_add_co_u32_e32 v7, vcc, s4, v2
	v_addc_co_u32_e32 v8, vcc, 0, v8, vcc
	v_lshlrev_b64 v[7:8], 1, v[7:8]
	v_mov_b32_e32 v10, s11
	v_add_co_u32_e32 v7, vcc, s10, v7
	v_addc_co_u32_e32 v8, vcc, v10, v8, vcc
	global_store_short v[7:8], v9, off offset:48
.LBB101_115:
	s_or_b64 exec, exec, s[16:17]
	v_cmp_gt_u32_e32 vcc, 32, v2
	s_and_b64 exec, exec, vcc
	s_cbranch_execz .LBB101_147
; %bb.116:
	s_and_saveexec_b64 s[16:17], s[0:1]
	s_cbranch_execz .LBB101_118
; %bb.117:
	v_add_u32_e32 v0, v2, v3
	v_lshl_add_u32 v1, v0, 2, 0
	ds_read_b32 v0, v1 offset:128
	ds_read_b32 v1, v1 offset:2208
.LBB101_118:
	s_or_b64 exec, exec, s[16:17]
	s_waitcnt lgkmcnt(1)
	ds_bpermute_b32 v7, v4, v0
	s_waitcnt lgkmcnt(1)
	ds_bpermute_b32 v8, v4, v1
	v_add_u32_e32 v9, 32, v2
	s_waitcnt lgkmcnt(1)
	v_add_f32_e32 v0, v0, v7
	s_waitcnt lgkmcnt(0)
	v_add_f32_e32 v1, v1, v8
	ds_bpermute_b32 v7, v5, v0
	ds_bpermute_b32 v8, v5, v1
	s_waitcnt lgkmcnt(1)
	v_add_f32_e32 v7, v0, v7
	s_waitcnt lgkmcnt(0)
	v_add_f32_e32 v8, v1, v8
	ds_bpermute_b32 v10, v6, v7
	ds_bpermute_b32 v11, v6, v8
	v_mov_b32_e32 v1, s5
	v_or_b32_e32 v0, s4, v9
	v_cmp_gt_i64_e32 vcc, s[14:15], v[0:1]
	s_waitcnt lgkmcnt(1)
	v_add_f32_e32 v0, v7, v10
	s_waitcnt lgkmcnt(0)
	v_add_f32_e32 v1, v8, v11
	s_and_b64 s[18:19], s[2:3], vcc
	s_and_saveexec_b64 s[16:17], s[18:19]
	s_cbranch_execz .LBB101_123
; %bb.119:
	s_andn2_b64 vcc, exec, s[12:13]
	s_cbranch_vccnz .LBB101_121
; %bb.120:
	v_bfe_u32 v7, v0, 16, 1
	s_movk_i32 s18, 0x7fff
	v_add3_u32 v7, v0, v7, s18
	v_cmp_o_f32_e32 vcc, v0, v0
	v_mov_b32_e32 v8, 0x7fc0
	v_cndmask_b32_sdwa v9, v8, v7, vcc dst_sel:DWORD dst_unused:UNUSED_PAD src0_sel:DWORD src1_sel:WORD_1
	v_mov_b32_e32 v8, s5
	v_add_co_u32_e32 v7, vcc, s4, v2
	v_addc_co_u32_e32 v8, vcc, 0, v8, vcc
	v_lshlrev_b64 v[7:8], 1, v[7:8]
	v_mov_b32_e32 v10, s9
	v_add_co_u32_e32 v7, vcc, s8, v7
	v_addc_co_u32_e32 v8, vcc, v10, v8, vcc
	global_store_short v[7:8], v9, off offset:64
.LBB101_121:
	s_andn2_b64 vcc, exec, s[6:7]
	s_cbranch_vccnz .LBB101_123
; %bb.122:
	v_bfe_u32 v7, v1, 16, 1
	s_movk_i32 s18, 0x7fff
	v_add3_u32 v7, v1, v7, s18
	v_cmp_o_f32_e32 vcc, v1, v1
	v_mov_b32_e32 v8, 0x7fc0
	v_cndmask_b32_sdwa v9, v8, v7, vcc dst_sel:DWORD dst_unused:UNUSED_PAD src0_sel:DWORD src1_sel:WORD_1
	v_mov_b32_e32 v8, s5
	v_add_co_u32_e32 v7, vcc, s4, v2
	v_addc_co_u32_e32 v8, vcc, 0, v8, vcc
	v_lshlrev_b64 v[7:8], 1, v[7:8]
	v_mov_b32_e32 v10, s11
	v_add_co_u32_e32 v7, vcc, s10, v7
	v_addc_co_u32_e32 v8, vcc, v10, v8, vcc
	global_store_short v[7:8], v9, off offset:64
.LBB101_123:
	s_or_b64 exec, exec, s[16:17]
	v_cmp_gt_u32_e32 vcc, 24, v2
	s_and_b64 exec, exec, vcc
	s_cbranch_execz .LBB101_147
; %bb.124:
	s_and_saveexec_b64 s[16:17], s[0:1]
	s_cbranch_execz .LBB101_126
; %bb.125:
	v_add_u32_e32 v0, v2, v3
	v_lshl_add_u32 v1, v0, 2, 0
	ds_read_b32 v0, v1 offset:160
	ds_read_b32 v1, v1 offset:2240
.LBB101_126:
	s_or_b64 exec, exec, s[16:17]
	s_waitcnt lgkmcnt(1)
	ds_bpermute_b32 v7, v4, v0
	s_waitcnt lgkmcnt(1)
	ds_bpermute_b32 v8, v4, v1
	v_add_u32_e32 v9, 40, v2
	v_mov_b32_e32 v10, s5
	s_waitcnt lgkmcnt(1)
	v_add_f32_e32 v0, v0, v7
	s_waitcnt lgkmcnt(0)
	v_add_f32_e32 v1, v1, v8
	ds_bpermute_b32 v7, v5, v0
	ds_bpermute_b32 v8, v5, v1
	s_waitcnt lgkmcnt(1)
	v_add_f32_e32 v7, v0, v7
	s_waitcnt lgkmcnt(0)
	v_add_f32_e32 v8, v1, v8
	ds_bpermute_b32 v11, v6, v7
	ds_bpermute_b32 v12, v6, v8
	v_add_co_u32_e32 v0, vcc, s4, v9
	v_addc_co_u32_e32 v1, vcc, 0, v10, vcc
	v_cmp_gt_i64_e32 vcc, s[14:15], v[0:1]
	s_waitcnt lgkmcnt(1)
	v_add_f32_e32 v0, v7, v11
	s_waitcnt lgkmcnt(0)
	v_add_f32_e32 v1, v8, v12
	s_and_b64 s[18:19], s[2:3], vcc
	s_and_saveexec_b64 s[16:17], s[18:19]
	s_cbranch_execz .LBB101_131
; %bb.127:
	s_andn2_b64 vcc, exec, s[12:13]
	s_cbranch_vccnz .LBB101_129
; %bb.128:
	v_bfe_u32 v7, v0, 16, 1
	s_movk_i32 s18, 0x7fff
	v_add3_u32 v7, v0, v7, s18
	v_cmp_o_f32_e32 vcc, v0, v0
	v_mov_b32_e32 v8, 0x7fc0
	v_cndmask_b32_sdwa v9, v8, v7, vcc dst_sel:DWORD dst_unused:UNUSED_PAD src0_sel:DWORD src1_sel:WORD_1
	v_mov_b32_e32 v8, s5
	v_add_co_u32_e32 v7, vcc, s4, v2
	v_addc_co_u32_e32 v8, vcc, 0, v8, vcc
	v_lshlrev_b64 v[7:8], 1, v[7:8]
	v_mov_b32_e32 v10, s9
	v_add_co_u32_e32 v7, vcc, s8, v7
	v_addc_co_u32_e32 v8, vcc, v10, v8, vcc
	global_store_short v[7:8], v9, off offset:80
.LBB101_129:
	s_andn2_b64 vcc, exec, s[6:7]
	s_cbranch_vccnz .LBB101_131
; %bb.130:
	v_bfe_u32 v7, v1, 16, 1
	s_movk_i32 s18, 0x7fff
	v_add3_u32 v7, v1, v7, s18
	v_cmp_o_f32_e32 vcc, v1, v1
	v_mov_b32_e32 v8, 0x7fc0
	v_cndmask_b32_sdwa v9, v8, v7, vcc dst_sel:DWORD dst_unused:UNUSED_PAD src0_sel:DWORD src1_sel:WORD_1
	v_mov_b32_e32 v8, s5
	v_add_co_u32_e32 v7, vcc, s4, v2
	v_addc_co_u32_e32 v8, vcc, 0, v8, vcc
	v_lshlrev_b64 v[7:8], 1, v[7:8]
	v_mov_b32_e32 v10, s11
	v_add_co_u32_e32 v7, vcc, s10, v7
	v_addc_co_u32_e32 v8, vcc, v10, v8, vcc
	global_store_short v[7:8], v9, off offset:80
.LBB101_131:
	s_or_b64 exec, exec, s[16:17]
	v_cmp_gt_u32_e32 vcc, 16, v2
	s_and_b64 exec, exec, vcc
	s_cbranch_execz .LBB101_147
; %bb.132:
	s_and_saveexec_b64 s[16:17], s[0:1]
	s_cbranch_execz .LBB101_134
; %bb.133:
	v_add_u32_e32 v0, v2, v3
	v_lshl_add_u32 v1, v0, 2, 0
	ds_read_b32 v0, v1 offset:192
	ds_read_b32 v1, v1 offset:2272
.LBB101_134:
	s_or_b64 exec, exec, s[16:17]
	s_waitcnt lgkmcnt(1)
	ds_bpermute_b32 v7, v4, v0
	s_waitcnt lgkmcnt(1)
	ds_bpermute_b32 v8, v4, v1
	v_add_u32_e32 v9, 48, v2
	s_waitcnt lgkmcnt(1)
	v_add_f32_e32 v0, v0, v7
	s_waitcnt lgkmcnt(0)
	v_add_f32_e32 v1, v1, v8
	ds_bpermute_b32 v7, v5, v0
	ds_bpermute_b32 v8, v5, v1
	s_waitcnt lgkmcnt(1)
	v_add_f32_e32 v7, v0, v7
	s_waitcnt lgkmcnt(0)
	v_add_f32_e32 v8, v1, v8
	ds_bpermute_b32 v10, v6, v7
	ds_bpermute_b32 v11, v6, v8
	v_mov_b32_e32 v1, s5
	v_or_b32_e32 v0, s4, v9
	v_cmp_gt_i64_e32 vcc, s[14:15], v[0:1]
	s_waitcnt lgkmcnt(1)
	v_add_f32_e32 v0, v7, v10
	s_waitcnt lgkmcnt(0)
	v_add_f32_e32 v1, v8, v11
	s_and_b64 s[18:19], s[2:3], vcc
	s_and_saveexec_b64 s[16:17], s[18:19]
	s_cbranch_execz .LBB101_139
; %bb.135:
	s_andn2_b64 vcc, exec, s[12:13]
	s_cbranch_vccnz .LBB101_137
; %bb.136:
	v_bfe_u32 v7, v0, 16, 1
	s_movk_i32 s18, 0x7fff
	v_add3_u32 v7, v0, v7, s18
	v_cmp_o_f32_e32 vcc, v0, v0
	v_mov_b32_e32 v8, 0x7fc0
	v_cndmask_b32_sdwa v9, v8, v7, vcc dst_sel:DWORD dst_unused:UNUSED_PAD src0_sel:DWORD src1_sel:WORD_1
	v_mov_b32_e32 v8, s5
	v_add_co_u32_e32 v7, vcc, s4, v2
	v_addc_co_u32_e32 v8, vcc, 0, v8, vcc
	v_lshlrev_b64 v[7:8], 1, v[7:8]
	v_mov_b32_e32 v10, s9
	v_add_co_u32_e32 v7, vcc, s8, v7
	v_addc_co_u32_e32 v8, vcc, v10, v8, vcc
	global_store_short v[7:8], v9, off offset:96
.LBB101_137:
	s_andn2_b64 vcc, exec, s[6:7]
	s_cbranch_vccnz .LBB101_139
; %bb.138:
	v_bfe_u32 v7, v1, 16, 1
	s_movk_i32 s18, 0x7fff
	v_add3_u32 v7, v1, v7, s18
	v_cmp_o_f32_e32 vcc, v1, v1
	v_mov_b32_e32 v8, 0x7fc0
	v_cndmask_b32_sdwa v9, v8, v7, vcc dst_sel:DWORD dst_unused:UNUSED_PAD src0_sel:DWORD src1_sel:WORD_1
	v_mov_b32_e32 v8, s5
	v_add_co_u32_e32 v7, vcc, s4, v2
	v_addc_co_u32_e32 v8, vcc, 0, v8, vcc
	v_lshlrev_b64 v[7:8], 1, v[7:8]
	v_mov_b32_e32 v10, s11
	v_add_co_u32_e32 v7, vcc, s10, v7
	v_addc_co_u32_e32 v8, vcc, v10, v8, vcc
	global_store_short v[7:8], v9, off offset:96
.LBB101_139:
	s_or_b64 exec, exec, s[16:17]
	v_cmp_gt_u32_e32 vcc, 8, v2
	s_and_b64 exec, exec, vcc
	s_cbranch_execz .LBB101_147
; %bb.140:
	s_and_saveexec_b64 s[16:17], s[0:1]
	s_cbranch_execz .LBB101_142
; %bb.141:
	v_add_u32_e32 v0, v2, v3
	v_lshl_add_u32 v1, v0, 2, 0
	ds_read_b32 v0, v1 offset:224
	ds_read_b32 v1, v1 offset:2304
.LBB101_142:
	s_or_b64 exec, exec, s[16:17]
	s_waitcnt lgkmcnt(1)
	ds_bpermute_b32 v3, v4, v0
	s_waitcnt lgkmcnt(1)
	ds_bpermute_b32 v4, v4, v1
	s_waitcnt lgkmcnt(1)
	v_add_f32_e32 v0, v0, v3
	s_waitcnt lgkmcnt(0)
	v_add_f32_e32 v1, v1, v4
	ds_bpermute_b32 v3, v5, v0
	ds_bpermute_b32 v4, v5, v1
	v_add_u32_e32 v5, 56, v2
	v_or_b32_e32 v5, s4, v5
	s_waitcnt lgkmcnt(1)
	v_add_f32_e32 v3, v0, v3
	s_waitcnt lgkmcnt(0)
	v_add_f32_e32 v0, v1, v4
	ds_bpermute_b32 v4, v6, v3
	ds_bpermute_b32 v1, v6, v0
	v_mov_b32_e32 v6, s5
	v_cmp_gt_i64_e32 vcc, s[14:15], v[5:6]
	s_and_b64 s[0:1], s[2:3], vcc
	s_and_b64 exec, exec, s[0:1]
	s_cbranch_execz .LBB101_147
; %bb.143:
	s_andn2_b64 vcc, exec, s[12:13]
	s_cbranch_vccnz .LBB101_145
; %bb.144:
	s_waitcnt lgkmcnt(1)
	v_add_f32_e32 v3, v3, v4
	v_bfe_u32 v4, v3, 16, 1
	s_movk_i32 s0, 0x7fff
	v_add3_u32 v4, v3, v4, s0
	v_cmp_o_f32_e32 vcc, v3, v3
	v_mov_b32_e32 v3, 0x7fc0
	v_cndmask_b32_sdwa v5, v3, v4, vcc dst_sel:DWORD dst_unused:UNUSED_PAD src0_sel:DWORD src1_sel:WORD_1
	v_mov_b32_e32 v4, s5
	v_add_co_u32_e32 v3, vcc, s4, v2
	v_addc_co_u32_e32 v4, vcc, 0, v4, vcc
	v_lshlrev_b64 v[3:4], 1, v[3:4]
	v_mov_b32_e32 v6, s9
	v_add_co_u32_e32 v3, vcc, s8, v3
	v_addc_co_u32_e32 v4, vcc, v6, v4, vcc
	global_store_short v[3:4], v5, off offset:112
.LBB101_145:
	s_andn2_b64 vcc, exec, s[6:7]
	s_cbranch_vccnz .LBB101_147
; %bb.146:
	s_waitcnt lgkmcnt(0)
	v_add_f32_e32 v0, v0, v1
	v_bfe_u32 v1, v0, 16, 1
	s_movk_i32 s0, 0x7fff
	v_add3_u32 v1, v0, v1, s0
	v_cmp_o_f32_e32 vcc, v0, v0
	v_mov_b32_e32 v0, 0x7fc0
	v_cndmask_b32_sdwa v3, v0, v1, vcc dst_sel:DWORD dst_unused:UNUSED_PAD src0_sel:DWORD src1_sel:WORD_1
	v_mov_b32_e32 v1, s5
	v_add_co_u32_e32 v0, vcc, s4, v2
	v_addc_co_u32_e32 v1, vcc, 0, v1, vcc
	v_lshlrev_b64 v[0:1], 1, v[0:1]
	v_mov_b32_e32 v2, s11
	v_add_co_u32_e32 v0, vcc, s10, v0
	v_addc_co_u32_e32 v1, vcc, v2, v1, vcc
	global_store_short v[0:1], v3, off offset:112
.LBB101_147:
	s_endpgm
	.section	.rodata,"a",@progbits
	.p2align	6, 0x0
	.amdhsa_kernel _ZN2at6native12_GLOBAL__N_135GammaBetaBackwardCUDAKernelTemplateIN3c108BFloat16EfLj64ELj8ELj64ELb0ELb0ELb0EEEvllPKT_S7_PKT0_SA_PS5_SB_
		.amdhsa_group_segment_fixed_size 0
		.amdhsa_private_segment_fixed_size 0
		.amdhsa_kernarg_size 320
		.amdhsa_user_sgpr_count 6
		.amdhsa_user_sgpr_private_segment_buffer 1
		.amdhsa_user_sgpr_dispatch_ptr 0
		.amdhsa_user_sgpr_queue_ptr 0
		.amdhsa_user_sgpr_kernarg_segment_ptr 1
		.amdhsa_user_sgpr_dispatch_id 0
		.amdhsa_user_sgpr_flat_scratch_init 0
		.amdhsa_user_sgpr_private_segment_size 0
		.amdhsa_uses_dynamic_stack 0
		.amdhsa_system_sgpr_private_segment_wavefront_offset 0
		.amdhsa_system_sgpr_workgroup_id_x 1
		.amdhsa_system_sgpr_workgroup_id_y 1
		.amdhsa_system_sgpr_workgroup_id_z 0
		.amdhsa_system_sgpr_workgroup_info 0
		.amdhsa_system_vgpr_workitem_id 1
		.amdhsa_next_free_vgpr 94
		.amdhsa_next_free_sgpr 36
		.amdhsa_reserve_vcc 1
		.amdhsa_reserve_flat_scratch 0
		.amdhsa_float_round_mode_32 0
		.amdhsa_float_round_mode_16_64 0
		.amdhsa_float_denorm_mode_32 3
		.amdhsa_float_denorm_mode_16_64 3
		.amdhsa_dx10_clamp 1
		.amdhsa_ieee_mode 1
		.amdhsa_fp16_overflow 0
		.amdhsa_exception_fp_ieee_invalid_op 0
		.amdhsa_exception_fp_denorm_src 0
		.amdhsa_exception_fp_ieee_div_zero 0
		.amdhsa_exception_fp_ieee_overflow 0
		.amdhsa_exception_fp_ieee_underflow 0
		.amdhsa_exception_fp_ieee_inexact 0
		.amdhsa_exception_int_div_zero 0
	.end_amdhsa_kernel
	.section	.text._ZN2at6native12_GLOBAL__N_135GammaBetaBackwardCUDAKernelTemplateIN3c108BFloat16EfLj64ELj8ELj64ELb0ELb0ELb0EEEvllPKT_S7_PKT0_SA_PS5_SB_,"axG",@progbits,_ZN2at6native12_GLOBAL__N_135GammaBetaBackwardCUDAKernelTemplateIN3c108BFloat16EfLj64ELj8ELj64ELb0ELb0ELb0EEEvllPKT_S7_PKT0_SA_PS5_SB_,comdat
.Lfunc_end101:
	.size	_ZN2at6native12_GLOBAL__N_135GammaBetaBackwardCUDAKernelTemplateIN3c108BFloat16EfLj64ELj8ELj64ELb0ELb0ELb0EEEvllPKT_S7_PKT0_SA_PS5_SB_, .Lfunc_end101-_ZN2at6native12_GLOBAL__N_135GammaBetaBackwardCUDAKernelTemplateIN3c108BFloat16EfLj64ELj8ELj64ELb0ELb0ELb0EEEvllPKT_S7_PKT0_SA_PS5_SB_
                                        ; -- End function
	.set _ZN2at6native12_GLOBAL__N_135GammaBetaBackwardCUDAKernelTemplateIN3c108BFloat16EfLj64ELj8ELj64ELb0ELb0ELb0EEEvllPKT_S7_PKT0_SA_PS5_SB_.num_vgpr, 94
	.set _ZN2at6native12_GLOBAL__N_135GammaBetaBackwardCUDAKernelTemplateIN3c108BFloat16EfLj64ELj8ELj64ELb0ELb0ELb0EEEvllPKT_S7_PKT0_SA_PS5_SB_.num_agpr, 0
	.set _ZN2at6native12_GLOBAL__N_135GammaBetaBackwardCUDAKernelTemplateIN3c108BFloat16EfLj64ELj8ELj64ELb0ELb0ELb0EEEvllPKT_S7_PKT0_SA_PS5_SB_.numbered_sgpr, 36
	.set _ZN2at6native12_GLOBAL__N_135GammaBetaBackwardCUDAKernelTemplateIN3c108BFloat16EfLj64ELj8ELj64ELb0ELb0ELb0EEEvllPKT_S7_PKT0_SA_PS5_SB_.num_named_barrier, 0
	.set _ZN2at6native12_GLOBAL__N_135GammaBetaBackwardCUDAKernelTemplateIN3c108BFloat16EfLj64ELj8ELj64ELb0ELb0ELb0EEEvllPKT_S7_PKT0_SA_PS5_SB_.private_seg_size, 0
	.set _ZN2at6native12_GLOBAL__N_135GammaBetaBackwardCUDAKernelTemplateIN3c108BFloat16EfLj64ELj8ELj64ELb0ELb0ELb0EEEvllPKT_S7_PKT0_SA_PS5_SB_.uses_vcc, 1
	.set _ZN2at6native12_GLOBAL__N_135GammaBetaBackwardCUDAKernelTemplateIN3c108BFloat16EfLj64ELj8ELj64ELb0ELb0ELb0EEEvllPKT_S7_PKT0_SA_PS5_SB_.uses_flat_scratch, 0
	.set _ZN2at6native12_GLOBAL__N_135GammaBetaBackwardCUDAKernelTemplateIN3c108BFloat16EfLj64ELj8ELj64ELb0ELb0ELb0EEEvllPKT_S7_PKT0_SA_PS5_SB_.has_dyn_sized_stack, 0
	.set _ZN2at6native12_GLOBAL__N_135GammaBetaBackwardCUDAKernelTemplateIN3c108BFloat16EfLj64ELj8ELj64ELb0ELb0ELb0EEEvllPKT_S7_PKT0_SA_PS5_SB_.has_recursion, 0
	.set _ZN2at6native12_GLOBAL__N_135GammaBetaBackwardCUDAKernelTemplateIN3c108BFloat16EfLj64ELj8ELj64ELb0ELb0ELb0EEEvllPKT_S7_PKT0_SA_PS5_SB_.has_indirect_call, 0
	.section	.AMDGPU.csdata,"",@progbits
; Kernel info:
; codeLenInByte = 10068
; TotalNumSgprs: 40
; NumVgprs: 94
; ScratchSize: 0
; MemoryBound: 0
; FloatMode: 240
; IeeeMode: 1
; LDSByteSize: 0 bytes/workgroup (compile time only)
; SGPRBlocks: 4
; VGPRBlocks: 23
; NumSGPRsForWavesPerEU: 40
; NumVGPRsForWavesPerEU: 94
; Occupancy: 2
; WaveLimiterHint : 0
; COMPUTE_PGM_RSRC2:SCRATCH_EN: 0
; COMPUTE_PGM_RSRC2:USER_SGPR: 6
; COMPUTE_PGM_RSRC2:TRAP_HANDLER: 0
; COMPUTE_PGM_RSRC2:TGID_X_EN: 1
; COMPUTE_PGM_RSRC2:TGID_Y_EN: 1
; COMPUTE_PGM_RSRC2:TGID_Z_EN: 0
; COMPUTE_PGM_RSRC2:TIDIG_COMP_CNT: 1
	.section	.text._ZN2at6native12_GLOBAL__N_135GammaBetaBackwardCUDAKernelTemplateIN3c108BFloat16EfLj64ELj16ELj128ELb0ELb1ELb0EEEvllPKT_S7_PKT0_SA_PS5_SB_,"axG",@progbits,_ZN2at6native12_GLOBAL__N_135GammaBetaBackwardCUDAKernelTemplateIN3c108BFloat16EfLj64ELj16ELj128ELb0ELb1ELb0EEEvllPKT_S7_PKT0_SA_PS5_SB_,comdat
	.globl	_ZN2at6native12_GLOBAL__N_135GammaBetaBackwardCUDAKernelTemplateIN3c108BFloat16EfLj64ELj16ELj128ELb0ELb1ELb0EEEvllPKT_S7_PKT0_SA_PS5_SB_ ; -- Begin function _ZN2at6native12_GLOBAL__N_135GammaBetaBackwardCUDAKernelTemplateIN3c108BFloat16EfLj64ELj16ELj128ELb0ELb1ELb0EEEvllPKT_S7_PKT0_SA_PS5_SB_
	.p2align	8
	.type	_ZN2at6native12_GLOBAL__N_135GammaBetaBackwardCUDAKernelTemplateIN3c108BFloat16EfLj64ELj16ELj128ELb0ELb1ELb0EEEvllPKT_S7_PKT0_SA_PS5_SB_,@function
_ZN2at6native12_GLOBAL__N_135GammaBetaBackwardCUDAKernelTemplateIN3c108BFloat16EfLj64ELj16ELj128ELb0ELb1ELb0EEEvllPKT_S7_PKT0_SA_PS5_SB_: ; @_ZN2at6native12_GLOBAL__N_135GammaBetaBackwardCUDAKernelTemplateIN3c108BFloat16EfLj64ELj16ELj128ELb0ELb1ELb0EEEvllPKT_S7_PKT0_SA_PS5_SB_
; %bb.0:
	s_load_dwordx4 s[20:23], s[4:5], 0x0
	s_lshl_b32 s24, s7, 7
	s_mov_b32 s25, 0
	v_mov_b32_e32 v2, s24
	v_mov_b32_e32 v3, s25
	s_waitcnt lgkmcnt(0)
	v_cmp_gt_i64_e32 vcc, s[20:21], v[2:3]
	s_cbranch_vccnz .LBB102_2
; %bb.1:
	s_mov_b64 s[0:1], 0
	s_branch .LBB102_3
.LBB102_2:
	s_mov_b64 s[0:1], -1
.LBB102_3:
	s_load_dwordx4 s[16:19], s[4:5], 0x30
	v_mov_b32_e32 v18, 0
	s_andn2_b64 vcc, exec, s[0:1]
	v_mbcnt_lo_u32_b32 v9, -1, 0
	v_mov_b32_e32 v6, 0
	s_cbranch_vccnz .LBB102_10
; %bb.4:
	s_load_dword s0, s[4:5], 0x4c
	s_load_dword s2, s[4:5], 0x44
	s_load_dwordx8 s[8:15], s[4:5], 0x10
	v_lshlrev_b32_e32 v2, 3, v1
	v_mbcnt_hi_u32_b32 v4, -1, v9
	v_lshlrev_b32_e32 v4, 2, v4
	v_add_co_u32_e32 v2, vcc, s24, v2
	v_and_b32_e32 v10, 0x100, v4
	s_waitcnt lgkmcnt(0)
	s_lshl_b32 s4, s2, 7
	v_addc_co_u32_e64 v4, s[2:3], 0, 0, vcc
	v_mul_lo_u32 v18, s23, v2
	v_mul_lo_u32 v19, s22, v4
	v_mad_u64_u32 v[7:8], s[2:3], s22, v2, 0
	s_and_b32 s0, s0, 0xffff
	v_mad_u32_u24 v3, v1, s0, v0
	v_and_b32_e32 v3, 63, v3
	v_mov_b32_e32 v6, 0
	v_lshl_add_u32 v5, s6, 6, v0
	v_add_co_u32_e32 v2, vcc, v2, v3
	v_add3_u32 v8, v8, v19, v18
	v_cmp_gt_u32_e64 s[0:1], 8, v3
	v_addc_co_u32_e32 v3, vcc, 0, v4, vcc
	v_lshlrev_b64 v[7:8], 1, v[7:8]
	v_lshlrev_b64 v[4:5], 1, v[5:6]
	s_mul_i32 s2, s23, s4
	v_add_co_u32_e32 v19, vcc, v7, v4
	s_mul_hi_u32 s3, s22, s4
	s_mov_b32 s5, 0
	v_addc_co_u32_e32 v20, vcc, v8, v5, vcc
	v_lshlrev_b64 v[4:5], 2, v[2:3]
	s_add_i32 s3, s3, s2
	s_mul_i32 s2, s22, s4
	v_or_b32_e32 v11, 4, v10
	v_or_b32_e32 v12, 8, v10
	;; [unrolled: 1-line block ×7, first 2 shown]
	s_lshl_b64 s[26:27], s[4:5], 2
	s_lshl_b64 s[28:29], s[2:3], 1
	;; [unrolled: 1-line block ×3, first 2 shown]
	v_mov_b32_e32 v18, v6
	s_branch .LBB102_7
.LBB102_5:                              ;   in Loop: Header=BB102_7 Depth=1
	s_or_b64 exec, exec, s[30:31]
.LBB102_6:                              ;   in Loop: Header=BB102_7 Depth=1
	s_or_b64 exec, exec, s[2:3]
	v_mov_b32_e32 v7, s11
	v_add_co_u32_e32 v24, vcc, s10, v19
	v_addc_co_u32_e32 v25, vcc, v7, v20, vcc
	global_load_ushort v28, v[24:25], off
	v_mov_b32_e32 v23, s23
	v_add_co_u32_e32 v7, vcc, s22, v24
	v_addc_co_u32_e32 v8, vcc, v25, v23, vcc
	v_mov_b32_e32 v25, s9
	v_add_co_u32_e32 v24, vcc, s8, v19
	v_addc_co_u32_e32 v25, vcc, v25, v20, vcc
	v_add_co_u32_e32 v26, vcc, s22, v24
	global_load_ushort v24, v[24:25], off
	v_addc_co_u32_e32 v27, vcc, v25, v23, vcc
	s_add_u32 s24, s24, s4
	s_addc_u32 s25, s25, 0
	v_add_co_u32_e64 v19, s[2:3], s28, v19
	s_waitcnt vmcnt(1)
	v_lshlrev_b32_e32 v25, 16, v28
	ds_bpermute_b32 v28, v10, v22
	s_waitcnt lgkmcnt(0)
	v_sub_f32_e32 v25, v25, v28
	s_waitcnt vmcnt(0)
	v_lshlrev_b32_e32 v24, 16, v24
	v_add_f32_e32 v6, v6, v24
	v_mul_f32_e32 v24, v25, v24
	ds_bpermute_b32 v25, v10, v21
	s_waitcnt lgkmcnt(0)
	v_fmac_f32_e32 v18, v24, v25
	v_add_co_u32_e32 v24, vcc, s22, v7
	global_load_ushort v7, v[7:8], off
	v_addc_co_u32_e32 v25, vcc, v8, v23, vcc
	global_load_ushort v8, v[26:27], off
	v_add_co_u32_e32 v28, vcc, s22, v26
	ds_bpermute_b32 v26, v11, v22
	v_addc_co_u32_e32 v29, vcc, v27, v23, vcc
	s_waitcnt vmcnt(1)
	v_lshlrev_b32_e32 v7, 16, v7
	s_waitcnt lgkmcnt(0)
	v_sub_f32_e32 v26, v7, v26
	s_waitcnt vmcnt(0)
	v_lshlrev_b32_e32 v7, 16, v8
	v_mul_f32_e32 v8, v26, v7
	ds_bpermute_b32 v26, v11, v21
	v_add_f32_e32 v6, v6, v7
	ds_bpermute_b32 v7, v17, v22
	s_waitcnt lgkmcnt(1)
	v_fmac_f32_e32 v18, v8, v26
	v_add_co_u32_e32 v26, vcc, s22, v24
	v_addc_co_u32_e32 v27, vcc, v25, v23, vcc
	global_load_ushort v8, v[24:25], off
	global_load_ushort v30, v[26:27], off
	v_add_co_u32_e32 v24, vcc, s22, v28
	global_load_ushort v28, v[28:29], off
	v_addc_co_u32_e32 v25, vcc, v29, v23, vcc
	ds_bpermute_b32 v29, v12, v22
	s_waitcnt vmcnt(2)
	v_lshlrev_b32_e32 v8, 16, v8
	s_waitcnt lgkmcnt(0)
	v_sub_f32_e32 v29, v8, v29
	s_waitcnt vmcnt(0)
	v_lshlrev_b32_e32 v8, 16, v28
	v_mul_f32_e32 v28, v29, v8
	ds_bpermute_b32 v29, v12, v21
	v_add_f32_e32 v6, v6, v8
	ds_bpermute_b32 v8, v17, v21
	s_waitcnt lgkmcnt(1)
	v_fmac_f32_e32 v18, v28, v29
	v_add_co_u32_e32 v28, vcc, s22, v26
	v_addc_co_u32_e32 v29, vcc, v27, v23, vcc
	v_add_co_u32_e32 v26, vcc, s22, v24
	global_load_ushort v24, v[24:25], off
	v_addc_co_u32_e32 v27, vcc, v25, v23, vcc
	v_lshlrev_b32_e32 v25, 16, v30
	ds_bpermute_b32 v30, v13, v22
	s_waitcnt lgkmcnt(0)
	v_sub_f32_e32 v25, v25, v30
	ds_bpermute_b32 v30, v13, v21
	s_waitcnt vmcnt(0)
	v_lshlrev_b32_e32 v24, 16, v24
	v_mul_f32_e32 v25, v25, v24
	s_waitcnt lgkmcnt(0)
	v_fmac_f32_e32 v18, v25, v30
	v_add_co_u32_e32 v30, vcc, s22, v28
	v_addc_co_u32_e32 v31, vcc, v29, v23, vcc
	global_load_ushort v25, v[28:29], off
	v_add_co_u32_e32 v28, vcc, s22, v26
	global_load_ushort v26, v[26:27], off
	v_addc_co_u32_e32 v29, vcc, v27, v23, vcc
	ds_bpermute_b32 v27, v14, v22
	v_add_f32_e32 v6, v6, v24
	s_waitcnt vmcnt(1)
	v_lshlrev_b32_e32 v25, 16, v25
	s_waitcnt lgkmcnt(0)
	v_sub_f32_e32 v25, v25, v27
	global_load_ushort v27, v[30:31], off
	s_waitcnt vmcnt(1)
	v_lshlrev_b32_e32 v32, 16, v26
	ds_bpermute_b32 v26, v14, v21
	v_mul_f32_e32 v25, v25, v32
	v_add_f32_e32 v6, v6, v32
	s_waitcnt lgkmcnt(0)
	v_fmac_f32_e32 v18, v25, v26
	v_add_co_u32_e32 v25, vcc, s22, v30
	v_addc_co_u32_e32 v26, vcc, v31, v23, vcc
	v_add_co_u32_e32 v30, vcc, s22, v28
	global_load_ushort v28, v[28:29], off
	v_addc_co_u32_e32 v31, vcc, v29, v23, vcc
	ds_bpermute_b32 v29, v15, v22
	global_load_ushort v33, v[25:26], off
	s_waitcnt vmcnt(2)
	v_lshlrev_b32_e32 v27, 16, v27
	s_waitcnt lgkmcnt(0)
	v_sub_f32_e32 v27, v27, v29
	s_waitcnt vmcnt(1)
	v_lshlrev_b32_e32 v29, 16, v28
	ds_bpermute_b32 v28, v15, v21
	v_mul_f32_e32 v27, v27, v29
	v_add_f32_e32 v6, v6, v29
	s_waitcnt lgkmcnt(0)
	v_fmac_f32_e32 v18, v27, v28
	v_add_co_u32_e32 v27, vcc, s22, v25
	v_addc_co_u32_e32 v28, vcc, v26, v23, vcc
	v_add_co_u32_e32 v25, vcc, s22, v30
	v_addc_co_u32_e32 v26, vcc, v31, v23, vcc
	global_load_ushort v23, v[30:31], off
	s_nop 0
	global_load_ushort v25, v[25:26], off
	s_nop 0
	global_load_ushort v26, v[27:28], off
	ds_bpermute_b32 v31, v16, v22
	s_waitcnt vmcnt(3)
	v_lshlrev_b32_e32 v30, 16, v33
	v_add_co_u32_e32 v4, vcc, s26, v4
	s_waitcnt lgkmcnt(0)
	v_sub_f32_e32 v30, v30, v31
	ds_bpermute_b32 v31, v16, v21
	s_waitcnt vmcnt(2)
	v_lshlrev_b32_e32 v23, 16, v23
	s_waitcnt vmcnt(0)
	v_lshlrev_b32_e32 v22, 16, v26
	v_mul_f32_e32 v30, v30, v23
	v_lshlrev_b32_e32 v21, 16, v25
	v_sub_f32_e32 v7, v22, v7
	s_waitcnt lgkmcnt(0)
	v_fmac_f32_e32 v18, v30, v31
	v_mul_f32_e32 v7, v7, v21
	v_fmac_f32_e32 v18, v7, v8
	v_mov_b32_e32 v7, s27
	v_addc_co_u32_e32 v5, vcc, v5, v7, vcc
	v_add_co_u32_e32 v2, vcc, s4, v2
	v_mov_b32_e32 v7, s20
	v_addc_co_u32_e32 v3, vcc, 0, v3, vcc
	v_mov_b32_e32 v8, s21
	v_add_f32_e32 v6, v6, v23
	v_cmp_lt_i64_e32 vcc, s[24:25], v[7:8]
	v_add_f32_e32 v6, v6, v21
	v_mov_b32_e32 v21, s29
	v_addc_co_u32_e64 v20, s[2:3], v20, v21, s[2:3]
	s_cbranch_vccz .LBB102_10
.LBB102_7:                              ; =>This Inner Loop Header: Depth=1
	v_mov_b32_e32 v21, 0
	v_mov_b32_e32 v22, 0
	s_and_saveexec_b64 s[2:3], s[0:1]
	s_cbranch_execz .LBB102_6
; %bb.8:                                ;   in Loop: Header=BB102_7 Depth=1
	v_cmp_gt_i64_e32 vcc, s[20:21], v[2:3]
	v_mov_b32_e32 v22, 0
	v_mov_b32_e32 v21, 0
	s_and_saveexec_b64 s[30:31], vcc
	s_cbranch_execz .LBB102_5
; %bb.9:                                ;   in Loop: Header=BB102_7 Depth=1
	v_mov_b32_e32 v8, s15
	v_add_co_u32_e32 v7, vcc, s14, v4
	v_addc_co_u32_e32 v8, vcc, v8, v5, vcc
	v_mov_b32_e32 v21, s13
	v_add_co_u32_e32 v23, vcc, s12, v4
	v_addc_co_u32_e32 v24, vcc, v21, v5, vcc
	global_load_dword v22, v[23:24], off
	global_load_dword v21, v[7:8], off
	s_branch .LBB102_5
.LBB102_10:
	s_movk_i32 s0, 0x41
	v_mad_u32_u24 v2, v1, s0, v0
	v_lshl_add_u32 v2, v2, 2, 0
	ds_write_b32 v2, v18
	ds_write_b32 v2, v6 offset:4160
	v_lshrrev_b32_e32 v2, 6, v0
	v_add_u32_e32 v2, v2, v1
	v_cmp_gt_u32_e32 vcc, 64, v2
	s_waitcnt lgkmcnt(0)
	s_barrier
	s_and_saveexec_b64 s[0:1], vcc
	s_cbranch_execz .LBB102_42
; %bb.11:
	v_and_b32_e32 v1, 63, v0
	v_cmp_gt_u32_e64 s[0:1], 16, v1
	v_mul_u32_u24_e32 v3, 0x41, v1
                                        ; implicit-def: $vgpr1
                                        ; implicit-def: $vgpr5
	s_and_saveexec_b64 s[2:3], s[0:1]
	s_cbranch_execz .LBB102_13
; %bb.12:
	v_add_u32_e32 v1, v2, v3
	v_lshl_add_u32 v1, v1, 2, 0
	ds_read_b32 v5, v1
	ds_read_b32 v1, v1 offset:4160
.LBB102_13:
	s_or_b64 exec, exec, s[2:3]
	v_mbcnt_hi_u32_b32 v7, -1, v9
	v_and_b32_e32 v4, 64, v7
	v_add_u32_e32 v8, 64, v4
	v_xor_b32_e32 v4, 8, v7
	v_cmp_lt_i32_e32 vcc, v4, v8
	v_cndmask_b32_e32 v4, v7, v4, vcc
	v_lshlrev_b32_e32 v4, 2, v4
	s_waitcnt lgkmcnt(1)
	ds_bpermute_b32 v6, v4, v5
	s_waitcnt lgkmcnt(1)
	ds_bpermute_b32 v9, v4, v1
	v_cmp_eq_u32_e64 s[2:3], 0, v0
	s_mov_b32 s7, 0
	s_lshl_b64 s[4:5], s[6:7], 6
	s_waitcnt lgkmcnt(1)
	v_add_f32_e32 v6, v5, v6
	v_xor_b32_e32 v5, 4, v7
	v_cmp_lt_i32_e32 vcc, v5, v8
	v_cndmask_b32_e32 v5, v7, v5, vcc
	v_lshlrev_b32_e32 v5, 2, v5
	s_waitcnt lgkmcnt(0)
	v_add_f32_e32 v1, v1, v9
	ds_bpermute_b32 v9, v5, v6
	ds_bpermute_b32 v10, v5, v1
	s_cmp_lg_u64 s[16:17], 0
	s_cselect_b64 s[8:9], -1, 0
	s_cmp_lg_u64 s[18:19], 0
	s_waitcnt lgkmcnt(1)
	v_add_f32_e32 v9, v6, v9
	v_xor_b32_e32 v6, 2, v7
	v_cmp_lt_i32_e32 vcc, v6, v8
	v_cndmask_b32_e32 v6, v7, v6, vcc
	v_lshlrev_b32_e32 v6, 2, v6
	s_waitcnt lgkmcnt(0)
	v_add_f32_e32 v1, v1, v10
	ds_bpermute_b32 v10, v6, v9
	ds_bpermute_b32 v11, v6, v1
	s_cselect_b64 s[6:7], -1, 0
	s_waitcnt lgkmcnt(1)
	v_add_f32_e32 v0, v9, v10
	v_xor_b32_e32 v9, 1, v7
	v_cmp_lt_i32_e32 vcc, v9, v8
	v_cndmask_b32_e32 v7, v7, v9, vcc
	s_waitcnt lgkmcnt(0)
	v_add_f32_e32 v1, v1, v11
	v_lshlrev_b32_e32 v7, 2, v7
	ds_bpermute_b32 v8, v7, v0
	ds_bpermute_b32 v9, v7, v1
	s_waitcnt lgkmcnt(1)
	v_add_f32_e32 v8, v0, v8
	s_waitcnt lgkmcnt(0)
	v_add_f32_e32 v9, v1, v9
	s_and_saveexec_b64 s[10:11], s[2:3]
	s_cbranch_execz .LBB102_18
; %bb.14:
	v_mov_b32_e32 v1, s5
	v_or_b32_e32 v0, s4, v2
	v_lshlrev_b64 v[0:1], 1, v[0:1]
	s_andn2_b64 vcc, exec, s[8:9]
	s_cbranch_vccnz .LBB102_16
; %bb.15:
	v_bfe_u32 v10, v8, 16, 1
	s_movk_i32 s12, 0x7fff
	v_add3_u32 v10, v8, v10, s12
	v_cmp_o_f32_e32 vcc, v8, v8
	v_mov_b32_e32 v11, 0x7fc0
	v_cndmask_b32_sdwa v12, v11, v10, vcc dst_sel:DWORD dst_unused:UNUSED_PAD src0_sel:DWORD src1_sel:WORD_1
	v_mov_b32_e32 v11, s17
	v_add_co_u32_e32 v10, vcc, s16, v0
	v_addc_co_u32_e32 v11, vcc, v11, v1, vcc
	global_store_short v[10:11], v12, off
.LBB102_16:
	s_andn2_b64 vcc, exec, s[6:7]
	s_cbranch_vccnz .LBB102_18
; %bb.17:
	v_bfe_u32 v10, v9, 16, 1
	s_movk_i32 s12, 0x7fff
	v_add3_u32 v10, v9, v10, s12
	v_cmp_o_f32_e32 vcc, v9, v9
	v_mov_b32_e32 v11, 0x7fc0
	v_cndmask_b32_sdwa v10, v11, v10, vcc dst_sel:DWORD dst_unused:UNUSED_PAD src0_sel:DWORD src1_sel:WORD_1
	v_mov_b32_e32 v11, s19
	v_add_co_u32_e32 v0, vcc, s18, v0
	v_addc_co_u32_e32 v1, vcc, v11, v1, vcc
	global_store_short v[0:1], v10, off
.LBB102_18:
	s_or_b64 exec, exec, s[10:11]
	v_cmp_gt_u32_e32 vcc, 48, v2
	s_and_b64 exec, exec, vcc
	s_cbranch_execz .LBB102_42
; %bb.19:
	s_and_saveexec_b64 s[10:11], s[0:1]
	s_cbranch_execz .LBB102_21
; %bb.20:
	v_add_u32_e32 v0, v2, v3
	v_lshl_add_u32 v0, v0, 2, 0
	ds_read_b32 v8, v0 offset:64
	ds_read_b32 v9, v0 offset:4224
.LBB102_21:
	s_or_b64 exec, exec, s[10:11]
	s_waitcnt lgkmcnt(1)
	ds_bpermute_b32 v0, v4, v8
	s_waitcnt lgkmcnt(1)
	ds_bpermute_b32 v1, v4, v9
	s_waitcnt lgkmcnt(1)
	v_add_f32_e32 v0, v8, v0
	s_waitcnt lgkmcnt(0)
	v_add_f32_e32 v1, v9, v1
	ds_bpermute_b32 v8, v5, v0
	ds_bpermute_b32 v9, v5, v1
	s_waitcnt lgkmcnt(1)
	v_add_f32_e32 v0, v0, v8
	s_waitcnt lgkmcnt(0)
	v_add_f32_e32 v1, v1, v9
	ds_bpermute_b32 v8, v6, v0
	;; [unrolled: 6-line block ×3, first 2 shown]
	ds_bpermute_b32 v9, v7, v1
	s_waitcnt lgkmcnt(1)
	v_add_f32_e32 v0, v0, v8
	s_waitcnt lgkmcnt(0)
	v_add_f32_e32 v1, v1, v9
	s_and_saveexec_b64 s[10:11], s[2:3]
	s_cbranch_execz .LBB102_26
; %bb.22:
	s_andn2_b64 vcc, exec, s[8:9]
	s_cbranch_vccnz .LBB102_24
; %bb.23:
	v_bfe_u32 v8, v0, 16, 1
	s_movk_i32 s12, 0x7fff
	v_add3_u32 v8, v0, v8, s12
	v_cmp_o_f32_e32 vcc, v0, v0
	v_mov_b32_e32 v9, 0x7fc0
	v_cndmask_b32_sdwa v10, v9, v8, vcc dst_sel:DWORD dst_unused:UNUSED_PAD src0_sel:DWORD src1_sel:WORD_1
	v_mov_b32_e32 v9, s5
	v_add_co_u32_e32 v8, vcc, s4, v2
	v_addc_co_u32_e32 v9, vcc, 0, v9, vcc
	v_lshlrev_b64 v[8:9], 1, v[8:9]
	v_mov_b32_e32 v11, s17
	v_add_co_u32_e32 v8, vcc, s16, v8
	v_addc_co_u32_e32 v9, vcc, v11, v9, vcc
	global_store_short v[8:9], v10, off offset:32
.LBB102_24:
	s_andn2_b64 vcc, exec, s[6:7]
	s_cbranch_vccnz .LBB102_26
; %bb.25:
	v_bfe_u32 v8, v1, 16, 1
	s_movk_i32 s12, 0x7fff
	v_add3_u32 v8, v1, v8, s12
	v_cmp_o_f32_e32 vcc, v1, v1
	v_mov_b32_e32 v9, 0x7fc0
	v_cndmask_b32_sdwa v10, v9, v8, vcc dst_sel:DWORD dst_unused:UNUSED_PAD src0_sel:DWORD src1_sel:WORD_1
	v_mov_b32_e32 v9, s5
	v_add_co_u32_e32 v8, vcc, s4, v2
	v_addc_co_u32_e32 v9, vcc, 0, v9, vcc
	v_lshlrev_b64 v[8:9], 1, v[8:9]
	v_mov_b32_e32 v11, s19
	v_add_co_u32_e32 v8, vcc, s18, v8
	v_addc_co_u32_e32 v9, vcc, v11, v9, vcc
	global_store_short v[8:9], v10, off offset:32
.LBB102_26:
	s_or_b64 exec, exec, s[10:11]
	v_cmp_gt_u32_e32 vcc, 32, v2
	s_and_b64 exec, exec, vcc
	s_cbranch_execz .LBB102_42
; %bb.27:
	s_and_saveexec_b64 s[10:11], s[0:1]
	s_cbranch_execz .LBB102_29
; %bb.28:
	v_add_u32_e32 v0, v2, v3
	v_lshl_add_u32 v1, v0, 2, 0
	ds_read_b32 v0, v1 offset:128
	ds_read_b32 v1, v1 offset:4288
.LBB102_29:
	s_or_b64 exec, exec, s[10:11]
	s_waitcnt lgkmcnt(1)
	ds_bpermute_b32 v8, v4, v0
	s_waitcnt lgkmcnt(1)
	ds_bpermute_b32 v9, v4, v1
	s_waitcnt lgkmcnt(1)
	v_add_f32_e32 v0, v0, v8
	s_waitcnt lgkmcnt(0)
	v_add_f32_e32 v1, v1, v9
	ds_bpermute_b32 v8, v5, v0
	ds_bpermute_b32 v9, v5, v1
	s_waitcnt lgkmcnt(1)
	v_add_f32_e32 v0, v0, v8
	s_waitcnt lgkmcnt(0)
	v_add_f32_e32 v1, v1, v9
	ds_bpermute_b32 v8, v6, v0
	;; [unrolled: 6-line block ×3, first 2 shown]
	ds_bpermute_b32 v9, v7, v1
	s_waitcnt lgkmcnt(1)
	v_add_f32_e32 v0, v0, v8
	s_waitcnt lgkmcnt(0)
	v_add_f32_e32 v1, v1, v9
	s_and_saveexec_b64 s[10:11], s[2:3]
	s_cbranch_execz .LBB102_34
; %bb.30:
	s_andn2_b64 vcc, exec, s[8:9]
	s_cbranch_vccnz .LBB102_32
; %bb.31:
	v_bfe_u32 v8, v0, 16, 1
	s_movk_i32 s12, 0x7fff
	v_add3_u32 v8, v0, v8, s12
	v_cmp_o_f32_e32 vcc, v0, v0
	v_mov_b32_e32 v9, 0x7fc0
	v_cndmask_b32_sdwa v10, v9, v8, vcc dst_sel:DWORD dst_unused:UNUSED_PAD src0_sel:DWORD src1_sel:WORD_1
	v_mov_b32_e32 v9, s5
	v_add_co_u32_e32 v8, vcc, s4, v2
	v_addc_co_u32_e32 v9, vcc, 0, v9, vcc
	v_lshlrev_b64 v[8:9], 1, v[8:9]
	v_mov_b32_e32 v11, s17
	v_add_co_u32_e32 v8, vcc, s16, v8
	v_addc_co_u32_e32 v9, vcc, v11, v9, vcc
	global_store_short v[8:9], v10, off offset:64
.LBB102_32:
	s_andn2_b64 vcc, exec, s[6:7]
	s_cbranch_vccnz .LBB102_34
; %bb.33:
	v_bfe_u32 v8, v1, 16, 1
	s_movk_i32 s12, 0x7fff
	v_add3_u32 v8, v1, v8, s12
	v_cmp_o_f32_e32 vcc, v1, v1
	v_mov_b32_e32 v9, 0x7fc0
	v_cndmask_b32_sdwa v10, v9, v8, vcc dst_sel:DWORD dst_unused:UNUSED_PAD src0_sel:DWORD src1_sel:WORD_1
	v_mov_b32_e32 v9, s5
	v_add_co_u32_e32 v8, vcc, s4, v2
	v_addc_co_u32_e32 v9, vcc, 0, v9, vcc
	v_lshlrev_b64 v[8:9], 1, v[8:9]
	v_mov_b32_e32 v11, s19
	v_add_co_u32_e32 v8, vcc, s18, v8
	v_addc_co_u32_e32 v9, vcc, v11, v9, vcc
	global_store_short v[8:9], v10, off offset:64
.LBB102_34:
	s_or_b64 exec, exec, s[10:11]
	v_cmp_gt_u32_e32 vcc, 16, v2
	s_and_b64 exec, exec, vcc
	s_cbranch_execz .LBB102_42
; %bb.35:
	s_and_saveexec_b64 s[10:11], s[0:1]
	s_cbranch_execz .LBB102_37
; %bb.36:
	v_add_u32_e32 v0, v2, v3
	v_lshl_add_u32 v1, v0, 2, 0
	ds_read_b32 v0, v1 offset:192
	ds_read_b32 v1, v1 offset:4352
.LBB102_37:
	s_or_b64 exec, exec, s[10:11]
	s_waitcnt lgkmcnt(1)
	ds_bpermute_b32 v3, v4, v0
	s_waitcnt lgkmcnt(1)
	ds_bpermute_b32 v4, v4, v1
	s_waitcnt lgkmcnt(1)
	v_add_f32_e32 v0, v0, v3
	s_waitcnt lgkmcnt(0)
	v_add_f32_e32 v1, v1, v4
	ds_bpermute_b32 v3, v5, v0
	ds_bpermute_b32 v4, v5, v1
	s_waitcnt lgkmcnt(1)
	v_add_f32_e32 v0, v0, v3
	s_waitcnt lgkmcnt(0)
	v_add_f32_e32 v1, v1, v4
	ds_bpermute_b32 v3, v6, v0
	;; [unrolled: 6-line block ×3, first 2 shown]
	ds_bpermute_b32 v1, v7, v0
	s_and_b64 exec, exec, s[2:3]
	s_cbranch_execz .LBB102_42
; %bb.38:
	s_andn2_b64 vcc, exec, s[8:9]
	s_cbranch_vccnz .LBB102_40
; %bb.39:
	s_waitcnt lgkmcnt(1)
	v_add_f32_e32 v3, v3, v4
	v_bfe_u32 v4, v3, 16, 1
	s_movk_i32 s0, 0x7fff
	v_add3_u32 v4, v3, v4, s0
	v_cmp_o_f32_e32 vcc, v3, v3
	v_mov_b32_e32 v3, 0x7fc0
	v_cndmask_b32_sdwa v5, v3, v4, vcc dst_sel:DWORD dst_unused:UNUSED_PAD src0_sel:DWORD src1_sel:WORD_1
	v_mov_b32_e32 v4, s5
	v_add_co_u32_e32 v3, vcc, s4, v2
	v_addc_co_u32_e32 v4, vcc, 0, v4, vcc
	v_lshlrev_b64 v[3:4], 1, v[3:4]
	v_mov_b32_e32 v6, s17
	v_add_co_u32_e32 v3, vcc, s16, v3
	v_addc_co_u32_e32 v4, vcc, v6, v4, vcc
	global_store_short v[3:4], v5, off offset:96
.LBB102_40:
	s_andn2_b64 vcc, exec, s[6:7]
	s_cbranch_vccnz .LBB102_42
; %bb.41:
	s_waitcnt lgkmcnt(0)
	v_add_f32_e32 v0, v0, v1
	v_bfe_u32 v1, v0, 16, 1
	s_movk_i32 s0, 0x7fff
	v_add3_u32 v1, v0, v1, s0
	v_cmp_o_f32_e32 vcc, v0, v0
	v_mov_b32_e32 v0, 0x7fc0
	v_cndmask_b32_sdwa v3, v0, v1, vcc dst_sel:DWORD dst_unused:UNUSED_PAD src0_sel:DWORD src1_sel:WORD_1
	v_mov_b32_e32 v1, s5
	v_add_co_u32_e32 v0, vcc, s4, v2
	v_addc_co_u32_e32 v1, vcc, 0, v1, vcc
	v_lshlrev_b64 v[0:1], 1, v[0:1]
	v_mov_b32_e32 v2, s19
	v_add_co_u32_e32 v0, vcc, s18, v0
	v_addc_co_u32_e32 v1, vcc, v2, v1, vcc
	global_store_short v[0:1], v3, off offset:96
.LBB102_42:
	s_endpgm
	.section	.rodata,"a",@progbits
	.p2align	6, 0x0
	.amdhsa_kernel _ZN2at6native12_GLOBAL__N_135GammaBetaBackwardCUDAKernelTemplateIN3c108BFloat16EfLj64ELj16ELj128ELb0ELb1ELb0EEEvllPKT_S7_PKT0_SA_PS5_SB_
		.amdhsa_group_segment_fixed_size 0
		.amdhsa_private_segment_fixed_size 0
		.amdhsa_kernarg_size 320
		.amdhsa_user_sgpr_count 6
		.amdhsa_user_sgpr_private_segment_buffer 1
		.amdhsa_user_sgpr_dispatch_ptr 0
		.amdhsa_user_sgpr_queue_ptr 0
		.amdhsa_user_sgpr_kernarg_segment_ptr 1
		.amdhsa_user_sgpr_dispatch_id 0
		.amdhsa_user_sgpr_flat_scratch_init 0
		.amdhsa_user_sgpr_private_segment_size 0
		.amdhsa_uses_dynamic_stack 0
		.amdhsa_system_sgpr_private_segment_wavefront_offset 0
		.amdhsa_system_sgpr_workgroup_id_x 1
		.amdhsa_system_sgpr_workgroup_id_y 1
		.amdhsa_system_sgpr_workgroup_id_z 0
		.amdhsa_system_sgpr_workgroup_info 0
		.amdhsa_system_vgpr_workitem_id 1
		.amdhsa_next_free_vgpr 34
		.amdhsa_next_free_sgpr 32
		.amdhsa_reserve_vcc 1
		.amdhsa_reserve_flat_scratch 0
		.amdhsa_float_round_mode_32 0
		.amdhsa_float_round_mode_16_64 0
		.amdhsa_float_denorm_mode_32 3
		.amdhsa_float_denorm_mode_16_64 3
		.amdhsa_dx10_clamp 1
		.amdhsa_ieee_mode 1
		.amdhsa_fp16_overflow 0
		.amdhsa_exception_fp_ieee_invalid_op 0
		.amdhsa_exception_fp_denorm_src 0
		.amdhsa_exception_fp_ieee_div_zero 0
		.amdhsa_exception_fp_ieee_overflow 0
		.amdhsa_exception_fp_ieee_underflow 0
		.amdhsa_exception_fp_ieee_inexact 0
		.amdhsa_exception_int_div_zero 0
	.end_amdhsa_kernel
	.section	.text._ZN2at6native12_GLOBAL__N_135GammaBetaBackwardCUDAKernelTemplateIN3c108BFloat16EfLj64ELj16ELj128ELb0ELb1ELb0EEEvllPKT_S7_PKT0_SA_PS5_SB_,"axG",@progbits,_ZN2at6native12_GLOBAL__N_135GammaBetaBackwardCUDAKernelTemplateIN3c108BFloat16EfLj64ELj16ELj128ELb0ELb1ELb0EEEvllPKT_S7_PKT0_SA_PS5_SB_,comdat
.Lfunc_end102:
	.size	_ZN2at6native12_GLOBAL__N_135GammaBetaBackwardCUDAKernelTemplateIN3c108BFloat16EfLj64ELj16ELj128ELb0ELb1ELb0EEEvllPKT_S7_PKT0_SA_PS5_SB_, .Lfunc_end102-_ZN2at6native12_GLOBAL__N_135GammaBetaBackwardCUDAKernelTemplateIN3c108BFloat16EfLj64ELj16ELj128ELb0ELb1ELb0EEEvllPKT_S7_PKT0_SA_PS5_SB_
                                        ; -- End function
	.set _ZN2at6native12_GLOBAL__N_135GammaBetaBackwardCUDAKernelTemplateIN3c108BFloat16EfLj64ELj16ELj128ELb0ELb1ELb0EEEvllPKT_S7_PKT0_SA_PS5_SB_.num_vgpr, 34
	.set _ZN2at6native12_GLOBAL__N_135GammaBetaBackwardCUDAKernelTemplateIN3c108BFloat16EfLj64ELj16ELj128ELb0ELb1ELb0EEEvllPKT_S7_PKT0_SA_PS5_SB_.num_agpr, 0
	.set _ZN2at6native12_GLOBAL__N_135GammaBetaBackwardCUDAKernelTemplateIN3c108BFloat16EfLj64ELj16ELj128ELb0ELb1ELb0EEEvllPKT_S7_PKT0_SA_PS5_SB_.numbered_sgpr, 32
	.set _ZN2at6native12_GLOBAL__N_135GammaBetaBackwardCUDAKernelTemplateIN3c108BFloat16EfLj64ELj16ELj128ELb0ELb1ELb0EEEvllPKT_S7_PKT0_SA_PS5_SB_.num_named_barrier, 0
	.set _ZN2at6native12_GLOBAL__N_135GammaBetaBackwardCUDAKernelTemplateIN3c108BFloat16EfLj64ELj16ELj128ELb0ELb1ELb0EEEvllPKT_S7_PKT0_SA_PS5_SB_.private_seg_size, 0
	.set _ZN2at6native12_GLOBAL__N_135GammaBetaBackwardCUDAKernelTemplateIN3c108BFloat16EfLj64ELj16ELj128ELb0ELb1ELb0EEEvllPKT_S7_PKT0_SA_PS5_SB_.uses_vcc, 1
	.set _ZN2at6native12_GLOBAL__N_135GammaBetaBackwardCUDAKernelTemplateIN3c108BFloat16EfLj64ELj16ELj128ELb0ELb1ELb0EEEvllPKT_S7_PKT0_SA_PS5_SB_.uses_flat_scratch, 0
	.set _ZN2at6native12_GLOBAL__N_135GammaBetaBackwardCUDAKernelTemplateIN3c108BFloat16EfLj64ELj16ELj128ELb0ELb1ELb0EEEvllPKT_S7_PKT0_SA_PS5_SB_.has_dyn_sized_stack, 0
	.set _ZN2at6native12_GLOBAL__N_135GammaBetaBackwardCUDAKernelTemplateIN3c108BFloat16EfLj64ELj16ELj128ELb0ELb1ELb0EEEvllPKT_S7_PKT0_SA_PS5_SB_.has_recursion, 0
	.set _ZN2at6native12_GLOBAL__N_135GammaBetaBackwardCUDAKernelTemplateIN3c108BFloat16EfLj64ELj16ELj128ELb0ELb1ELb0EEEvllPKT_S7_PKT0_SA_PS5_SB_.has_indirect_call, 0
	.section	.AMDGPU.csdata,"",@progbits
; Kernel info:
; codeLenInByte = 2852
; TotalNumSgprs: 36
; NumVgprs: 34
; ScratchSize: 0
; MemoryBound: 0
; FloatMode: 240
; IeeeMode: 1
; LDSByteSize: 0 bytes/workgroup (compile time only)
; SGPRBlocks: 4
; VGPRBlocks: 8
; NumSGPRsForWavesPerEU: 36
; NumVGPRsForWavesPerEU: 34
; Occupancy: 7
; WaveLimiterHint : 0
; COMPUTE_PGM_RSRC2:SCRATCH_EN: 0
; COMPUTE_PGM_RSRC2:USER_SGPR: 6
; COMPUTE_PGM_RSRC2:TRAP_HANDLER: 0
; COMPUTE_PGM_RSRC2:TGID_X_EN: 1
; COMPUTE_PGM_RSRC2:TGID_Y_EN: 1
; COMPUTE_PGM_RSRC2:TGID_Z_EN: 0
; COMPUTE_PGM_RSRC2:TIDIG_COMP_CNT: 1
	.section	.text._ZN2at6native12_GLOBAL__N_135GammaBetaBackwardCUDAKernelTemplateIN3c108BFloat16EfLj64ELj16ELj128ELb0ELb0ELb0EEEvllPKT_S7_PKT0_SA_PS5_SB_,"axG",@progbits,_ZN2at6native12_GLOBAL__N_135GammaBetaBackwardCUDAKernelTemplateIN3c108BFloat16EfLj64ELj16ELj128ELb0ELb0ELb0EEEvllPKT_S7_PKT0_SA_PS5_SB_,comdat
	.globl	_ZN2at6native12_GLOBAL__N_135GammaBetaBackwardCUDAKernelTemplateIN3c108BFloat16EfLj64ELj16ELj128ELb0ELb0ELb0EEEvllPKT_S7_PKT0_SA_PS5_SB_ ; -- Begin function _ZN2at6native12_GLOBAL__N_135GammaBetaBackwardCUDAKernelTemplateIN3c108BFloat16EfLj64ELj16ELj128ELb0ELb0ELb0EEEvllPKT_S7_PKT0_SA_PS5_SB_
	.p2align	8
	.type	_ZN2at6native12_GLOBAL__N_135GammaBetaBackwardCUDAKernelTemplateIN3c108BFloat16EfLj64ELj16ELj128ELb0ELb0ELb0EEEvllPKT_S7_PKT0_SA_PS5_SB_,@function
_ZN2at6native12_GLOBAL__N_135GammaBetaBackwardCUDAKernelTemplateIN3c108BFloat16EfLj64ELj16ELj128ELb0ELb0ELb0EEEvllPKT_S7_PKT0_SA_PS5_SB_: ; @_ZN2at6native12_GLOBAL__N_135GammaBetaBackwardCUDAKernelTemplateIN3c108BFloat16EfLj64ELj16ELj128ELb0ELb0ELb0EEEvllPKT_S7_PKT0_SA_PS5_SB_
; %bb.0:
	s_mov_b64 s[38:39], s[2:3]
	s_mov_b64 s[36:37], s[0:1]
	s_add_u32 s36, s36, s8
	s_load_dwordx8 s[12:19], s[4:5], 0x0
	s_load_dwordx4 s[20:23], s[4:5], 0x20
	s_addc_u32 s37, s37, 0
	s_lshl_b32 s24, s7, 7
	s_lshl_b32 s33, s6, 6
	s_mov_b32 s25, 0
	v_mov_b32_e32 v2, s24
	s_or_b32 s0, s33, 63
	v_mov_b32_e32 v3, s25
	v_mov_b32_e32 v10, s0
	v_mov_b32_e32 v11, 0
	s_waitcnt lgkmcnt(0)
	v_cmp_gt_i64_e64 s[0:1], s[12:13], v[2:3]
	v_cmp_le_i64_e32 vcc, s[14:15], v[10:11]
	v_mov_b32_e32 v61, v0
	v_cndmask_b32_e64 v0, 0, 1, s[0:1]
	v_cmp_ne_u32_e64 s[0:1], 1, v0
	s_cbranch_vccz .LBB103_49
; %bb.1:
	s_and_b64 vcc, exec, s[0:1]
	v_mov_b32_e32 v60, 0
	s_cbranch_vccnz .LBB103_50
; %bb.2:
	v_lshlrev_b32_e32 v0, 3, v1
	v_add_co_u32_e32 v5, vcc, s24, v0
	v_addc_co_u32_e64 v6, s[2:3], 0, 0, vcc
	v_mul_lo_u32 v10, s15, v5
	v_mul_lo_u32 v9, s14, v6
	v_mad_u64_u32 v[3:4], s[2:3], s14, v5, 0
	v_mov_b32_e32 v2, 0
	s_load_dword s7, s[4:5], 0x44
	v_add_u32_e32 v7, s33, v61
	v_mov_b32_e32 v8, v2
	v_add3_u32 v4, v4, v9, v10
	v_cmp_gt_i64_e64 s[2:3], s[14:15], v[7:8]
	v_lshlrev_b64 v[19:20], 1, v[7:8]
	v_lshlrev_b64 v[7:8], 1, v[3:4]
	s_add_u32 s10, s4, 64
	v_mov_b32_e32 v9, s17
	v_add_co_u32_e32 v62, vcc, s16, v7
	s_addc_u32 s11, s5, 0
	s_waitcnt lgkmcnt(0)
	s_lshl_b32 s7, s7, 7
	v_addc_co_u32_e32 v21, vcc, v9, v8, vcc
	s_mul_i32 s8, s15, s7
	s_mul_hi_u32 s9, s14, s7
	v_add_co_u32_e32 v9, vcc, 7, v5
	s_add_i32 s9, s9, s8
	s_mul_i32 s8, s14, s7
	v_addc_co_u32_e32 v10, vcc, 0, v6, vcc
	s_lshl_b64 s[26:27], s[8:9], 1
	v_mul_lo_u32 v12, s15, v9
	v_mul_lo_u32 v13, s14, v10
	v_mad_u64_u32 v[9:10], s[8:9], s14, v9, 0
	v_mov_b32_e32 v11, s19
	v_add_co_u32_e32 v22, vcc, s18, v7
	v_add3_u32 v10, v10, v13, v12
	v_addc_co_u32_e32 v23, vcc, v11, v8, vcc
	v_lshlrev_b64 v[7:8], 1, v[9:10]
	v_mov_b32_e32 v9, s17
	v_add_co_u32_e32 v24, vcc, s16, v7
	v_addc_co_u32_e32 v25, vcc, v9, v8, vcc
	v_add_co_u32_e32 v9, vcc, 6, v5
	v_addc_co_u32_e32 v10, vcc, 0, v6, vcc
	v_mul_lo_u32 v12, s15, v9
	v_mul_lo_u32 v13, s14, v10
	v_mad_u64_u32 v[9:10], s[8:9], s14, v9, 0
	v_add_co_u32_e32 v26, vcc, s18, v7
	v_add3_u32 v10, v10, v13, v12
	v_addc_co_u32_e32 v27, vcc, v11, v8, vcc
	v_lshlrev_b64 v[7:8], 1, v[9:10]
	v_mov_b32_e32 v9, s17
	v_add_co_u32_e32 v28, vcc, s16, v7
	v_addc_co_u32_e32 v29, vcc, v9, v8, vcc
	v_add_co_u32_e32 v9, vcc, 5, v5
	v_addc_co_u32_e32 v10, vcc, 0, v6, vcc
	v_mul_lo_u32 v12, s15, v9
	v_mul_lo_u32 v13, s14, v10
	v_mad_u64_u32 v[9:10], s[8:9], s14, v9, 0
	;; [unrolled: 12-line block ×5, first 2 shown]
	v_mov_b32_e32 v9, s19
	v_add_co_u32_e32 v42, vcc, s18, v7
	v_add3_u32 v6, v6, v11, v10
	v_lshlrev_b64 v[5:6], 1, v[5:6]
	v_addc_co_u32_e32 v43, vcc, v9, v8, vcc
	v_mov_b32_e32 v7, s17
	v_add_co_u32_e32 v44, vcc, s16, v5
	v_addc_co_u32_e32 v45, vcc, v7, v6, vcc
	v_mov_b32_e32 v7, s19
	v_add_co_u32_e32 v46, vcc, s18, v5
	;; [unrolled: 3-line block ×3, first 2 shown]
	v_addc_co_u32_e32 v4, vcc, v4, v5, vcc
	v_lshlrev_b64 v[3:4], 1, v[3:4]
	v_mov_b32_e32 v5, s17
	v_add_co_u32_e32 v48, vcc, s16, v3
	v_addc_co_u32_e32 v49, vcc, v5, v4, vcc
	v_add_co_u32_e32 v50, vcc, s18, v3
	v_mbcnt_lo_u32_b32 v3, -1, 0
	v_mbcnt_hi_u32_b32 v3, -1, v3
	v_mov_b32_e32 v5, s19
	s_add_u32 s28, s24, 0x7f
	v_lshlrev_b32_e32 v3, 2, v3
	v_addc_co_u32_e32 v51, vcc, v5, v4, vcc
	s_addc_u32 s29, 0, 0
	v_and_b32_e32 v52, 0x100, v3
	v_mov_b32_e32 v60, 0
	v_mov_b32_e32 v53, 0
	s_mov_b64 s[30:31], s[24:25]
.LBB103_3:                              ; =>This Inner Loop Header: Depth=1
	v_mov_b32_e32 v3, s12
	v_mov_b32_e32 v4, s13
	v_cmp_ge_i64_e32 vcc, s[28:29], v[3:4]
	v_mov_b32_e32 v3, s29
	v_add_co_u32_e64 v54, s[8:9], s28, v0
	v_addc_co_u32_e64 v55, s[8:9], 0, v3, s[8:9]
	s_mov_b64 s[8:9], -1
	s_and_b64 vcc, exec, vcc
                                        ; implicit-def: $vgpr11_vgpr12_vgpr13_vgpr14_vgpr15_vgpr16_vgpr17_vgpr18
                                        ; implicit-def: $vgpr3_vgpr4_vgpr5_vgpr6_vgpr7_vgpr8_vgpr9_vgpr10
                                        ; implicit-def: $vgpr56
                                        ; implicit-def: $vgpr4
                                        ; implicit-def: $vgpr11
                                        ; implicit-def: $vgpr3
	s_cbranch_vccz .LBB103_25
; %bb.4:                                ;   in Loop: Header=BB103_3 Depth=1
	s_load_dword s8, s[10:11], 0xc
	v_mov_b32_e32 v56, 0
	v_mov_b32_e32 v57, 0
	s_waitcnt lgkmcnt(0)
	s_and_b32 s8, s8, 0xffff
	v_mad_u32_u24 v3, v1, s8, v61
	v_and_b32_e32 v3, 63, v3
	v_cmp_gt_u32_e32 vcc, 8, v3
	s_and_saveexec_b64 s[8:9], vcc
	s_cbranch_execz .LBB103_8
; %bb.5:                                ;   in Loop: Header=BB103_3 Depth=1
	v_add_co_u32_e32 v3, vcc, v54, v3
	v_addc_co_u32_e32 v4, vcc, 0, v55, vcc
	v_add_co_u32_e32 v3, vcc, 0xffffff81, v3
	v_addc_co_u32_e32 v4, vcc, -1, v4, vcc
	v_cmp_gt_i64_e32 vcc, s[12:13], v[3:4]
	v_mov_b32_e32 v57, 0
	v_mov_b32_e32 v56, 0
	s_and_saveexec_b64 s[34:35], vcc
	s_cbranch_execz .LBB103_7
; %bb.6:                                ;   in Loop: Header=BB103_3 Depth=1
	v_lshlrev_b64 v[3:4], 2, v[3:4]
	v_mov_b32_e32 v6, s23
	v_add_co_u32_e32 v5, vcc, s22, v3
	v_addc_co_u32_e32 v6, vcc, v6, v4, vcc
	v_mov_b32_e32 v7, s21
	v_add_co_u32_e32 v3, vcc, s20, v3
	v_addc_co_u32_e32 v4, vcc, v7, v4, vcc
	global_load_dword v57, v[3:4], off
	global_load_dword v56, v[5:6], off
.LBB103_7:                              ;   in Loop: Header=BB103_3 Depth=1
	s_or_b64 exec, exec, s[34:35]
.LBB103_8:                              ;   in Loop: Header=BB103_3 Depth=1
	s_or_b64 exec, exec, s[8:9]
	v_add_co_u32_e32 v3, vcc, 0xffffff81, v54
	v_addc_co_u32_e32 v4, vcc, -1, v55, vcc
	v_mov_b32_e32 v9, v2
	v_cmp_gt_i64_e32 vcc, s[12:13], v[3:4]
	v_mov_b32_e32 v3, v2
	v_mov_b32_e32 v4, v2
	;; [unrolled: 1-line block ×15, first 2 shown]
	s_and_b64 s[34:35], s[2:3], vcc
	v_mov_b32_e32 v9, v8
	v_mov_b32_e32 v8, v7
	;; [unrolled: 1-line block ×7, first 2 shown]
	s_and_saveexec_b64 s[8:9], s[34:35]
	s_cbranch_execz .LBB103_10
; %bb.9:                                ;   in Loop: Header=BB103_3 Depth=1
	v_add_co_u32_e32 v3, vcc, v62, v19
	v_addc_co_u32_e32 v4, vcc, v21, v20, vcc
	global_load_ushort v11, v[3:4], off
	v_add_co_u32_e32 v3, vcc, v22, v19
	v_addc_co_u32_e32 v4, vcc, v23, v20, vcc
	global_load_ushort v18, v[3:4], off
	v_mov_b32_e32 v4, v2
	v_mov_b32_e32 v5, v2
	;; [unrolled: 1-line block ×13, first 2 shown]
	s_waitcnt vmcnt(1)
	v_lshlrev_b32_e32 v3, 16, v11
	s_waitcnt vmcnt(0)
	v_lshlrev_b32_e32 v11, 16, v18
	v_mov_b32_e32 v18, v2
.LBB103_10:                             ;   in Loop: Header=BB103_3 Depth=1
	s_or_b64 exec, exec, s[8:9]
	v_add_co_u32_e32 v58, vcc, 0xffffff82, v54
	v_addc_co_u32_e32 v59, vcc, -1, v55, vcc
	v_cmp_gt_i64_e32 vcc, s[12:13], v[58:59]
	s_and_b64 s[34:35], s[2:3], vcc
	s_and_saveexec_b64 s[8:9], s[34:35]
	s_cbranch_execz .LBB103_12
; %bb.11:                               ;   in Loop: Header=BB103_3 Depth=1
	v_add_co_u32_e32 v58, vcc, v48, v19
	v_addc_co_u32_e32 v59, vcc, v49, v20, vcc
	global_load_ushort v4, v[58:59], off
	v_add_co_u32_e32 v58, vcc, v50, v19
	v_addc_co_u32_e32 v59, vcc, v51, v20, vcc
	global_load_ushort v12, v[58:59], off
	s_waitcnt vmcnt(1)
	v_lshlrev_b32_e32 v4, 16, v4
	s_waitcnt vmcnt(0)
	v_lshlrev_b32_e32 v12, 16, v12
.LBB103_12:                             ;   in Loop: Header=BB103_3 Depth=1
	s_or_b64 exec, exec, s[8:9]
	v_add_co_u32_e32 v58, vcc, 0xffffff83, v54
	v_addc_co_u32_e32 v59, vcc, -1, v55, vcc
	v_cmp_gt_i64_e32 vcc, s[12:13], v[58:59]
	s_and_b64 s[34:35], s[2:3], vcc
	s_and_saveexec_b64 s[8:9], s[34:35]
	s_cbranch_execz .LBB103_14
; %bb.13:                               ;   in Loop: Header=BB103_3 Depth=1
	v_add_co_u32_e32 v58, vcc, v44, v19
	v_addc_co_u32_e32 v59, vcc, v45, v20, vcc
	global_load_ushort v5, v[58:59], off
	v_add_co_u32_e32 v58, vcc, v46, v19
	v_addc_co_u32_e32 v59, vcc, v47, v20, vcc
	global_load_ushort v13, v[58:59], off
	s_waitcnt vmcnt(1)
	v_lshlrev_b32_e32 v5, 16, v5
	s_waitcnt vmcnt(0)
	v_lshlrev_b32_e32 v13, 16, v13
.LBB103_14:                             ;   in Loop: Header=BB103_3 Depth=1
	s_or_b64 exec, exec, s[8:9]
	v_add_co_u32_e32 v58, vcc, 0xffffff84, v54
	v_addc_co_u32_e32 v59, vcc, -1, v55, vcc
	v_cmp_gt_i64_e32 vcc, s[12:13], v[58:59]
	s_and_b64 s[34:35], s[2:3], vcc
	s_and_saveexec_b64 s[8:9], s[34:35]
	s_cbranch_execz .LBB103_16
; %bb.15:                               ;   in Loop: Header=BB103_3 Depth=1
	v_add_co_u32_e32 v58, vcc, v40, v19
	v_addc_co_u32_e32 v59, vcc, v41, v20, vcc
	global_load_ushort v6, v[58:59], off
	v_add_co_u32_e32 v58, vcc, v42, v19
	v_addc_co_u32_e32 v59, vcc, v43, v20, vcc
	global_load_ushort v14, v[58:59], off
	s_waitcnt vmcnt(1)
	v_lshlrev_b32_e32 v6, 16, v6
	s_waitcnt vmcnt(0)
	v_lshlrev_b32_e32 v14, 16, v14
.LBB103_16:                             ;   in Loop: Header=BB103_3 Depth=1
	s_or_b64 exec, exec, s[8:9]
	v_add_co_u32_e32 v58, vcc, 0xffffff85, v54
	v_addc_co_u32_e32 v59, vcc, -1, v55, vcc
	v_cmp_gt_i64_e32 vcc, s[12:13], v[58:59]
	s_and_b64 s[34:35], s[2:3], vcc
	s_and_saveexec_b64 s[8:9], s[34:35]
	s_cbranch_execz .LBB103_18
; %bb.17:                               ;   in Loop: Header=BB103_3 Depth=1
	v_add_co_u32_e32 v58, vcc, v36, v19
	v_addc_co_u32_e32 v59, vcc, v37, v20, vcc
	global_load_ushort v7, v[58:59], off
	v_add_co_u32_e32 v58, vcc, v38, v19
	v_addc_co_u32_e32 v59, vcc, v39, v20, vcc
	global_load_ushort v15, v[58:59], off
	s_waitcnt vmcnt(1)
	v_lshlrev_b32_e32 v7, 16, v7
	s_waitcnt vmcnt(0)
	v_lshlrev_b32_e32 v15, 16, v15
.LBB103_18:                             ;   in Loop: Header=BB103_3 Depth=1
	s_or_b64 exec, exec, s[8:9]
	v_add_co_u32_e32 v58, vcc, 0xffffff86, v54
	v_addc_co_u32_e32 v59, vcc, -1, v55, vcc
	v_cmp_gt_i64_e32 vcc, s[12:13], v[58:59]
	s_and_b64 s[34:35], s[2:3], vcc
	s_and_saveexec_b64 s[8:9], s[34:35]
	s_cbranch_execz .LBB103_20
; %bb.19:                               ;   in Loop: Header=BB103_3 Depth=1
	v_add_co_u32_e32 v58, vcc, v32, v19
	v_addc_co_u32_e32 v59, vcc, v33, v20, vcc
	global_load_ushort v8, v[58:59], off
	v_add_co_u32_e32 v58, vcc, v34, v19
	v_addc_co_u32_e32 v59, vcc, v35, v20, vcc
	global_load_ushort v16, v[58:59], off
	s_waitcnt vmcnt(1)
	v_lshlrev_b32_e32 v8, 16, v8
	s_waitcnt vmcnt(0)
	v_lshlrev_b32_e32 v16, 16, v16
.LBB103_20:                             ;   in Loop: Header=BB103_3 Depth=1
	s_or_b64 exec, exec, s[8:9]
	v_add_co_u32_e32 v58, vcc, 0xffffff87, v54
	v_addc_co_u32_e32 v59, vcc, -1, v55, vcc
	v_cmp_gt_i64_e32 vcc, s[12:13], v[58:59]
	s_and_b64 s[34:35], s[2:3], vcc
	s_and_saveexec_b64 s[8:9], s[34:35]
	s_cbranch_execz .LBB103_22
; %bb.21:                               ;   in Loop: Header=BB103_3 Depth=1
	v_add_co_u32_e32 v58, vcc, v28, v19
	v_addc_co_u32_e32 v59, vcc, v29, v20, vcc
	global_load_ushort v9, v[58:59], off
	v_add_co_u32_e32 v58, vcc, v30, v19
	v_addc_co_u32_e32 v59, vcc, v31, v20, vcc
	global_load_ushort v17, v[58:59], off
	s_waitcnt vmcnt(1)
	v_lshlrev_b32_e32 v9, 16, v9
	s_waitcnt vmcnt(0)
	v_lshlrev_b32_e32 v17, 16, v17
.LBB103_22:                             ;   in Loop: Header=BB103_3 Depth=1
	s_or_b64 exec, exec, s[8:9]
	v_add_co_u32_e32 v58, vcc, 0xffffff88, v54
	v_addc_co_u32_e32 v59, vcc, -1, v55, vcc
	v_cmp_gt_i64_e32 vcc, s[12:13], v[58:59]
	s_and_b64 s[34:35], s[2:3], vcc
	s_and_saveexec_b64 s[8:9], s[34:35]
	s_cbranch_execz .LBB103_24
; %bb.23:                               ;   in Loop: Header=BB103_3 Depth=1
	v_add_co_u32_e32 v58, vcc, v24, v19
	v_addc_co_u32_e32 v59, vcc, v25, v20, vcc
	global_load_ushort v10, v[58:59], off
	v_add_co_u32_e32 v58, vcc, v26, v19
	v_addc_co_u32_e32 v59, vcc, v27, v20, vcc
	global_load_ushort v18, v[58:59], off
	s_waitcnt vmcnt(1)
	v_lshlrev_b32_e32 v10, 16, v10
	s_waitcnt vmcnt(0)
	v_lshlrev_b32_e32 v18, 16, v18
.LBB103_24:                             ;   in Loop: Header=BB103_3 Depth=1
	s_or_b64 exec, exec, s[8:9]
	s_waitcnt vmcnt(1)
	ds_bpermute_b32 v59, v52, v57
	s_waitcnt vmcnt(0)
	ds_bpermute_b32 v58, v52, v56
	s_mov_b64 s[8:9], 0
	s_waitcnt lgkmcnt(1)
	v_sub_f32_e32 v11, v11, v59
	ds_bpermute_b32 v59, v52, v57 offset:4
	v_mul_f32_e32 v11, v3, v11
	s_waitcnt lgkmcnt(1)
	v_fma_f32 v11, v11, v58, v53
	ds_bpermute_b32 v58, v52, v56 offset:4
	v_add_f32_e32 v3, v60, v3
	s_waitcnt lgkmcnt(1)
	v_sub_f32_e32 v12, v12, v59
	v_mul_f32_e32 v12, v4, v12
	v_add_f32_e32 v3, v4, v3
	s_waitcnt lgkmcnt(0)
	v_fmac_f32_e32 v11, v12, v58
	ds_bpermute_b32 v12, v52, v57 offset:8
	ds_bpermute_b32 v4, v52, v56 offset:8
	v_add_f32_e32 v3, v5, v3
	v_add_f32_e32 v3, v6, v3
	;; [unrolled: 1-line block ×3, first 2 shown]
	s_waitcnt lgkmcnt(1)
	v_sub_f32_e32 v12, v13, v12
	v_mul_f32_e32 v12, v5, v12
	ds_bpermute_b32 v5, v52, v57 offset:12
	s_waitcnt lgkmcnt(1)
	v_fmac_f32_e32 v11, v12, v4
	ds_bpermute_b32 v4, v52, v56 offset:12
	v_add_f32_e32 v3, v8, v3
	v_add_f32_e32 v3, v9, v3
	s_waitcnt lgkmcnt(1)
	v_sub_f32_e32 v5, v14, v5
	v_mul_f32_e32 v5, v6, v5
	s_waitcnt lgkmcnt(0)
	v_fmac_f32_e32 v11, v5, v4
	ds_bpermute_b32 v5, v52, v57 offset:16
	ds_bpermute_b32 v4, v52, v56 offset:16
	s_waitcnt lgkmcnt(1)
	v_sub_f32_e32 v5, v15, v5
	v_mul_f32_e32 v5, v7, v5
	s_waitcnt lgkmcnt(0)
	v_fmac_f32_e32 v11, v5, v4
	ds_bpermute_b32 v5, v52, v57 offset:20
	ds_bpermute_b32 v4, v52, v56 offset:20
	;; [unrolled: 7-line block ×3, first 2 shown]
	ds_bpermute_b32 v56, v52, v56 offset:28
	s_waitcnt lgkmcnt(2)
	v_sub_f32_e32 v5, v17, v5
	v_mul_f32_e32 v5, v9, v5
	s_waitcnt lgkmcnt(1)
	v_fmac_f32_e32 v11, v5, v4
	ds_bpermute_b32 v4, v52, v57 offset:28
.LBB103_25:                             ;   in Loop: Header=BB103_3 Depth=1
	s_and_b64 vcc, exec, s[8:9]
	s_cbranch_vccz .LBB103_40
; %bb.26:                               ;   in Loop: Header=BB103_3 Depth=1
	s_load_dword s8, s[10:11], 0x0
	s_waitcnt lgkmcnt(0)
	v_mov_b32_e32 v56, 0
	v_mov_b32_e32 v57, 0
	s_cmp_lt_u32 s6, s8
	s_cselect_b32 s8, 12, 18
	s_add_u32 s8, s10, s8
	s_addc_u32 s9, s11, 0
	global_load_ushort v3, v2, s[8:9]
	s_waitcnt vmcnt(0)
	v_mad_u32_u24 v3, v1, v3, v61
	v_and_b32_e32 v3, 63, v3
	v_cmp_gt_u32_e32 vcc, 8, v3
	s_and_saveexec_b64 s[8:9], vcc
	s_cbranch_execz .LBB103_30
; %bb.27:                               ;   in Loop: Header=BB103_3 Depth=1
	v_add_co_u32_e32 v3, vcc, v54, v3
	v_addc_co_u32_e32 v4, vcc, 0, v55, vcc
	v_add_co_u32_e32 v3, vcc, 0xffffff81, v3
	v_addc_co_u32_e32 v4, vcc, -1, v4, vcc
	v_cmp_gt_i64_e32 vcc, s[12:13], v[3:4]
	v_mov_b32_e32 v57, 0
	v_mov_b32_e32 v56, 0
	s_and_saveexec_b64 s[34:35], vcc
	s_cbranch_execz .LBB103_29
; %bb.28:                               ;   in Loop: Header=BB103_3 Depth=1
	v_lshlrev_b64 v[3:4], 2, v[3:4]
	v_mov_b32_e32 v6, s23
	v_add_co_u32_e32 v5, vcc, s22, v3
	v_addc_co_u32_e32 v6, vcc, v6, v4, vcc
	v_mov_b32_e32 v7, s21
	v_add_co_u32_e32 v3, vcc, s20, v3
	v_addc_co_u32_e32 v4, vcc, v7, v4, vcc
	global_load_dword v57, v[3:4], off
	global_load_dword v56, v[5:6], off
.LBB103_29:                             ;   in Loop: Header=BB103_3 Depth=1
	s_or_b64 exec, exec, s[34:35]
.LBB103_30:                             ;   in Loop: Header=BB103_3 Depth=1
	s_or_b64 exec, exec, s[8:9]
	v_mov_b32_e32 v9, v2
	v_mov_b32_e32 v3, v2
	;; [unrolled: 1-line block ×23, first 2 shown]
	s_and_saveexec_b64 s[8:9], s[2:3]
	s_cbranch_execnz .LBB103_42
; %bb.31:                               ;   in Loop: Header=BB103_3 Depth=1
	s_or_b64 exec, exec, s[8:9]
	s_and_saveexec_b64 s[8:9], s[2:3]
	s_cbranch_execnz .LBB103_43
.LBB103_32:                             ;   in Loop: Header=BB103_3 Depth=1
	s_or_b64 exec, exec, s[8:9]
	s_and_saveexec_b64 s[8:9], s[2:3]
	s_cbranch_execnz .LBB103_44
.LBB103_33:                             ;   in Loop: Header=BB103_3 Depth=1
	s_or_b64 exec, exec, s[8:9]
	s_and_saveexec_b64 s[8:9], s[2:3]
	s_cbranch_execnz .LBB103_45
.LBB103_34:                             ;   in Loop: Header=BB103_3 Depth=1
	s_or_b64 exec, exec, s[8:9]
	s_and_saveexec_b64 s[8:9], s[2:3]
	s_cbranch_execnz .LBB103_46
.LBB103_35:                             ;   in Loop: Header=BB103_3 Depth=1
	s_or_b64 exec, exec, s[8:9]
	s_and_saveexec_b64 s[8:9], s[2:3]
	s_cbranch_execnz .LBB103_47
.LBB103_36:                             ;   in Loop: Header=BB103_3 Depth=1
	s_or_b64 exec, exec, s[8:9]
	s_and_saveexec_b64 s[8:9], s[2:3]
	s_cbranch_execnz .LBB103_48
.LBB103_37:                             ;   in Loop: Header=BB103_3 Depth=1
	s_or_b64 exec, exec, s[8:9]
	s_and_saveexec_b64 s[8:9], s[2:3]
	s_cbranch_execz .LBB103_39
.LBB103_38:                             ;   in Loop: Header=BB103_3 Depth=1
	v_add_co_u32_e32 v54, vcc, v24, v19
	v_addc_co_u32_e32 v55, vcc, v25, v20, vcc
	global_load_ushort v10, v[54:55], off
	v_add_co_u32_e32 v54, vcc, v26, v19
	v_addc_co_u32_e32 v55, vcc, v27, v20, vcc
	global_load_ushort v18, v[54:55], off
	s_waitcnt vmcnt(1)
	v_lshlrev_b32_e32 v10, 16, v10
	s_waitcnt vmcnt(0)
	v_lshlrev_b32_e32 v18, 16, v18
.LBB103_39:                             ;   in Loop: Header=BB103_3 Depth=1
	s_or_b64 exec, exec, s[8:9]
	s_waitcnt vmcnt(1)
	ds_bpermute_b32 v54, v52, v57
	s_waitcnt vmcnt(0)
	ds_bpermute_b32 v55, v52, v56
	ds_bpermute_b32 v59, v52, v57 offset:4
	v_add_f32_e32 v58, v60, v3
	ds_bpermute_b32 v60, v52, v56 offset:4
	s_waitcnt lgkmcnt(3)
	v_sub_f32_e32 v11, v11, v54
	v_mul_f32_e32 v3, v3, v11
	s_waitcnt lgkmcnt(2)
	v_fmac_f32_e32 v53, v3, v55
	s_waitcnt lgkmcnt(1)
	v_sub_f32_e32 v3, v12, v59
	ds_bpermute_b32 v11, v52, v57 offset:8
	v_mul_f32_e32 v3, v4, v3
	s_waitcnt lgkmcnt(1)
	v_fmac_f32_e32 v53, v3, v60
	ds_bpermute_b32 v3, v52, v56 offset:8
	ds_bpermute_b32 v12, v52, v57 offset:12
	s_waitcnt lgkmcnt(2)
	v_sub_f32_e32 v11, v13, v11
	v_mul_f32_e32 v11, v5, v11
	v_add_f32_e32 v4, v4, v58
	s_waitcnt lgkmcnt(1)
	v_fmac_f32_e32 v53, v11, v3
	ds_bpermute_b32 v3, v52, v56 offset:12
	v_add_f32_e32 v4, v5, v4
	s_waitcnt lgkmcnt(1)
	v_sub_f32_e32 v5, v14, v12
	ds_bpermute_b32 v11, v52, v57 offset:16
	v_mul_f32_e32 v5, v6, v5
	s_waitcnt lgkmcnt(1)
	v_fmac_f32_e32 v53, v5, v3
	ds_bpermute_b32 v3, v52, v56 offset:16
	v_add_f32_e32 v4, v6, v4
	s_waitcnt lgkmcnt(1)
	v_sub_f32_e32 v5, v15, v11
	ds_bpermute_b32 v6, v52, v57 offset:20
	v_mul_f32_e32 v5, v7, v5
	;; [unrolled: 8-line block ×3, first 2 shown]
	s_waitcnt lgkmcnt(1)
	v_fmac_f32_e32 v53, v5, v3
	ds_bpermute_b32 v5, v52, v56 offset:24
	v_add_f32_e32 v3, v8, v4
	ds_bpermute_b32 v56, v52, v56 offset:28
	ds_bpermute_b32 v4, v52, v57 offset:28
	s_waitcnt lgkmcnt(3)
	v_sub_f32_e32 v6, v17, v6
	v_mul_f32_e32 v6, v9, v6
	s_waitcnt lgkmcnt(2)
	v_fmac_f32_e32 v53, v6, v5
	v_add_f32_e32 v3, v9, v3
	v_mov_b32_e32 v11, v53
.LBB103_40:                             ;   in Loop: Header=BB103_3 Depth=1
	v_add_f32_e32 v60, v3, v10
	v_mov_b32_e32 v3, s27
	v_add_co_u32_e32 v62, vcc, s26, v62
	v_addc_co_u32_e32 v21, vcc, v21, v3, vcc
	v_add_co_u32_e32 v22, vcc, s26, v22
	v_addc_co_u32_e32 v23, vcc, v23, v3, vcc
	;; [unrolled: 2-line block ×14, first 2 shown]
	v_add_co_u32_e32 v48, vcc, s26, v48
	s_waitcnt lgkmcnt(0)
	v_sub_f32_e32 v4, v18, v4
	v_addc_co_u32_e32 v49, vcc, v49, v3, vcc
	v_mul_f32_e32 v4, v10, v4
	v_add_co_u32_e32 v50, vcc, s26, v50
	v_fmac_f32_e32 v11, v4, v56
	s_add_u32 s30, s30, s7
	v_addc_co_u32_e32 v51, vcc, v51, v3, vcc
	v_mov_b32_e32 v3, s12
	s_addc_u32 s31, s31, 0
	v_mov_b32_e32 v4, s13
	v_cmp_lt_i64_e32 vcc, s[30:31], v[3:4]
	s_add_u32 s28, s28, s7
	s_addc_u32 s29, s29, 0
	s_cbranch_vccz .LBB103_50
; %bb.41:                               ;   in Loop: Header=BB103_3 Depth=1
	v_mov_b32_e32 v53, v11
	s_branch .LBB103_3
.LBB103_42:                             ;   in Loop: Header=BB103_3 Depth=1
	v_add_co_u32_e32 v3, vcc, v62, v19
	v_addc_co_u32_e32 v4, vcc, v21, v20, vcc
	global_load_ushort v11, v[3:4], off
	v_add_co_u32_e32 v3, vcc, v22, v19
	v_addc_co_u32_e32 v4, vcc, v23, v20, vcc
	global_load_ushort v18, v[3:4], off
	v_mov_b32_e32 v4, v2
	v_mov_b32_e32 v5, v2
	;; [unrolled: 1-line block ×13, first 2 shown]
	s_waitcnt vmcnt(1)
	v_lshlrev_b32_e32 v3, 16, v11
	s_waitcnt vmcnt(0)
	v_lshlrev_b32_e32 v11, 16, v18
	v_mov_b32_e32 v18, v2
	s_or_b64 exec, exec, s[8:9]
	s_and_saveexec_b64 s[8:9], s[2:3]
	s_cbranch_execz .LBB103_32
.LBB103_43:                             ;   in Loop: Header=BB103_3 Depth=1
	v_add_co_u32_e32 v54, vcc, v48, v19
	v_addc_co_u32_e32 v55, vcc, v49, v20, vcc
	global_load_ushort v4, v[54:55], off
	v_add_co_u32_e32 v54, vcc, v50, v19
	v_addc_co_u32_e32 v55, vcc, v51, v20, vcc
	global_load_ushort v12, v[54:55], off
	s_waitcnt vmcnt(1)
	v_lshlrev_b32_e32 v4, 16, v4
	s_waitcnt vmcnt(0)
	v_lshlrev_b32_e32 v12, 16, v12
	s_or_b64 exec, exec, s[8:9]
	s_and_saveexec_b64 s[8:9], s[2:3]
	s_cbranch_execz .LBB103_33
.LBB103_44:                             ;   in Loop: Header=BB103_3 Depth=1
	v_add_co_u32_e32 v54, vcc, v44, v19
	v_addc_co_u32_e32 v55, vcc, v45, v20, vcc
	global_load_ushort v5, v[54:55], off
	v_add_co_u32_e32 v54, vcc, v46, v19
	v_addc_co_u32_e32 v55, vcc, v47, v20, vcc
	global_load_ushort v13, v[54:55], off
	s_waitcnt vmcnt(1)
	v_lshlrev_b32_e32 v5, 16, v5
	s_waitcnt vmcnt(0)
	v_lshlrev_b32_e32 v13, 16, v13
	s_or_b64 exec, exec, s[8:9]
	s_and_saveexec_b64 s[8:9], s[2:3]
	s_cbranch_execz .LBB103_34
.LBB103_45:                             ;   in Loop: Header=BB103_3 Depth=1
	v_add_co_u32_e32 v54, vcc, v40, v19
	v_addc_co_u32_e32 v55, vcc, v41, v20, vcc
	global_load_ushort v6, v[54:55], off
	v_add_co_u32_e32 v54, vcc, v42, v19
	v_addc_co_u32_e32 v55, vcc, v43, v20, vcc
	global_load_ushort v14, v[54:55], off
	s_waitcnt vmcnt(1)
	v_lshlrev_b32_e32 v6, 16, v6
	s_waitcnt vmcnt(0)
	v_lshlrev_b32_e32 v14, 16, v14
	s_or_b64 exec, exec, s[8:9]
	s_and_saveexec_b64 s[8:9], s[2:3]
	s_cbranch_execz .LBB103_35
.LBB103_46:                             ;   in Loop: Header=BB103_3 Depth=1
	v_add_co_u32_e32 v54, vcc, v36, v19
	v_addc_co_u32_e32 v55, vcc, v37, v20, vcc
	global_load_ushort v7, v[54:55], off
	v_add_co_u32_e32 v54, vcc, v38, v19
	v_addc_co_u32_e32 v55, vcc, v39, v20, vcc
	global_load_ushort v15, v[54:55], off
	s_waitcnt vmcnt(1)
	v_lshlrev_b32_e32 v7, 16, v7
	s_waitcnt vmcnt(0)
	v_lshlrev_b32_e32 v15, 16, v15
	s_or_b64 exec, exec, s[8:9]
	s_and_saveexec_b64 s[8:9], s[2:3]
	s_cbranch_execz .LBB103_36
.LBB103_47:                             ;   in Loop: Header=BB103_3 Depth=1
	v_add_co_u32_e32 v54, vcc, v32, v19
	v_addc_co_u32_e32 v55, vcc, v33, v20, vcc
	global_load_ushort v8, v[54:55], off
	v_add_co_u32_e32 v54, vcc, v34, v19
	v_addc_co_u32_e32 v55, vcc, v35, v20, vcc
	global_load_ushort v16, v[54:55], off
	s_waitcnt vmcnt(1)
	v_lshlrev_b32_e32 v8, 16, v8
	s_waitcnt vmcnt(0)
	v_lshlrev_b32_e32 v16, 16, v16
	s_or_b64 exec, exec, s[8:9]
	s_and_saveexec_b64 s[8:9], s[2:3]
	s_cbranch_execz .LBB103_37
.LBB103_48:                             ;   in Loop: Header=BB103_3 Depth=1
	v_add_co_u32_e32 v54, vcc, v28, v19
	v_addc_co_u32_e32 v55, vcc, v29, v20, vcc
	global_load_ushort v9, v[54:55], off
	v_add_co_u32_e32 v54, vcc, v30, v19
	v_addc_co_u32_e32 v55, vcc, v31, v20, vcc
	global_load_ushort v17, v[54:55], off
	s_waitcnt vmcnt(1)
	v_lshlrev_b32_e32 v9, 16, v9
	s_waitcnt vmcnt(0)
	v_lshlrev_b32_e32 v17, 16, v17
	s_or_b64 exec, exec, s[8:9]
	s_and_saveexec_b64 s[8:9], s[2:3]
	s_cbranch_execnz .LBB103_38
	s_branch .LBB103_39
.LBB103_49:
                                        ; implicit-def: $vgpr11
                                        ; implicit-def: $vgpr60
	s_branch .LBB103_51
.LBB103_50:
	s_cbranch_execnz .LBB103_84
.LBB103_51:
	v_mov_b32_e32 v11, 0
	s_and_b64 vcc, exec, s[0:1]
	v_mov_b32_e32 v60, 0
	s_cbranch_vccnz .LBB103_84
; %bb.52:
	v_lshlrev_b32_e32 v0, 3, v1
	buffer_store_dword v0, off, s[36:39], 0 offset:104 ; 4-byte Folded Spill
	v_add_co_u32_e32 v0, vcc, s24, v0
	v_addc_co_u32_e64 v17, s[0:1], 0, 0, vcc
	v_mul_lo_u32 v2, s15, v0
	v_mul_lo_u32 v3, s14, v17
	v_mad_u64_u32 v[4:5], s[0:1], s14, v0, 0
	s_load_dword s2, s[4:5], 0x44
	s_add_u32 s26, s4, 64
	v_add3_u32 v5, v5, v3, v2
	v_lshlrev_b64 v[2:3], 1, v[4:5]
	s_addc_u32 s27, s5, 0
	s_waitcnt lgkmcnt(0)
	s_lshl_b32 s7, s2, 7
	v_mov_b32_e32 v6, s17
	v_add_co_u32_e32 v7, vcc, s16, v2
	s_mul_i32 s0, s15, s7
	s_mul_hi_u32 s1, s14, s7
	v_addc_co_u32_e32 v6, vcc, v6, v3, vcc
	s_add_i32 s1, s1, s0
	s_mul_i32 s0, s14, s7
	buffer_store_dword v6, off, s[36:39], 0 offset:4 ; 4-byte Folded Spill
	s_lshl_b64 s[28:29], s[0:1], 1
	v_mov_b32_e32 v6, s19
	v_add_co_u32_e32 v2, vcc, s18, v2
	buffer_store_dword v2, off, s[36:39], 0 offset:8 ; 4-byte Folded Spill
	v_addc_co_u32_e32 v2, vcc, v6, v3, vcc
	s_add_u32 s30, s24, 0x7f
	buffer_store_dword v2, off, s[36:39], 0 offset:12 ; 4-byte Folded Spill
	s_addc_u32 s31, 0, 0
	v_lshlrev_b32_e32 v2, 4, v1
	s_lshl_b64 s[0:1], s[24:25], 1
	v_mov_b32_e32 v3, s1
	v_add_co_u32_e32 v6, vcc, s0, v2
	buffer_store_dword v7, off, s[36:39], 0 ; 4-byte Folded Spill
	v_addc_co_u32_e32 v7, vcc, 0, v3, vcc
	v_add_co_u32_e32 v8, vcc, 2, v6
	v_addc_co_u32_e32 v9, vcc, 0, v7, vcc
	v_mov_b32_e32 v2, s16
	v_mul_lo_u32 v12, s14, v9
	v_mov_b32_e32 v9, s18
	v_mov_b32_e32 v3, s17
	;; [unrolled: 1-line block ×3, first 2 shown]
	v_mad_u64_u32 v[19:20], s[0:1], s14, v8, v[2:3]
	v_mul_lo_u32 v13, s15, v8
	v_mad_u64_u32 v[21:22], s[0:1], s14, v8, v[9:10]
	v_add_co_u32_e32 v8, vcc, 4, v6
	v_addc_co_u32_e32 v14, vcc, 0, v7, vcc
	v_mov_b32_e32 v11, s15
	v_add_co_u32_e32 v4, vcc, s14, v4
	v_addc_co_u32_e32 v5, vcc, v5, v11, vcc
	v_mul_lo_u32 v15, s15, v8
	v_mad_u64_u32 v[23:24], s[0:1], s14, v8, v[2:3]
	v_mad_u64_u32 v[25:26], s[0:1], s14, v8, v[9:10]
	v_add_co_u32_e32 v8, vcc, 6, v6
	v_addc_co_u32_e32 v11, vcc, 0, v7, vcc
	v_add3_u32 v20, v13, v20, v12
	v_add3_u32 v22, v13, v22, v12
	v_mul_lo_u32 v11, s14, v11
	v_mul_lo_u32 v12, s15, v8
	v_mad_u64_u32 v[27:28], s[0:1], s14, v8, v[2:3]
	v_mad_u64_u32 v[29:30], s[0:1], s14, v8, v[9:10]
	v_add_co_u32_e32 v8, vcc, 8, v6
	v_mul_lo_u32 v14, s14, v14
	v_addc_co_u32_e32 v13, vcc, 0, v7, vcc
	v_mul_lo_u32 v16, s15, v8
	v_mad_u64_u32 v[31:32], s[0:1], s14, v8, v[2:3]
	v_mad_u64_u32 v[33:34], s[0:1], s14, v8, v[9:10]
	v_add_co_u32_e32 v8, vcc, 10, v6
	v_add3_u32 v28, v12, v28, v11
	v_add3_u32 v30, v12, v30, v11
	v_addc_co_u32_e32 v11, vcc, 0, v7, vcc
	v_mul_lo_u32 v12, s15, v8
	v_mad_u64_u32 v[35:36], s[0:1], s14, v8, v[2:3]
	v_mad_u64_u32 v[37:38], s[0:1], s14, v8, v[9:10]
	v_add_co_u32_e32 v8, vcc, 12, v6
	v_add3_u32 v24, v15, v24, v14
	v_add3_u32 v26, v15, v26, v14
	v_addc_co_u32_e32 v14, vcc, 0, v7, vcc
	v_add_co_u32_e32 v6, vcc, 14, v6
	v_addc_co_u32_e32 v7, vcc, 0, v7, vcc
	v_mad_u64_u32 v[39:40], s[0:1], s14, v8, v[2:3]
	v_mad_u64_u32 v[43:44], s[0:1], s14, v6, v[2:3]
	v_add_co_u32_e32 v2, vcc, 7, v0
	v_addc_co_u32_e32 v3, vcc, 0, v17, vcc
	v_mul_lo_u32 v15, s15, v8
	v_mad_u64_u32 v[41:42], s[0:1], s14, v8, v[9:10]
	v_mad_u64_u32 v[45:46], s[0:1], s14, v6, v[9:10]
	v_mul_lo_u32 v8, s14, v3
	v_mul_lo_u32 v9, s15, v2
	v_mad_u64_u32 v[2:3], s[0:1], s14, v2, 0
	v_mul_lo_u32 v7, s14, v7
	v_mul_lo_u32 v6, s15, v6
	v_add3_u32 v3, v3, v8, v9
	v_lshlrev_b64 v[2:3], 1, v[2:3]
	buffer_store_dword v1, off, s[36:39], 0 offset:100 ; 4-byte Folded Spill
	v_add3_u32 v44, v6, v44, v7
	v_add3_u32 v46, v6, v46, v7
	v_mov_b32_e32 v6, s17
	v_add_co_u32_e32 v1, vcc, s16, v2
	buffer_store_dword v1, off, s[36:39], 0 offset:16 ; 4-byte Folded Spill
	v_addc_co_u32_e32 v1, vcc, v6, v3, vcc
	v_add_co_u32_e32 v6, vcc, 6, v0
	v_addc_co_u32_e32 v7, vcc, 0, v17, vcc
	v_mul_lo_u32 v9, s14, v7
	v_mul_lo_u32 v10, s15, v6
	v_mad_u64_u32 v[6:7], s[0:1], s14, v6, 0
	buffer_store_dword v1, off, s[36:39], 0 offset:20 ; 4-byte Folded Spill
	v_mov_b32_e32 v8, s19
	v_add_co_u32_e32 v1, vcc, s18, v2
	v_add3_u32 v7, v7, v9, v10
	buffer_store_dword v1, off, s[36:39], 0 offset:24 ; 4-byte Folded Spill
	v_addc_co_u32_e32 v1, vcc, v8, v3, vcc
	v_lshlrev_b64 v[2:3], 1, v[6:7]
	buffer_store_dword v1, off, s[36:39], 0 offset:28 ; 4-byte Folded Spill
	v_mov_b32_e32 v6, s17
	v_add_co_u32_e32 v1, vcc, s16, v2
	buffer_store_dword v1, off, s[36:39], 0 offset:32 ; 4-byte Folded Spill
	v_addc_co_u32_e32 v1, vcc, v6, v3, vcc
	v_add_co_u32_e32 v6, vcc, 5, v0
	v_addc_co_u32_e32 v7, vcc, 0, v17, vcc
	v_mul_lo_u32 v9, s14, v7
	v_mul_lo_u32 v10, s15, v6
	v_mad_u64_u32 v[6:7], s[0:1], s14, v6, 0
	buffer_store_dword v1, off, s[36:39], 0 offset:36 ; 4-byte Folded Spill
	v_add_co_u32_e32 v1, vcc, s18, v2
	v_add3_u32 v7, v7, v9, v10
	buffer_store_dword v1, off, s[36:39], 0 offset:40 ; 4-byte Folded Spill
	v_addc_co_u32_e32 v1, vcc, v8, v3, vcc
	v_lshlrev_b64 v[2:3], 1, v[6:7]
	buffer_store_dword v1, off, s[36:39], 0 offset:44 ; 4-byte Folded Spill
	v_mov_b32_e32 v6, s17
	v_add_co_u32_e32 v1, vcc, s16, v2
	buffer_store_dword v1, off, s[36:39], 0 offset:48 ; 4-byte Folded Spill
	v_addc_co_u32_e32 v1, vcc, v6, v3, vcc
	v_add_co_u32_e32 v6, vcc, 4, v0
	v_addc_co_u32_e32 v7, vcc, 0, v17, vcc
	v_mul_lo_u32 v9, s14, v7
	v_mul_lo_u32 v10, s15, v6
	v_mad_u64_u32 v[6:7], s[0:1], s14, v6, 0
	buffer_store_dword v1, off, s[36:39], 0 offset:52 ; 4-byte Folded Spill
	v_add_co_u32_e32 v1, vcc, s18, v2
	v_add3_u32 v7, v7, v9, v10
	buffer_store_dword v1, off, s[36:39], 0 offset:56 ; 4-byte Folded Spill
	v_addc_co_u32_e32 v1, vcc, v8, v3, vcc
	v_lshlrev_b64 v[2:3], 1, v[6:7]
	buffer_store_dword v1, off, s[36:39], 0 offset:60 ; 4-byte Folded Spill
	v_mov_b32_e32 v6, s17
	v_add_co_u32_e32 v1, vcc, s16, v2
	buffer_store_dword v1, off, s[36:39], 0 offset:64 ; 4-byte Folded Spill
	v_addc_co_u32_e32 v1, vcc, v6, v3, vcc
	buffer_store_dword v1, off, s[36:39], 0 offset:68 ; 4-byte Folded Spill
	v_mov_b32_e32 v6, s19
	v_add_co_u32_e32 v1, vcc, s18, v2
	buffer_store_dword v1, off, s[36:39], 0 offset:72 ; 4-byte Folded Spill
	v_addc_co_u32_e32 v1, vcc, v6, v3, vcc
	v_add_co_u32_e32 v2, vcc, 3, v0
	v_addc_co_u32_e32 v3, vcc, 0, v17, vcc
	v_mul_lo_u32 v6, s14, v3
	v_mul_lo_u32 v7, s15, v2
	v_mad_u64_u32 v[2:3], s[0:1], s14, v2, 0
	buffer_store_dword v1, off, s[36:39], 0 offset:76 ; 4-byte Folded Spill
	v_mul_lo_u32 v13, s14, v13
	v_add3_u32 v3, v3, v6, v7
	v_lshlrev_b64 v[2:3], 1, v[2:3]
	v_mov_b32_e32 v6, s17
	v_add_co_u32_e32 v1, vcc, s16, v2
	buffer_store_dword v1, off, s[36:39], 0 offset:80 ; 4-byte Folded Spill
	v_addc_co_u32_e32 v1, vcc, v6, v3, vcc
	buffer_store_dword v1, off, s[36:39], 0 offset:84 ; 4-byte Folded Spill
	v_mov_b32_e32 v6, s19
	v_add_co_u32_e32 v1, vcc, s18, v2
	buffer_store_dword v1, off, s[36:39], 0 offset:88 ; 4-byte Folded Spill
	v_addc_co_u32_e32 v1, vcc, v6, v3, vcc
	v_add_co_u32_e32 v0, vcc, 2, v0
	buffer_store_dword v1, off, s[36:39], 0 offset:92 ; 4-byte Folded Spill
	v_addc_co_u32_e32 v1, vcc, 0, v17, vcc
	v_mul_lo_u32 v2, s14, v1
	v_mul_lo_u32 v3, s15, v0
	v_mad_u64_u32 v[0:1], s[0:1], s14, v0, 0
	v_mul_lo_u32 v11, s14, v11
	v_mul_lo_u32 v14, s14, v14
	v_add3_u32 v1, v1, v2, v3
	v_lshlrev_b64 v[0:1], 1, v[0:1]
	v_mov_b32_e32 v2, s17
	v_add_co_u32_e32 v58, vcc, s16, v0
	v_addc_co_u32_e32 v59, vcc, v2, v1, vcc
	v_mov_b32_e32 v2, s19
	v_add_co_u32_e32 v60, vcc, s18, v0
	v_mov_b32_e32 v3, v61
	v_addc_co_u32_e32 v61, vcc, v2, v1, vcc
	v_lshlrev_b64 v[0:1], 1, v[4:5]
	v_mov_b32_e32 v2, s17
	v_add_co_u32_e32 v62, vcc, s16, v0
	v_addc_co_u32_e32 v63, vcc, v2, v1, vcc
	v_mov_b32_e32 v2, s19
	v_add_co_u32_e32 v49, vcc, s18, v0
	v_addc_co_u32_e32 v50, vcc, v2, v1, vcc
	v_mov_b32_e32 v2, 0
	v_add_u32_e32 v0, s33, v3
	v_mov_b32_e32 v1, v2
	v_lshlrev_b64 v[47:48], 1, v[0:1]
	v_mbcnt_lo_u32_b32 v0, -1, 0
	v_mbcnt_hi_u32_b32 v0, -1, v0
	v_lshlrev_b32_e32 v0, 2, v0
	v_add3_u32 v32, v16, v32, v13
	v_add3_u32 v34, v16, v34, v13
	;; [unrolled: 1-line block ×6, first 2 shown]
	v_and_b32_e32 v1, 0x100, v0
	v_mov_b32_e32 v57, 0
	v_mov_b32_e32 v0, 0
	buffer_store_dword v3, off, s[36:39], 0 offset:96 ; 4-byte Folded Spill
.LBB103_53:                             ; =>This Inner Loop Header: Depth=1
	v_mov_b32_e32 v3, s12
	v_mov_b32_e32 v4, s13
	v_cmp_ge_i64_e32 vcc, s[30:31], v[3:4]
	buffer_load_dword v4, off, s[36:39], 0 offset:104 ; 4-byte Folded Reload
	v_mov_b32_e32 v3, s31
	s_and_b64 vcc, exec, vcc
                                        ; implicit-def: $vgpr5
                                        ; implicit-def: $vgpr11
	s_waitcnt vmcnt(0)
	v_add_co_u32_e64 v51, s[0:1], s30, v4
	v_addc_co_u32_e64 v52, s[0:1], 0, v3, s[0:1]
	s_mov_b64 s[0:1], -1
	s_cbranch_vccz .LBB103_75
; %bb.54:                               ;   in Loop: Header=BB103_53 Depth=1
	buffer_store_dword v57, off, s[36:39], 0 offset:108 ; 4-byte Folded Spill
	s_load_dword s0, s[26:27], 0xc
	buffer_load_dword v3, off, s[36:39], 0 offset:96 ; 4-byte Folded Reload
	buffer_load_dword v4, off, s[36:39], 0 offset:100 ; 4-byte Folded Reload
	v_mov_b32_e32 v54, 0
	v_mov_b32_e32 v53, 0
	s_waitcnt lgkmcnt(0)
	s_and_b32 s0, s0, 0xffff
	s_waitcnt vmcnt(0)
	v_mad_u32_u24 v3, v4, s0, v3
	v_and_b32_e32 v3, 63, v3
	v_cmp_gt_u32_e32 vcc, 8, v3
	s_and_saveexec_b64 s[0:1], vcc
	s_cbranch_execz .LBB103_58
; %bb.55:                               ;   in Loop: Header=BB103_53 Depth=1
	v_add_co_u32_e32 v3, vcc, v51, v3
	v_addc_co_u32_e32 v4, vcc, 0, v52, vcc
	v_add_co_u32_e32 v3, vcc, 0xffffff81, v3
	v_addc_co_u32_e32 v4, vcc, -1, v4, vcc
	v_cmp_gt_i64_e32 vcc, s[12:13], v[3:4]
	v_mov_b32_e32 v53, 0
	v_mov_b32_e32 v54, 0
	s_and_saveexec_b64 s[2:3], vcc
	s_cbranch_execz .LBB103_57
; %bb.56:                               ;   in Loop: Header=BB103_53 Depth=1
	v_lshlrev_b64 v[3:4], 2, v[3:4]
	v_mov_b32_e32 v6, s23
	v_add_co_u32_e32 v5, vcc, s22, v3
	v_addc_co_u32_e32 v6, vcc, v6, v4, vcc
	v_mov_b32_e32 v7, s21
	v_add_co_u32_e32 v3, vcc, s20, v3
	v_addc_co_u32_e32 v4, vcc, v7, v4, vcc
	global_load_dword v53, v[3:4], off
	global_load_dword v54, v[5:6], off
.LBB103_57:                             ;   in Loop: Header=BB103_53 Depth=1
	s_or_b64 exec, exec, s[2:3]
.LBB103_58:                             ;   in Loop: Header=BB103_53 Depth=1
	s_or_b64 exec, exec, s[0:1]
	v_add_co_u32_e32 v3, vcc, 0xffffff81, v51
	v_addc_co_u32_e32 v4, vcc, -1, v52, vcc
	v_mov_b32_e32 v9, v2
	v_cmp_gt_i64_e32 vcc, s[12:13], v[3:4]
	v_mov_b32_e32 v3, v2
	v_mov_b32_e32 v4, v2
	;; [unrolled: 1-line block ×22, first 2 shown]
	s_and_saveexec_b64 s[0:1], vcc
	s_cbranch_execz .LBB103_60
; %bb.59:                               ;   in Loop: Header=BB103_53 Depth=1
	buffer_load_dword v3, off, s[36:39], 0  ; 4-byte Folded Reload
	buffer_load_dword v4, off, s[36:39], 0 offset:4 ; 4-byte Folded Reload
	v_mov_b32_e32 v5, v2
	v_mov_b32_e32 v6, v2
	v_mov_b32_e32 v7, v2
	v_mov_b32_e32 v8, v2
	v_mov_b32_e32 v9, v2
	v_mov_b32_e32 v10, v2
	v_mov_b32_e32 v12, v2
	v_mov_b32_e32 v13, v2
	v_mov_b32_e32 v14, v2
	v_mov_b32_e32 v15, v2
	v_mov_b32_e32 v16, v2
	v_mov_b32_e32 v17, v2
	s_waitcnt vmcnt(1)
	v_add_co_u32_e32 v3, vcc, v3, v47
	s_waitcnt vmcnt(0)
	v_addc_co_u32_e32 v4, vcc, v4, v48, vcc
	global_load_ushort v11, v[3:4], off
	s_nop 0
	buffer_load_dword v3, off, s[36:39], 0 offset:8 ; 4-byte Folded Reload
	buffer_load_dword v4, off, s[36:39], 0 offset:12 ; 4-byte Folded Reload
	s_waitcnt vmcnt(1)
	v_add_co_u32_e32 v3, vcc, v3, v47
	s_waitcnt vmcnt(0)
	v_addc_co_u32_e32 v4, vcc, v4, v48, vcc
	global_load_ushort v18, v[3:4], off
	v_mov_b32_e32 v4, v2
	v_lshlrev_b32_e32 v3, 16, v11
	s_waitcnt vmcnt(0)
	v_lshlrev_b32_e32 v11, 16, v18
	v_mov_b32_e32 v18, v2
.LBB103_60:                             ;   in Loop: Header=BB103_53 Depth=1
	s_or_b64 exec, exec, s[0:1]
	v_add_co_u32_e32 v55, vcc, 0xffffff82, v51
	v_addc_co_u32_e32 v56, vcc, -1, v52, vcc
	v_cmp_gt_i64_e32 vcc, s[12:13], v[55:56]
	s_and_saveexec_b64 s[0:1], vcc
	s_cbranch_execz .LBB103_62
; %bb.61:                               ;   in Loop: Header=BB103_53 Depth=1
	v_add_co_u32_e32 v55, vcc, v62, v47
	v_addc_co_u32_e32 v56, vcc, v63, v48, vcc
	global_load_ushort v4, v[55:56], off
	v_add_co_u32_e32 v55, vcc, v49, v47
	v_addc_co_u32_e32 v56, vcc, v50, v48, vcc
	global_load_ushort v12, v[55:56], off
	s_waitcnt vmcnt(1)
	v_lshlrev_b32_e32 v4, 16, v4
	s_waitcnt vmcnt(0)
	v_lshlrev_b32_e32 v12, 16, v12
.LBB103_62:                             ;   in Loop: Header=BB103_53 Depth=1
	s_or_b64 exec, exec, s[0:1]
	v_add_co_u32_e32 v55, vcc, 0xffffff83, v51
	v_addc_co_u32_e32 v56, vcc, -1, v52, vcc
	v_cmp_gt_i64_e32 vcc, s[12:13], v[55:56]
	s_and_saveexec_b64 s[0:1], vcc
	s_cbranch_execz .LBB103_64
; %bb.63:                               ;   in Loop: Header=BB103_53 Depth=1
	v_add_co_u32_e32 v55, vcc, v58, v47
	v_addc_co_u32_e32 v56, vcc, v59, v48, vcc
	global_load_ushort v5, v[55:56], off
	v_add_co_u32_e32 v55, vcc, v60, v47
	v_addc_co_u32_e32 v56, vcc, v61, v48, vcc
	global_load_ushort v13, v[55:56], off
	s_waitcnt vmcnt(1)
	v_lshlrev_b32_e32 v5, 16, v5
	s_waitcnt vmcnt(0)
	v_lshlrev_b32_e32 v13, 16, v13
.LBB103_64:                             ;   in Loop: Header=BB103_53 Depth=1
	s_or_b64 exec, exec, s[0:1]
	v_add_co_u32_e32 v55, vcc, 0xffffff84, v51
	v_addc_co_u32_e32 v56, vcc, -1, v52, vcc
	v_cmp_gt_i64_e32 vcc, s[12:13], v[55:56]
	s_and_saveexec_b64 s[0:1], vcc
	s_cbranch_execz .LBB103_66
; %bb.65:                               ;   in Loop: Header=BB103_53 Depth=1
	buffer_load_dword v6, off, s[36:39], 0 offset:80 ; 4-byte Folded Reload
	buffer_load_dword v14, off, s[36:39], 0 offset:88 ; 4-byte Folded Reload
	s_waitcnt vmcnt(1)
	v_add_co_u32_e32 v55, vcc, v6, v47
	buffer_load_dword v6, off, s[36:39], 0 offset:84 ; 4-byte Folded Reload
	s_waitcnt vmcnt(0)
	v_addc_co_u32_e32 v56, vcc, v6, v48, vcc
	global_load_ushort v6, v[55:56], off
	v_add_co_u32_e32 v55, vcc, v14, v47
	buffer_load_dword v14, off, s[36:39], 0 offset:92 ; 4-byte Folded Reload
	s_waitcnt vmcnt(1)
	v_lshlrev_b32_e32 v6, 16, v6
	s_waitcnt vmcnt(0)
	v_addc_co_u32_e32 v56, vcc, v14, v48, vcc
	global_load_ushort v14, v[55:56], off
	s_waitcnt vmcnt(0)
	v_lshlrev_b32_e32 v14, 16, v14
.LBB103_66:                             ;   in Loop: Header=BB103_53 Depth=1
	s_or_b64 exec, exec, s[0:1]
	v_add_co_u32_e32 v55, vcc, 0xffffff85, v51
	v_addc_co_u32_e32 v56, vcc, -1, v52, vcc
	v_cmp_gt_i64_e32 vcc, s[12:13], v[55:56]
	s_and_saveexec_b64 s[0:1], vcc
	s_cbranch_execz .LBB103_68
; %bb.67:                               ;   in Loop: Header=BB103_53 Depth=1
	buffer_load_dword v7, off, s[36:39], 0 offset:64 ; 4-byte Folded Reload
	buffer_load_dword v15, off, s[36:39], 0 offset:72 ; 4-byte Folded Reload
	s_waitcnt vmcnt(1)
	v_add_co_u32_e32 v55, vcc, v7, v47
	buffer_load_dword v7, off, s[36:39], 0 offset:68 ; 4-byte Folded Reload
	s_waitcnt vmcnt(0)
	v_addc_co_u32_e32 v56, vcc, v7, v48, vcc
	global_load_ushort v7, v[55:56], off
	v_add_co_u32_e32 v55, vcc, v15, v47
	buffer_load_dword v15, off, s[36:39], 0 offset:76 ; 4-byte Folded Reload
	s_waitcnt vmcnt(1)
	v_lshlrev_b32_e32 v7, 16, v7
	s_waitcnt vmcnt(0)
	v_addc_co_u32_e32 v56, vcc, v15, v48, vcc
	global_load_ushort v15, v[55:56], off
	s_waitcnt vmcnt(0)
	v_lshlrev_b32_e32 v15, 16, v15
.LBB103_68:                             ;   in Loop: Header=BB103_53 Depth=1
	;; [unrolled: 25-line block ×5, first 2 shown]
	s_or_b64 exec, exec, s[0:1]
	buffer_load_dword v57, off, s[36:39], 0 offset:108 ; 4-byte Folded Reload
	s_waitcnt vmcnt(2)
	ds_bpermute_b32 v56, v1, v53
	s_waitcnt vmcnt(1)
	ds_bpermute_b32 v55, v1, v54
	s_mov_b64 s[0:1], 0
	s_waitcnt lgkmcnt(1)
	v_sub_f32_e32 v11, v11, v56
	ds_bpermute_b32 v56, v1, v53 offset:4
	v_mul_f32_e32 v11, v3, v11
	s_waitcnt lgkmcnt(1)
	v_fma_f32 v11, v11, v55, v0
	ds_bpermute_b32 v55, v1, v54 offset:4
	s_waitcnt lgkmcnt(1)
	v_sub_f32_e32 v12, v12, v56
	v_mul_f32_e32 v12, v4, v12
	s_waitcnt lgkmcnt(0)
	v_fmac_f32_e32 v11, v12, v55
	ds_bpermute_b32 v12, v1, v53 offset:8
	s_waitcnt lgkmcnt(0)
	v_sub_f32_e32 v12, v13, v12
	v_mul_f32_e32 v12, v5, v12
	s_waitcnt vmcnt(0)
	v_add_f32_e32 v3, v57, v3
	v_add_f32_e32 v3, v4, v3
	ds_bpermute_b32 v4, v1, v54 offset:8
	v_add_f32_e32 v3, v5, v3
	ds_bpermute_b32 v5, v1, v53 offset:12
	v_add_f32_e32 v3, v6, v3
	v_add_f32_e32 v3, v7, v3
	s_waitcnt lgkmcnt(1)
	v_fmac_f32_e32 v11, v12, v4
	ds_bpermute_b32 v4, v1, v54 offset:12
	s_waitcnt lgkmcnt(1)
	v_sub_f32_e32 v5, v14, v5
	v_mul_f32_e32 v5, v6, v5
	v_add_f32_e32 v3, v8, v3
	v_add_f32_e32 v3, v9, v3
	s_waitcnt lgkmcnt(0)
	v_fmac_f32_e32 v11, v5, v4
	ds_bpermute_b32 v5, v1, v53 offset:16
	ds_bpermute_b32 v4, v1, v54 offset:16
	s_waitcnt lgkmcnt(1)
	v_sub_f32_e32 v5, v15, v5
	v_mul_f32_e32 v5, v7, v5
	s_waitcnt lgkmcnt(0)
	v_fmac_f32_e32 v11, v5, v4
	ds_bpermute_b32 v5, v1, v53 offset:20
	ds_bpermute_b32 v4, v1, v54 offset:20
	s_waitcnt lgkmcnt(1)
	v_sub_f32_e32 v5, v16, v5
	v_mul_f32_e32 v5, v8, v5
	;; [unrolled: 7-line block ×4, first 2 shown]
	s_waitcnt lgkmcnt(0)
	v_fmac_f32_e32 v11, v5, v4
	v_add_f32_e32 v5, v10, v3
.LBB103_75:                             ;   in Loop: Header=BB103_53 Depth=1
	s_and_b64 vcc, exec, s[0:1]
	s_cbranch_vccz .LBB103_81
; %bb.76:                               ;   in Loop: Header=BB103_53 Depth=1
	s_load_dword s0, s[26:27], 0x0
	v_mov_b32_e32 v5, 0
	s_waitcnt lgkmcnt(0)
	s_cmp_lt_u32 s6, s0
	s_cselect_b32 s0, 12, 18
	s_add_u32 s0, s26, s0
	s_addc_u32 s1, s27, 0
	global_load_ushort v3, v2, s[0:1]
	buffer_load_dword v4, off, s[36:39], 0 offset:96 ; 4-byte Folded Reload
	buffer_load_dword v6, off, s[36:39], 0 offset:100 ; 4-byte Folded Reload
	s_waitcnt vmcnt(0)
	v_mad_u32_u24 v3, v6, v3, v4
	v_and_b32_e32 v3, 63, v3
	v_cmp_gt_u32_e32 vcc, 8, v3
	v_mov_b32_e32 v6, 0
	s_and_saveexec_b64 s[0:1], vcc
	s_cbranch_execz .LBB103_80
; %bb.77:                               ;   in Loop: Header=BB103_53 Depth=1
	v_add_co_u32_e32 v3, vcc, v51, v3
	v_addc_co_u32_e32 v4, vcc, 0, v52, vcc
	v_add_co_u32_e32 v3, vcc, 0xffffff81, v3
	v_addc_co_u32_e32 v4, vcc, -1, v4, vcc
	v_cmp_gt_i64_e32 vcc, s[12:13], v[3:4]
	v_mov_b32_e32 v6, 0
	v_mov_b32_e32 v5, 0
	s_and_saveexec_b64 s[2:3], vcc
	s_cbranch_execz .LBB103_79
; %bb.78:                               ;   in Loop: Header=BB103_53 Depth=1
	v_lshlrev_b64 v[3:4], 2, v[3:4]
	v_mov_b32_e32 v5, s23
	v_add_co_u32_e32 v7, vcc, s22, v3
	v_addc_co_u32_e32 v8, vcc, v5, v4, vcc
	v_mov_b32_e32 v5, s21
	v_add_co_u32_e32 v3, vcc, s20, v3
	v_addc_co_u32_e32 v4, vcc, v5, v4, vcc
	global_load_dword v6, v[3:4], off
	global_load_dword v5, v[7:8], off
.LBB103_79:                             ;   in Loop: Header=BB103_53 Depth=1
	s_or_b64 exec, exec, s[2:3]
.LBB103_80:                             ;   in Loop: Header=BB103_53 Depth=1
	s_or_b64 exec, exec, s[0:1]
	buffer_load_dword v3, off, s[36:39], 0 offset:8 ; 4-byte Folded Reload
	buffer_load_dword v4, off, s[36:39], 0 offset:12 ; 4-byte Folded Reload
	v_add_co_u32_e64 v9, s[0:1], v25, v47
	v_add_co_u32_e64 v11, s[2:3], v27, v47
	v_add_co_u32_e64 v13, s[8:9], v29, v47
	v_add_co_u32_e64 v15, s[10:11], v31, v47
	s_waitcnt vmcnt(1)
	v_add_co_u32_e32 v3, vcc, v3, v47
	s_waitcnt vmcnt(0)
	v_addc_co_u32_e32 v4, vcc, v4, v48, vcc
	global_load_ushort v51, v[3:4], off
	s_nop 0
	buffer_load_dword v3, off, s[36:39], 0  ; 4-byte Folded Reload
	buffer_load_dword v4, off, s[36:39], 0 offset:4 ; 4-byte Folded Reload
	s_waitcnt vmcnt(1)
	v_add_co_u32_e32 v3, vcc, v3, v47
	s_waitcnt vmcnt(0)
	v_addc_co_u32_e32 v4, vcc, v4, v48, vcc
	global_load_ushort v52, v[3:4], off
	v_add_co_u32_e32 v3, vcc, v21, v47
	v_addc_co_u32_e32 v4, vcc, v22, v48, vcc
	global_load_ushort v8, v[3:4], off
	v_add_co_u32_e32 v3, vcc, v19, v47
	;; [unrolled: 3-line block ×3, first 2 shown]
	v_addc_co_u32_e32 v4, vcc, v24, v48, vcc
	v_addc_co_u32_e64 v10, vcc, v26, v48, s[0:1]
	v_add_co_u32_e32 v17, vcc, v33, v47
	v_addc_co_u32_e64 v12, s[0:1], v28, v48, s[2:3]
	v_addc_co_u32_e64 v14, s[0:1], v30, v48, s[8:9]
	;; [unrolled: 1-line block ×3, first 2 shown]
	v_addc_co_u32_e32 v18, vcc, v34, v48, vcc
	global_load_ushort v3, v[3:4], off
	s_nop 0
	global_load_ushort v4, v[9:10], off
	s_nop 0
	global_load_ushort v9, v[11:12], off
	global_load_ushort v10, v[13:14], off
	v_add_co_u32_e64 v13, s[0:1], v35, v47
	global_load_ushort v11, v[15:16], off
	global_load_ushort v12, v[17:18], off
	v_add_co_u32_e32 v15, vcc, v37, v47
	v_addc_co_u32_e64 v14, s[0:1], v36, v48, s[0:1]
	v_addc_co_u32_e32 v16, vcc, v38, v48, vcc
	global_load_ushort v17, v[13:14], off
	s_nop 0
	global_load_ushort v15, v[15:16], off
	v_add_co_u32_e32 v13, vcc, v39, v47
	v_addc_co_u32_e32 v14, vcc, v40, v48, vcc
	global_load_ushort v16, v[13:14], off
	ds_bpermute_b32 v13, v1, v6
	v_lshlrev_b32_e32 v14, 16, v51
	s_waitcnt lgkmcnt(0)
	v_sub_f32_e32 v13, v14, v13
	ds_bpermute_b32 v14, v1, v5
	s_waitcnt vmcnt(11)
	v_lshlrev_b32_e32 v18, 16, v52
	v_mul_f32_e32 v13, v13, v18
	s_waitcnt lgkmcnt(0)
	v_fmac_f32_e32 v0, v13, v14
	v_add_co_u32_e32 v13, vcc, v41, v47
	v_addc_co_u32_e32 v14, vcc, v42, v48, vcc
	global_load_ushort v13, v[13:14], off
	ds_bpermute_b32 v14, v1, v6 offset:4
	s_waitcnt vmcnt(11)
	v_lshlrev_b32_e32 v8, 16, v8
	s_waitcnt vmcnt(10)
	v_lshlrev_b32_e32 v51, 16, v7
	s_waitcnt lgkmcnt(0)
	v_sub_f32_e32 v8, v8, v14
	ds_bpermute_b32 v14, v1, v5 offset:4
	v_mul_f32_e32 v7, v8, v51
	s_waitcnt lgkmcnt(0)
	v_fmac_f32_e32 v0, v7, v14
	v_add_co_u32_e32 v7, vcc, v43, v47
	v_addc_co_u32_e32 v8, vcc, v44, v48, vcc
	global_load_ushort v14, v[7:8], off
	v_add_co_u32_e32 v7, vcc, v45, v47
	v_addc_co_u32_e32 v8, vcc, v46, v48, vcc
	global_load_ushort v7, v[7:8], off
	s_waitcnt vmcnt(9)
	v_lshlrev_b32_e32 v8, 16, v9
	s_waitcnt vmcnt(8)
	v_lshlrev_b32_e32 v9, 16, v10
	;; [unrolled: 2-line block ×4, first 2 shown]
	v_lshlrev_b32_e32 v4, 16, v4
	v_lshlrev_b32_e32 v3, 16, v3
	s_waitcnt vmcnt(5)
	v_lshlrev_b32_e32 v12, 16, v17
	v_add_f32_e32 v17, v57, v18
	ds_bpermute_b32 v18, v1, v6 offset:8
	v_add_f32_e32 v17, v17, v51
	ds_bpermute_b32 v51, v1, v5 offset:8
	s_waitcnt vmcnt(4)
	v_lshlrev_b32_e32 v15, 16, v15
	s_waitcnt vmcnt(3)
	v_lshlrev_b32_e32 v16, 16, v16
	s_waitcnt lgkmcnt(1)
	v_sub_f32_e32 v4, v4, v18
	ds_bpermute_b32 v18, v1, v6 offset:12
	v_mul_f32_e32 v4, v4, v3
	s_waitcnt lgkmcnt(1)
	v_fmac_f32_e32 v0, v4, v51
	ds_bpermute_b32 v4, v1, v5 offset:12
	v_add_f32_e32 v3, v17, v3
	s_waitcnt lgkmcnt(1)
	v_sub_f32_e32 v9, v9, v18
	ds_bpermute_b32 v17, v1, v6 offset:16
	v_mul_f32_e32 v9, v9, v8
	s_waitcnt lgkmcnt(1)
	v_fmac_f32_e32 v0, v9, v4
	ds_bpermute_b32 v4, v1, v5 offset:16
	v_add_f32_e32 v3, v3, v8
	;; [unrolled: 8-line block ×3, first 2 shown]
	s_waitcnt lgkmcnt(1)
	v_sub_f32_e32 v8, v15, v9
	ds_bpermute_b32 v9, v1, v6 offset:24
	v_mul_f32_e32 v8, v8, v12
	s_waitcnt lgkmcnt(1)
	v_fmac_f32_e32 v0, v8, v4
	ds_bpermute_b32 v4, v1, v5 offset:24
	ds_bpermute_b32 v6, v1, v6 offset:28
	;; [unrolled: 1-line block ×3, first 2 shown]
	v_add_f32_e32 v3, v3, v12
	v_add_f32_e32 v3, v3, v16
	s_waitcnt vmcnt(2)
	v_lshlrev_b32_e32 v13, 16, v13
	s_waitcnt lgkmcnt(3)
	v_sub_f32_e32 v8, v13, v9
	v_mul_f32_e32 v8, v8, v16
	s_waitcnt lgkmcnt(2)
	v_fmac_f32_e32 v0, v8, v4
	s_waitcnt vmcnt(1)
	v_lshlrev_b32_e32 v14, 16, v14
	s_waitcnt vmcnt(0)
	v_lshlrev_b32_e32 v7, 16, v7
	s_waitcnt lgkmcnt(1)
	v_sub_f32_e32 v4, v7, v6
	v_mul_f32_e32 v4, v4, v14
	s_waitcnt lgkmcnt(0)
	v_fmac_f32_e32 v0, v4, v5
	v_add_f32_e32 v5, v3, v14
	v_mov_b32_e32 v11, v0
.LBB103_81:                             ;   in Loop: Header=BB103_53 Depth=1
	buffer_load_dword v0, off, s[36:39], 0  ; 4-byte Folded Reload
	buffer_load_dword v3, off, s[36:39], 0 offset:4 ; 4-byte Folded Reload
	s_add_u32 s24, s24, s7
	s_addc_u32 s25, s25, 0
	s_add_u32 s30, s30, s7
	s_addc_u32 s31, s31, 0
	s_waitcnt vmcnt(1)
	v_add_co_u32_e32 v0, vcc, s28, v0
	buffer_store_dword v0, off, s[36:39], 0 ; 4-byte Folded Spill
	v_mov_b32_e32 v0, s29
	s_waitcnt vmcnt(1)
	v_addc_co_u32_e32 v3, vcc, v3, v0, vcc
	buffer_store_dword v3, off, s[36:39], 0 offset:4 ; 4-byte Folded Spill
	buffer_load_dword v3, off, s[36:39], 0 offset:8 ; 4-byte Folded Reload
	s_waitcnt vmcnt(0)
	v_add_co_u32_e32 v3, vcc, s28, v3
	buffer_store_dword v3, off, s[36:39], 0 offset:8 ; 4-byte Folded Spill
	buffer_load_dword v3, off, s[36:39], 0 offset:12 ; 4-byte Folded Reload
	s_waitcnt vmcnt(0)
	v_addc_co_u32_e32 v3, vcc, v3, v0, vcc
	buffer_store_dword v3, off, s[36:39], 0 offset:12 ; 4-byte Folded Spill
	buffer_load_dword v3, off, s[36:39], 0 offset:16 ; 4-byte Folded Reload
	v_add_co_u32_e32 v19, vcc, s28, v19
	v_addc_co_u32_e32 v20, vcc, v20, v0, vcc
	v_add_co_u32_e32 v23, vcc, s28, v23
	v_addc_co_u32_e32 v24, vcc, v24, v0, vcc
	v_add_co_u32_e32 v27, vcc, s28, v27
	v_addc_co_u32_e32 v28, vcc, v28, v0, vcc
	v_add_co_u32_e32 v31, vcc, s28, v31
	v_addc_co_u32_e32 v32, vcc, v32, v0, vcc
	v_add_co_u32_e32 v35, vcc, s28, v35
	v_addc_co_u32_e32 v36, vcc, v36, v0, vcc
	v_add_co_u32_e32 v39, vcc, s28, v39
	v_addc_co_u32_e32 v40, vcc, v40, v0, vcc
	v_add_co_u32_e32 v43, vcc, s28, v43
	v_addc_co_u32_e32 v44, vcc, v44, v0, vcc
	v_add_co_u32_e32 v21, vcc, s28, v21
	v_addc_co_u32_e32 v22, vcc, v22, v0, vcc
	v_add_co_u32_e32 v25, vcc, s28, v25
	v_addc_co_u32_e32 v26, vcc, v26, v0, vcc
	v_add_co_u32_e32 v29, vcc, s28, v29
	v_addc_co_u32_e32 v30, vcc, v30, v0, vcc
	v_add_co_u32_e32 v33, vcc, s28, v33
	v_addc_co_u32_e32 v34, vcc, v34, v0, vcc
	v_add_co_u32_e32 v37, vcc, s28, v37
	v_addc_co_u32_e32 v38, vcc, v38, v0, vcc
	v_add_co_u32_e32 v41, vcc, s28, v41
	v_addc_co_u32_e32 v42, vcc, v42, v0, vcc
	v_add_co_u32_e32 v45, vcc, s28, v45
	v_addc_co_u32_e32 v46, vcc, v46, v0, vcc
	s_waitcnt vmcnt(0)
	v_add_co_u32_e32 v3, vcc, s28, v3
	buffer_store_dword v3, off, s[36:39], 0 offset:16 ; 4-byte Folded Spill
	buffer_load_dword v3, off, s[36:39], 0 offset:20 ; 4-byte Folded Reload
	s_waitcnt vmcnt(0)
	v_addc_co_u32_e32 v3, vcc, v3, v0, vcc
	buffer_store_dword v3, off, s[36:39], 0 offset:20 ; 4-byte Folded Spill
	buffer_load_dword v3, off, s[36:39], 0 offset:24 ; 4-byte Folded Reload
	s_waitcnt vmcnt(0)
	v_add_co_u32_e32 v3, vcc, s28, v3
	buffer_store_dword v3, off, s[36:39], 0 offset:24 ; 4-byte Folded Spill
	buffer_load_dword v3, off, s[36:39], 0 offset:28 ; 4-byte Folded Reload
	s_waitcnt vmcnt(0)
	v_addc_co_u32_e32 v3, vcc, v3, v0, vcc
	buffer_store_dword v3, off, s[36:39], 0 offset:28 ; 4-byte Folded Spill
	buffer_load_dword v3, off, s[36:39], 0 offset:32 ; 4-byte Folded Reload
	;; [unrolled: 8-line block ×9, first 2 shown]
	s_waitcnt vmcnt(0)
	v_add_co_u32_e32 v3, vcc, s28, v3
	buffer_store_dword v3, off, s[36:39], 0 offset:88 ; 4-byte Folded Spill
	buffer_load_dword v3, off, s[36:39], 0 offset:92 ; 4-byte Folded Reload
	s_waitcnt vmcnt(0)
	v_addc_co_u32_e32 v3, vcc, v3, v0, vcc
	v_add_co_u32_e32 v58, vcc, s28, v58
	v_addc_co_u32_e32 v59, vcc, v59, v0, vcc
	v_add_co_u32_e32 v60, vcc, s28, v60
	;; [unrolled: 2-line block ×3, first 2 shown]
	v_addc_co_u32_e32 v63, vcc, v63, v0, vcc
	buffer_store_dword v3, off, s[36:39], 0 offset:92 ; 4-byte Folded Spill
	v_add_co_u32_e32 v49, vcc, s28, v49
	v_mov_b32_e32 v3, s12
	v_addc_co_u32_e32 v50, vcc, v50, v0, vcc
	v_mov_b32_e32 v4, s13
	v_cmp_ge_i64_e32 vcc, s[24:25], v[3:4]
	s_cbranch_vccnz .LBB103_83
; %bb.82:                               ;   in Loop: Header=BB103_53 Depth=1
	v_mov_b32_e32 v57, v5
	v_mov_b32_e32 v0, v11
	s_branch .LBB103_53
.LBB103_83:
	buffer_load_dword v61, off, s[36:39], 0 offset:96 ; 4-byte Folded Reload
	buffer_load_dword v1, off, s[36:39], 0 offset:100 ; 4-byte Folded Reload
	v_mov_b32_e32 v60, v5
.LBB103_84:
	s_movk_i32 s0, 0x41
	s_waitcnt vmcnt(0)
	v_mad_u32_u24 v0, v1, s0, v61
	v_lshl_add_u32 v0, v0, 2, 0
	ds_write_b32 v0, v11
	ds_write_b32 v0, v60 offset:4160
	v_lshrrev_b32_e32 v0, 6, v61
	v_add_u32_e32 v2, v0, v1
	v_cmp_gt_u32_e32 vcc, 64, v2
	s_waitcnt lgkmcnt(0)
	s_barrier
	s_and_saveexec_b64 s[0:1], vcc
	s_cbranch_execz .LBB103_116
; %bb.85:
	s_load_dwordx4 s[8:11], s[4:5], 0x30
	v_and_b32_e32 v0, 63, v61
	v_cmp_gt_u32_e64 s[0:1], 16, v0
	v_mul_u32_u24_e32 v3, 0x41, v0
                                        ; implicit-def: $vgpr0
                                        ; implicit-def: $vgpr1
	s_and_saveexec_b64 s[2:3], s[0:1]
	s_cbranch_execz .LBB103_87
; %bb.86:
	v_add_u32_e32 v0, v2, v3
	v_lshl_add_u32 v0, v0, 2, 0
	ds_read_b32 v1, v0
	ds_read_b32 v0, v0 offset:4160
.LBB103_87:
	s_or_b64 exec, exec, s[2:3]
	v_mbcnt_lo_u32_b32 v4, -1, 0
	v_mbcnt_hi_u32_b32 v7, -1, v4
	v_and_b32_e32 v4, 64, v7
	v_add_u32_e32 v8, 64, v4
	v_xor_b32_e32 v4, 8, v7
	v_cmp_lt_i32_e32 vcc, v4, v8
	v_cndmask_b32_e32 v4, v7, v4, vcc
	v_lshlrev_b32_e32 v4, 2, v4
	s_waitcnt lgkmcnt(0)
	ds_bpermute_b32 v5, v4, v1
	v_xor_b32_e32 v6, 4, v7
	v_cmp_lt_i32_e32 vcc, v6, v8
	ds_bpermute_b32 v9, v4, v0
	s_mov_b32 s7, 0
	s_waitcnt lgkmcnt(1)
	v_add_f32_e32 v1, v1, v5
	v_cndmask_b32_e32 v5, v7, v6, vcc
	v_lshlrev_b32_e32 v5, 2, v5
	ds_bpermute_b32 v6, v5, v1
	s_waitcnt lgkmcnt(1)
	v_add_f32_e32 v0, v0, v9
	ds_bpermute_b32 v9, v5, v0
	s_lshl_b64 s[4:5], s[6:7], 6
	s_cmp_lg_u64 s[8:9], 0
	s_waitcnt lgkmcnt(1)
	v_add_f32_e32 v1, v1, v6
	v_xor_b32_e32 v6, 2, v7
	v_cmp_lt_i32_e32 vcc, v6, v8
	v_cndmask_b32_e32 v6, v7, v6, vcc
	v_lshlrev_b32_e32 v6, 2, v6
	ds_bpermute_b32 v10, v6, v1
	s_waitcnt lgkmcnt(1)
	v_add_f32_e32 v0, v0, v9
	ds_bpermute_b32 v9, v6, v0
	v_cmp_eq_u32_e64 s[2:3], 0, v61
	s_cselect_b64 s[12:13], -1, 0
	s_waitcnt lgkmcnt(1)
	v_add_f32_e32 v1, v1, v10
	v_xor_b32_e32 v10, 1, v7
	v_cmp_lt_i32_e32 vcc, v10, v8
	v_cndmask_b32_e32 v7, v7, v10, vcc
	v_lshlrev_b32_e32 v7, 2, v7
	ds_bpermute_b32 v8, v7, v1
	s_waitcnt lgkmcnt(1)
	v_add_f32_e32 v9, v0, v9
	ds_bpermute_b32 v10, v7, v9
	v_or_b32_e32 v0, s4, v2
	s_cmp_lg_u64 s[10:11], 0
	s_waitcnt lgkmcnt(1)
	v_add_f32_e32 v8, v1, v8
	v_mov_b32_e32 v1, s5
	v_cmp_gt_i64_e32 vcc, s[14:15], v[0:1]
	s_cselect_b64 s[6:7], -1, 0
	s_waitcnt lgkmcnt(0)
	v_add_f32_e32 v9, v9, v10
	s_and_b64 s[18:19], s[2:3], vcc
	s_and_saveexec_b64 s[16:17], s[18:19]
	s_cbranch_execz .LBB103_92
; %bb.88:
	v_lshlrev_b64 v[0:1], 1, v[0:1]
	s_andn2_b64 vcc, exec, s[12:13]
	s_cbranch_vccnz .LBB103_90
; %bb.89:
	v_bfe_u32 v10, v8, 16, 1
	s_movk_i32 s18, 0x7fff
	v_add3_u32 v10, v8, v10, s18
	v_cmp_o_f32_e32 vcc, v8, v8
	v_mov_b32_e32 v11, 0x7fc0
	v_cndmask_b32_sdwa v12, v11, v10, vcc dst_sel:DWORD dst_unused:UNUSED_PAD src0_sel:DWORD src1_sel:WORD_1
	v_mov_b32_e32 v11, s9
	v_add_co_u32_e32 v10, vcc, s8, v0
	v_addc_co_u32_e32 v11, vcc, v11, v1, vcc
	global_store_short v[10:11], v12, off
.LBB103_90:
	s_andn2_b64 vcc, exec, s[6:7]
	s_cbranch_vccnz .LBB103_92
; %bb.91:
	v_bfe_u32 v10, v9, 16, 1
	s_movk_i32 s18, 0x7fff
	v_add3_u32 v10, v9, v10, s18
	v_cmp_o_f32_e32 vcc, v9, v9
	v_mov_b32_e32 v11, 0x7fc0
	v_cndmask_b32_sdwa v10, v11, v10, vcc dst_sel:DWORD dst_unused:UNUSED_PAD src0_sel:DWORD src1_sel:WORD_1
	v_mov_b32_e32 v11, s11
	v_add_co_u32_e32 v0, vcc, s10, v0
	v_addc_co_u32_e32 v1, vcc, v11, v1, vcc
	global_store_short v[0:1], v10, off
.LBB103_92:
	s_or_b64 exec, exec, s[16:17]
	v_cmp_gt_u32_e32 vcc, 48, v2
	s_and_b64 exec, exec, vcc
	s_cbranch_execz .LBB103_116
; %bb.93:
	s_and_saveexec_b64 s[16:17], s[0:1]
	s_cbranch_execz .LBB103_95
; %bb.94:
	v_add_u32_e32 v0, v2, v3
	v_lshl_add_u32 v0, v0, 2, 0
	ds_read_b32 v8, v0 offset:64
	ds_read_b32 v9, v0 offset:4224
.LBB103_95:
	s_or_b64 exec, exec, s[16:17]
	s_waitcnt lgkmcnt(1)
	ds_bpermute_b32 v0, v4, v8
	s_waitcnt lgkmcnt(1)
	ds_bpermute_b32 v1, v4, v9
	v_add_u32_e32 v10, 16, v2
	v_mov_b32_e32 v11, s5
	s_waitcnt lgkmcnt(1)
	v_add_f32_e32 v0, v8, v0
	s_waitcnt lgkmcnt(0)
	v_add_f32_e32 v1, v9, v1
	ds_bpermute_b32 v8, v5, v0
	ds_bpermute_b32 v9, v5, v1
	s_waitcnt lgkmcnt(1)
	v_add_f32_e32 v0, v0, v8
	s_waitcnt lgkmcnt(0)
	v_add_f32_e32 v1, v1, v9
	ds_bpermute_b32 v8, v6, v0
	ds_bpermute_b32 v9, v6, v1
	s_waitcnt lgkmcnt(1)
	v_add_f32_e32 v8, v0, v8
	s_waitcnt lgkmcnt(0)
	v_add_f32_e32 v9, v1, v9
	ds_bpermute_b32 v12, v7, v8
	ds_bpermute_b32 v13, v7, v9
	v_add_co_u32_e32 v0, vcc, s4, v10
	v_addc_co_u32_e32 v1, vcc, 0, v11, vcc
	v_cmp_gt_i64_e32 vcc, s[14:15], v[0:1]
	s_waitcnt lgkmcnt(1)
	v_add_f32_e32 v0, v8, v12
	s_waitcnt lgkmcnt(0)
	v_add_f32_e32 v1, v9, v13
	s_and_b64 s[18:19], s[2:3], vcc
	s_and_saveexec_b64 s[16:17], s[18:19]
	s_cbranch_execz .LBB103_100
; %bb.96:
	s_andn2_b64 vcc, exec, s[12:13]
	s_cbranch_vccnz .LBB103_98
; %bb.97:
	v_bfe_u32 v8, v0, 16, 1
	s_movk_i32 s18, 0x7fff
	v_add3_u32 v8, v0, v8, s18
	v_cmp_o_f32_e32 vcc, v0, v0
	v_mov_b32_e32 v9, 0x7fc0
	v_cndmask_b32_sdwa v10, v9, v8, vcc dst_sel:DWORD dst_unused:UNUSED_PAD src0_sel:DWORD src1_sel:WORD_1
	v_mov_b32_e32 v9, s5
	v_add_co_u32_e32 v8, vcc, s4, v2
	v_addc_co_u32_e32 v9, vcc, 0, v9, vcc
	v_lshlrev_b64 v[8:9], 1, v[8:9]
	v_mov_b32_e32 v11, s9
	v_add_co_u32_e32 v8, vcc, s8, v8
	v_addc_co_u32_e32 v9, vcc, v11, v9, vcc
	global_store_short v[8:9], v10, off offset:32
.LBB103_98:
	s_andn2_b64 vcc, exec, s[6:7]
	s_cbranch_vccnz .LBB103_100
; %bb.99:
	v_bfe_u32 v8, v1, 16, 1
	s_movk_i32 s18, 0x7fff
	v_add3_u32 v8, v1, v8, s18
	v_cmp_o_f32_e32 vcc, v1, v1
	v_mov_b32_e32 v9, 0x7fc0
	v_cndmask_b32_sdwa v10, v9, v8, vcc dst_sel:DWORD dst_unused:UNUSED_PAD src0_sel:DWORD src1_sel:WORD_1
	v_mov_b32_e32 v9, s5
	v_add_co_u32_e32 v8, vcc, s4, v2
	v_addc_co_u32_e32 v9, vcc, 0, v9, vcc
	v_lshlrev_b64 v[8:9], 1, v[8:9]
	v_mov_b32_e32 v11, s11
	v_add_co_u32_e32 v8, vcc, s10, v8
	v_addc_co_u32_e32 v9, vcc, v11, v9, vcc
	global_store_short v[8:9], v10, off offset:32
.LBB103_100:
	s_or_b64 exec, exec, s[16:17]
	v_cmp_gt_u32_e32 vcc, 32, v2
	s_and_b64 exec, exec, vcc
	s_cbranch_execz .LBB103_116
; %bb.101:
	s_and_saveexec_b64 s[16:17], s[0:1]
	s_cbranch_execz .LBB103_103
; %bb.102:
	v_add_u32_e32 v0, v2, v3
	v_lshl_add_u32 v1, v0, 2, 0
	ds_read_b32 v0, v1 offset:128
	ds_read_b32 v1, v1 offset:4288
.LBB103_103:
	s_or_b64 exec, exec, s[16:17]
	s_waitcnt lgkmcnt(1)
	ds_bpermute_b32 v8, v4, v0
	s_waitcnt lgkmcnt(1)
	ds_bpermute_b32 v9, v4, v1
	v_add_u32_e32 v10, 32, v2
	s_waitcnt lgkmcnt(1)
	v_add_f32_e32 v0, v0, v8
	s_waitcnt lgkmcnt(0)
	v_add_f32_e32 v1, v1, v9
	ds_bpermute_b32 v8, v5, v0
	ds_bpermute_b32 v9, v5, v1
	s_waitcnt lgkmcnt(1)
	v_add_f32_e32 v0, v0, v8
	s_waitcnt lgkmcnt(0)
	v_add_f32_e32 v1, v1, v9
	ds_bpermute_b32 v8, v6, v0
	ds_bpermute_b32 v9, v6, v1
	;; [unrolled: 6-line block ×3, first 2 shown]
	v_mov_b32_e32 v1, s5
	v_or_b32_e32 v0, s4, v10
	v_cmp_gt_i64_e32 vcc, s[14:15], v[0:1]
	s_waitcnt lgkmcnt(1)
	v_add_f32_e32 v0, v8, v11
	s_waitcnt lgkmcnt(0)
	v_add_f32_e32 v1, v9, v12
	s_and_b64 s[18:19], s[2:3], vcc
	s_and_saveexec_b64 s[16:17], s[18:19]
	s_cbranch_execz .LBB103_108
; %bb.104:
	s_andn2_b64 vcc, exec, s[12:13]
	s_cbranch_vccnz .LBB103_106
; %bb.105:
	v_bfe_u32 v8, v0, 16, 1
	s_movk_i32 s18, 0x7fff
	v_add3_u32 v8, v0, v8, s18
	v_cmp_o_f32_e32 vcc, v0, v0
	v_mov_b32_e32 v9, 0x7fc0
	v_cndmask_b32_sdwa v10, v9, v8, vcc dst_sel:DWORD dst_unused:UNUSED_PAD src0_sel:DWORD src1_sel:WORD_1
	v_mov_b32_e32 v9, s5
	v_add_co_u32_e32 v8, vcc, s4, v2
	v_addc_co_u32_e32 v9, vcc, 0, v9, vcc
	v_lshlrev_b64 v[8:9], 1, v[8:9]
	v_mov_b32_e32 v11, s9
	v_add_co_u32_e32 v8, vcc, s8, v8
	v_addc_co_u32_e32 v9, vcc, v11, v9, vcc
	global_store_short v[8:9], v10, off offset:64
.LBB103_106:
	s_andn2_b64 vcc, exec, s[6:7]
	s_cbranch_vccnz .LBB103_108
; %bb.107:
	v_bfe_u32 v8, v1, 16, 1
	s_movk_i32 s18, 0x7fff
	v_add3_u32 v8, v1, v8, s18
	v_cmp_o_f32_e32 vcc, v1, v1
	v_mov_b32_e32 v9, 0x7fc0
	v_cndmask_b32_sdwa v10, v9, v8, vcc dst_sel:DWORD dst_unused:UNUSED_PAD src0_sel:DWORD src1_sel:WORD_1
	v_mov_b32_e32 v9, s5
	v_add_co_u32_e32 v8, vcc, s4, v2
	v_addc_co_u32_e32 v9, vcc, 0, v9, vcc
	v_lshlrev_b64 v[8:9], 1, v[8:9]
	v_mov_b32_e32 v11, s11
	v_add_co_u32_e32 v8, vcc, s10, v8
	v_addc_co_u32_e32 v9, vcc, v11, v9, vcc
	global_store_short v[8:9], v10, off offset:64
.LBB103_108:
	s_or_b64 exec, exec, s[16:17]
	v_cmp_gt_u32_e32 vcc, 16, v2
	s_and_b64 exec, exec, vcc
	s_cbranch_execz .LBB103_116
; %bb.109:
	s_and_saveexec_b64 s[16:17], s[0:1]
	s_cbranch_execz .LBB103_111
; %bb.110:
	v_add_u32_e32 v0, v2, v3
	v_lshl_add_u32 v1, v0, 2, 0
	ds_read_b32 v0, v1 offset:192
	ds_read_b32 v1, v1 offset:4352
.LBB103_111:
	s_or_b64 exec, exec, s[16:17]
	s_waitcnt lgkmcnt(1)
	ds_bpermute_b32 v3, v4, v0
	s_waitcnt lgkmcnt(1)
	ds_bpermute_b32 v4, v4, v1
	s_waitcnt lgkmcnt(1)
	v_add_f32_e32 v0, v0, v3
	s_waitcnt lgkmcnt(0)
	v_add_f32_e32 v1, v1, v4
	ds_bpermute_b32 v3, v5, v0
	ds_bpermute_b32 v4, v5, v1
	v_add_u32_e32 v5, 48, v2
	v_or_b32_e32 v5, s4, v5
	s_waitcnt lgkmcnt(1)
	v_add_f32_e32 v0, v0, v3
	s_waitcnt lgkmcnt(0)
	v_add_f32_e32 v1, v1, v4
	ds_bpermute_b32 v3, v6, v0
	ds_bpermute_b32 v4, v6, v1
	v_mov_b32_e32 v6, s5
	v_cmp_gt_i64_e32 vcc, s[14:15], v[5:6]
	s_waitcnt lgkmcnt(1)
	v_add_f32_e32 v3, v0, v3
	s_waitcnt lgkmcnt(0)
	v_add_f32_e32 v0, v1, v4
	ds_bpermute_b32 v4, v7, v3
	ds_bpermute_b32 v1, v7, v0
	s_and_b64 s[0:1], s[2:3], vcc
	s_and_b64 exec, exec, s[0:1]
	s_cbranch_execz .LBB103_116
; %bb.112:
	s_andn2_b64 vcc, exec, s[12:13]
	s_cbranch_vccnz .LBB103_114
; %bb.113:
	s_waitcnt lgkmcnt(1)
	v_add_f32_e32 v3, v3, v4
	v_bfe_u32 v4, v3, 16, 1
	s_movk_i32 s0, 0x7fff
	v_add3_u32 v4, v3, v4, s0
	v_cmp_o_f32_e32 vcc, v3, v3
	v_mov_b32_e32 v3, 0x7fc0
	v_cndmask_b32_sdwa v5, v3, v4, vcc dst_sel:DWORD dst_unused:UNUSED_PAD src0_sel:DWORD src1_sel:WORD_1
	v_mov_b32_e32 v4, s5
	v_add_co_u32_e32 v3, vcc, s4, v2
	v_addc_co_u32_e32 v4, vcc, 0, v4, vcc
	v_lshlrev_b64 v[3:4], 1, v[3:4]
	v_mov_b32_e32 v6, s9
	v_add_co_u32_e32 v3, vcc, s8, v3
	v_addc_co_u32_e32 v4, vcc, v6, v4, vcc
	global_store_short v[3:4], v5, off offset:96
.LBB103_114:
	s_andn2_b64 vcc, exec, s[6:7]
	s_cbranch_vccnz .LBB103_116
; %bb.115:
	s_waitcnt lgkmcnt(0)
	v_add_f32_e32 v0, v0, v1
	v_bfe_u32 v1, v0, 16, 1
	s_movk_i32 s0, 0x7fff
	v_add3_u32 v1, v0, v1, s0
	v_cmp_o_f32_e32 vcc, v0, v0
	v_mov_b32_e32 v0, 0x7fc0
	v_cndmask_b32_sdwa v3, v0, v1, vcc dst_sel:DWORD dst_unused:UNUSED_PAD src0_sel:DWORD src1_sel:WORD_1
	v_mov_b32_e32 v1, s5
	v_add_co_u32_e32 v0, vcc, s4, v2
	v_addc_co_u32_e32 v1, vcc, 0, v1, vcc
	v_lshlrev_b64 v[0:1], 1, v[0:1]
	v_mov_b32_e32 v2, s11
	v_add_co_u32_e32 v0, vcc, s10, v0
	v_addc_co_u32_e32 v1, vcc, v2, v1, vcc
	global_store_short v[0:1], v3, off offset:96
.LBB103_116:
	s_endpgm
	.section	.rodata,"a",@progbits
	.p2align	6, 0x0
	.amdhsa_kernel _ZN2at6native12_GLOBAL__N_135GammaBetaBackwardCUDAKernelTemplateIN3c108BFloat16EfLj64ELj16ELj128ELb0ELb0ELb0EEEvllPKT_S7_PKT0_SA_PS5_SB_
		.amdhsa_group_segment_fixed_size 0
		.amdhsa_private_segment_fixed_size 116
		.amdhsa_kernarg_size 320
		.amdhsa_user_sgpr_count 6
		.amdhsa_user_sgpr_private_segment_buffer 1
		.amdhsa_user_sgpr_dispatch_ptr 0
		.amdhsa_user_sgpr_queue_ptr 0
		.amdhsa_user_sgpr_kernarg_segment_ptr 1
		.amdhsa_user_sgpr_dispatch_id 0
		.amdhsa_user_sgpr_flat_scratch_init 0
		.amdhsa_user_sgpr_private_segment_size 0
		.amdhsa_uses_dynamic_stack 0
		.amdhsa_system_sgpr_private_segment_wavefront_offset 1
		.amdhsa_system_sgpr_workgroup_id_x 1
		.amdhsa_system_sgpr_workgroup_id_y 1
		.amdhsa_system_sgpr_workgroup_id_z 0
		.amdhsa_system_sgpr_workgroup_info 0
		.amdhsa_system_vgpr_workitem_id 1
		.amdhsa_next_free_vgpr 64
		.amdhsa_next_free_sgpr 40
		.amdhsa_reserve_vcc 1
		.amdhsa_reserve_flat_scratch 0
		.amdhsa_float_round_mode_32 0
		.amdhsa_float_round_mode_16_64 0
		.amdhsa_float_denorm_mode_32 3
		.amdhsa_float_denorm_mode_16_64 3
		.amdhsa_dx10_clamp 1
		.amdhsa_ieee_mode 1
		.amdhsa_fp16_overflow 0
		.amdhsa_exception_fp_ieee_invalid_op 0
		.amdhsa_exception_fp_denorm_src 0
		.amdhsa_exception_fp_ieee_div_zero 0
		.amdhsa_exception_fp_ieee_overflow 0
		.amdhsa_exception_fp_ieee_underflow 0
		.amdhsa_exception_fp_ieee_inexact 0
		.amdhsa_exception_int_div_zero 0
	.end_amdhsa_kernel
	.section	.text._ZN2at6native12_GLOBAL__N_135GammaBetaBackwardCUDAKernelTemplateIN3c108BFloat16EfLj64ELj16ELj128ELb0ELb0ELb0EEEvllPKT_S7_PKT0_SA_PS5_SB_,"axG",@progbits,_ZN2at6native12_GLOBAL__N_135GammaBetaBackwardCUDAKernelTemplateIN3c108BFloat16EfLj64ELj16ELj128ELb0ELb0ELb0EEEvllPKT_S7_PKT0_SA_PS5_SB_,comdat
.Lfunc_end103:
	.size	_ZN2at6native12_GLOBAL__N_135GammaBetaBackwardCUDAKernelTemplateIN3c108BFloat16EfLj64ELj16ELj128ELb0ELb0ELb0EEEvllPKT_S7_PKT0_SA_PS5_SB_, .Lfunc_end103-_ZN2at6native12_GLOBAL__N_135GammaBetaBackwardCUDAKernelTemplateIN3c108BFloat16EfLj64ELj16ELj128ELb0ELb0ELb0EEEvllPKT_S7_PKT0_SA_PS5_SB_
                                        ; -- End function
	.set _ZN2at6native12_GLOBAL__N_135GammaBetaBackwardCUDAKernelTemplateIN3c108BFloat16EfLj64ELj16ELj128ELb0ELb0ELb0EEEvllPKT_S7_PKT0_SA_PS5_SB_.num_vgpr, 64
	.set _ZN2at6native12_GLOBAL__N_135GammaBetaBackwardCUDAKernelTemplateIN3c108BFloat16EfLj64ELj16ELj128ELb0ELb0ELb0EEEvllPKT_S7_PKT0_SA_PS5_SB_.num_agpr, 0
	.set _ZN2at6native12_GLOBAL__N_135GammaBetaBackwardCUDAKernelTemplateIN3c108BFloat16EfLj64ELj16ELj128ELb0ELb0ELb0EEEvllPKT_S7_PKT0_SA_PS5_SB_.numbered_sgpr, 40
	.set _ZN2at6native12_GLOBAL__N_135GammaBetaBackwardCUDAKernelTemplateIN3c108BFloat16EfLj64ELj16ELj128ELb0ELb0ELb0EEEvllPKT_S7_PKT0_SA_PS5_SB_.num_named_barrier, 0
	.set _ZN2at6native12_GLOBAL__N_135GammaBetaBackwardCUDAKernelTemplateIN3c108BFloat16EfLj64ELj16ELj128ELb0ELb0ELb0EEEvllPKT_S7_PKT0_SA_PS5_SB_.private_seg_size, 116
	.set _ZN2at6native12_GLOBAL__N_135GammaBetaBackwardCUDAKernelTemplateIN3c108BFloat16EfLj64ELj16ELj128ELb0ELb0ELb0EEEvllPKT_S7_PKT0_SA_PS5_SB_.uses_vcc, 1
	.set _ZN2at6native12_GLOBAL__N_135GammaBetaBackwardCUDAKernelTemplateIN3c108BFloat16EfLj64ELj16ELj128ELb0ELb0ELb0EEEvllPKT_S7_PKT0_SA_PS5_SB_.uses_flat_scratch, 0
	.set _ZN2at6native12_GLOBAL__N_135GammaBetaBackwardCUDAKernelTemplateIN3c108BFloat16EfLj64ELj16ELj128ELb0ELb0ELb0EEEvllPKT_S7_PKT0_SA_PS5_SB_.has_dyn_sized_stack, 0
	.set _ZN2at6native12_GLOBAL__N_135GammaBetaBackwardCUDAKernelTemplateIN3c108BFloat16EfLj64ELj16ELj128ELb0ELb0ELb0EEEvllPKT_S7_PKT0_SA_PS5_SB_.has_recursion, 0
	.set _ZN2at6native12_GLOBAL__N_135GammaBetaBackwardCUDAKernelTemplateIN3c108BFloat16EfLj64ELj16ELj128ELb0ELb0ELb0EEEvllPKT_S7_PKT0_SA_PS5_SB_.has_indirect_call, 0
	.section	.AMDGPU.csdata,"",@progbits
; Kernel info:
; codeLenInByte = 9932
; TotalNumSgprs: 44
; NumVgprs: 64
; ScratchSize: 116
; MemoryBound: 0
; FloatMode: 240
; IeeeMode: 1
; LDSByteSize: 0 bytes/workgroup (compile time only)
; SGPRBlocks: 5
; VGPRBlocks: 15
; NumSGPRsForWavesPerEU: 44
; NumVGPRsForWavesPerEU: 64
; Occupancy: 4
; WaveLimiterHint : 0
; COMPUTE_PGM_RSRC2:SCRATCH_EN: 1
; COMPUTE_PGM_RSRC2:USER_SGPR: 6
; COMPUTE_PGM_RSRC2:TRAP_HANDLER: 0
; COMPUTE_PGM_RSRC2:TGID_X_EN: 1
; COMPUTE_PGM_RSRC2:TGID_Y_EN: 1
; COMPUTE_PGM_RSRC2:TGID_Z_EN: 0
; COMPUTE_PGM_RSRC2:TIDIG_COMP_CNT: 1
	.section	.text._ZN2at6native12_GLOBAL__N_135GammaBetaBackwardCUDAKernelTemplateIN3c108BFloat16EfLj64ELj16ELj256ELb0ELb1ELb0EEEvllPKT_S7_PKT0_SA_PS5_SB_,"axG",@progbits,_ZN2at6native12_GLOBAL__N_135GammaBetaBackwardCUDAKernelTemplateIN3c108BFloat16EfLj64ELj16ELj256ELb0ELb1ELb0EEEvllPKT_S7_PKT0_SA_PS5_SB_,comdat
	.globl	_ZN2at6native12_GLOBAL__N_135GammaBetaBackwardCUDAKernelTemplateIN3c108BFloat16EfLj64ELj16ELj256ELb0ELb1ELb0EEEvllPKT_S7_PKT0_SA_PS5_SB_ ; -- Begin function _ZN2at6native12_GLOBAL__N_135GammaBetaBackwardCUDAKernelTemplateIN3c108BFloat16EfLj64ELj16ELj256ELb0ELb1ELb0EEEvllPKT_S7_PKT0_SA_PS5_SB_
	.p2align	8
	.type	_ZN2at6native12_GLOBAL__N_135GammaBetaBackwardCUDAKernelTemplateIN3c108BFloat16EfLj64ELj16ELj256ELb0ELb1ELb0EEEvllPKT_S7_PKT0_SA_PS5_SB_,@function
_ZN2at6native12_GLOBAL__N_135GammaBetaBackwardCUDAKernelTemplateIN3c108BFloat16EfLj64ELj16ELj256ELb0ELb1ELb0EEEvllPKT_S7_PKT0_SA_PS5_SB_: ; @_ZN2at6native12_GLOBAL__N_135GammaBetaBackwardCUDAKernelTemplateIN3c108BFloat16EfLj64ELj16ELj256ELb0ELb1ELb0EEEvllPKT_S7_PKT0_SA_PS5_SB_
; %bb.0:
	s_load_dwordx4 s[20:23], s[4:5], 0x0
	s_lshl_b32 s24, s7, 8
	s_mov_b32 s25, 0
	v_mov_b32_e32 v2, s24
	v_mov_b32_e32 v3, s25
	s_waitcnt lgkmcnt(0)
	v_cmp_gt_i64_e32 vcc, s[20:21], v[2:3]
	s_cbranch_vccnz .LBB104_2
; %bb.1:
	s_mov_b64 s[0:1], 0
	s_branch .LBB104_3
.LBB104_2:
	s_mov_b64 s[0:1], -1
.LBB104_3:
	s_load_dwordx4 s[16:19], s[4:5], 0x30
	v_mov_b32_e32 v24, 0
	s_andn2_b64 vcc, exec, s[0:1]
	v_mbcnt_lo_u32_b32 v11, -1, 0
	v_mov_b32_e32 v6, 0
	s_cbranch_vccnz .LBB104_10
; %bb.4:
	s_load_dword s0, s[4:5], 0x4c
	s_load_dword s7, s[4:5], 0x44
	s_load_dwordx8 s[8:15], s[4:5], 0x10
	v_lshlrev_b32_e32 v2, 4, v1
	v_add_co_u32_e32 v8, vcc, s24, v2
	s_waitcnt lgkmcnt(0)
	s_and_b32 s0, s0, 0xffff
	v_mad_u32_u24 v3, v1, s0, v0
	v_and_b32_e32 v7, 63, v3
	v_mbcnt_hi_u32_b32 v3, -1, v11
	v_lshlrev_b32_e32 v3, 2, v3
	v_addc_co_u32_e64 v9, s[2:3], 0, 0, vcc
	v_and_b32_e32 v12, 0x100, v3
	v_mul_lo_u32 v4, s23, v8
	v_mul_lo_u32 v10, s22, v9
	v_mad_u64_u32 v[2:3], s[2:3], s22, v8, 0
	v_mov_b32_e32 v6, 0
	v_lshl_add_u32 v5, s6, 6, v0
	v_add3_u32 v3, v3, v10, v4
	v_lshlrev_b64 v[2:3], 1, v[2:3]
	v_lshlrev_b64 v[4:5], 1, v[5:6]
	s_lshl_b32 s4, s7, 8
	v_add_co_u32_e32 v19, vcc, v2, v4
	v_addc_co_u32_e32 v20, vcc, v3, v5, vcc
	v_add_co_u32_e32 v2, vcc, v8, v7
	v_addc_co_u32_e32 v3, vcc, 0, v9, vcc
	s_mul_i32 s2, s23, s4
	s_mul_hi_u32 s3, s22, s4
	s_mov_b32 s5, 0
	s_add_i32 s3, s3, s2
	s_mul_i32 s2, s22, s4
	v_lshlrev_b64 v[4:5], 2, v[2:3]
	v_cmp_gt_u32_e64 s[0:1], 16, v7
	v_or_b32_e32 v13, 4, v12
	v_or_b32_e32 v14, 8, v12
	;; [unrolled: 1-line block ×10, first 2 shown]
	s_lshl_b64 s[26:27], s[4:5], 2
	s_lshl_b64 s[28:29], s[2:3], 1
	;; [unrolled: 1-line block ×3, first 2 shown]
	v_or_b32_e32 v26, 44, v12
	v_or_b32_e32 v27, 48, v12
	v_or_b32_e32 v28, 52, v12
	v_or_b32_e32 v29, 56, v12
	v_or_b32_e32 v30, 60, v12
	v_mov_b32_e32 v24, v6
	s_branch .LBB104_7
.LBB104_5:                              ;   in Loop: Header=BB104_7 Depth=1
	s_or_b64 exec, exec, s[30:31]
.LBB104_6:                              ;   in Loop: Header=BB104_7 Depth=1
	s_or_b64 exec, exec, s[2:3]
	v_mov_b32_e32 v8, s11
	v_add_co_u32_e32 v7, vcc, s10, v19
	v_addc_co_u32_e32 v8, vcc, v8, v20, vcc
	v_mov_b32_e32 v9, s9
	v_add_co_u32_e32 v36, vcc, s8, v19
	v_addc_co_u32_e32 v37, vcc, v9, v20, vcc
	;; [unrolled: 3-line block ×3, first 2 shown]
	global_load_ushort v34, v[7:8], off
	global_load_ushort v40, v[9:10], off
	v_add_co_u32_e32 v7, vcc, s22, v36
	v_addc_co_u32_e32 v8, vcc, v37, v33, vcc
	global_load_ushort v35, v[36:37], off
	global_load_ushort v41, v[7:8], off
	v_add_co_u32_e32 v36, vcc, s22, v9
	v_addc_co_u32_e32 v37, vcc, v10, v33, vcc
	v_add_co_u32_e32 v9, vcc, s22, v7
	v_addc_co_u32_e32 v10, vcc, v8, v33, vcc
	;; [unrolled: 2-line block ×3, first 2 shown]
	global_load_ushort v42, v[36:37], off
	global_load_ushort v43, v[9:10], off
	v_add_co_u32_e32 v9, vcc, s22, v9
	v_addc_co_u32_e32 v10, vcc, v10, v33, vcc
	global_load_ushort v44, v[7:8], off
	global_load_ushort v45, v[9:10], off
	v_add_co_u32_e32 v7, vcc, s22, v7
	v_addc_co_u32_e32 v8, vcc, v8, v33, vcc
	global_load_ushort v46, v[7:8], off
	v_add_co_u32_e32 v36, vcc, s22, v9
	s_waitcnt vmcnt(10)
	ds_bpermute_b32 v9, v12, v32
	ds_bpermute_b32 v48, v13, v32
	s_waitcnt vmcnt(9)
	ds_bpermute_b32 v47, v12, v31
	ds_bpermute_b32 v50, v14, v32
	v_addc_co_u32_e32 v37, vcc, v10, v33, vcc
	ds_bpermute_b32 v49, v13, v31
	ds_bpermute_b32 v52, v15, v32
	;; [unrolled: 1-line block ×3, first 2 shown]
	v_add_co_u32_e32 v38, vcc, s22, v7
	v_addc_co_u32_e32 v39, vcc, v8, v33, vcc
	global_load_ushort v10, v[36:37], off
	ds_bpermute_b32 v53, v15, v31
	ds_bpermute_b32 v54, v16, v32
	;; [unrolled: 1-line block ×3, first 2 shown]
	s_add_u32 s24, s24, s4
	s_addc_u32 s25, s25, 0
	v_add_co_u32_e64 v19, s[2:3], s28, v19
	s_waitcnt vmcnt(9)
	v_lshlrev_b32_e32 v7, 16, v34
	s_waitcnt lgkmcnt(9)
	v_sub_f32_e32 v9, v7, v9
	s_waitcnt vmcnt(8)
	v_lshlrev_b32_e32 v34, 16, v40
	s_waitcnt lgkmcnt(8)
	v_sub_f32_e32 v34, v34, v48
	s_waitcnt vmcnt(7)
	v_lshlrev_b32_e32 v8, 16, v35
	s_waitcnt vmcnt(6)
	v_lshlrev_b32_e32 v7, 16, v41
	v_mul_f32_e32 v9, v9, v8
	v_add_f32_e32 v6, v6, v8
	s_waitcnt lgkmcnt(7)
	v_fmac_f32_e32 v24, v9, v47
	v_mul_f32_e32 v34, v34, v7
	s_waitcnt lgkmcnt(5)
	v_fmac_f32_e32 v24, v34, v49
	v_add_f32_e32 v6, v6, v7
	ds_bpermute_b32 v7, v30, v32
	s_waitcnt vmcnt(5)
	v_lshlrev_b32_e32 v35, 16, v42
	s_waitcnt vmcnt(4)
	v_lshlrev_b32_e32 v8, 16, v43
	v_sub_f32_e32 v35, v35, v50
	v_mul_f32_e32 v34, v35, v8
	s_waitcnt lgkmcnt(4)
	v_fmac_f32_e32 v24, v34, v51
	s_waitcnt vmcnt(3)
	v_lshlrev_b32_e32 v40, 16, v44
	s_waitcnt vmcnt(2)
	v_lshlrev_b32_e32 v9, 16, v45
	v_sub_f32_e32 v35, v40, v52
	v_mul_f32_e32 v34, v35, v9
	v_add_co_u32_e32 v35, vcc, s22, v36
	v_addc_co_u32_e32 v36, vcc, v37, v33, vcc
	v_add_co_u32_e32 v40, vcc, s22, v38
	global_load_ushort v38, v[38:39], off
	v_addc_co_u32_e32 v41, vcc, v39, v33, vcc
	global_load_ushort v39, v[35:36], off
	v_add_co_u32_e32 v42, vcc, s22, v35
	v_addc_co_u32_e32 v43, vcc, v36, v33, vcc
	global_load_ushort v36, v[40:41], off
	v_add_co_u32_e32 v44, vcc, s22, v40
	global_load_ushort v35, v[42:43], off
	v_addc_co_u32_e32 v45, vcc, v41, v33, vcc
	s_waitcnt lgkmcnt(3)
	v_fmac_f32_e32 v24, v34, v53
	s_waitcnt vmcnt(5)
	v_lshlrev_b32_e32 v34, 16, v46
	v_add_co_u32_e32 v46, vcc, s22, v42
	v_addc_co_u32_e32 v47, vcc, v43, v33, vcc
	v_add_co_u32_e32 v42, vcc, s22, v44
	global_load_ushort v41, v[44:45], off
	v_addc_co_u32_e32 v43, vcc, v45, v33, vcc
	global_load_ushort v40, v[46:47], off
	v_add_co_u32_e32 v44, vcc, s22, v46
	v_addc_co_u32_e32 v45, vcc, v47, v33, vcc
	v_add_co_u32_e32 v46, vcc, s22, v42
	v_addc_co_u32_e32 v47, vcc, v43, v33, vcc
	global_load_ushort v43, v[42:43], off
	v_add_co_u32_e32 v48, vcc, s22, v44
	global_load_ushort v42, v[44:45], off
	v_addc_co_u32_e32 v49, vcc, v45, v33, vcc
	global_load_ushort v45, v[46:47], off
	global_load_ushort v44, v[48:49], off
	v_add_co_u32_e32 v50, vcc, s22, v46
	v_addc_co_u32_e32 v51, vcc, v47, v33, vcc
	v_add_co_u32_e32 v46, vcc, s22, v48
	v_addc_co_u32_e32 v47, vcc, v49, v33, vcc
	global_load_ushort v52, v[50:51], off
	v_add_co_u32_e32 v48, vcc, s22, v50
	global_load_ushort v53, v[46:47], off
	v_addc_co_u32_e32 v49, vcc, v51, v33, vcc
	v_add_co_u32_e32 v50, vcc, s22, v46
	v_addc_co_u32_e32 v51, vcc, v47, v33, vcc
	s_waitcnt lgkmcnt(2)
	v_sub_f32_e32 v34, v34, v54
	v_add_co_u32_e32 v46, vcc, s22, v48
	global_load_ushort v54, v[48:49], off
	v_addc_co_u32_e32 v47, vcc, v49, v33, vcc
	global_load_ushort v55, v[50:51], off
	ds_bpermute_b32 v37, v16, v31
	v_add_co_u32_e32 v48, vcc, s22, v50
	v_addc_co_u32_e32 v49, vcc, v51, v33, vcc
	v_add_co_u32_e32 v50, vcc, s22, v46
	s_waitcnt vmcnt(14)
	v_lshlrev_b32_e32 v10, 16, v10
	v_addc_co_u32_e32 v51, vcc, v47, v33, vcc
	global_load_ushort v56, v[46:47], off
	global_load_ushort v57, v[48:49], off
	v_add_co_u32_e32 v46, vcc, s22, v48
	v_mul_f32_e32 v34, v34, v10
	v_addc_co_u32_e32 v47, vcc, v49, v33, vcc
	s_waitcnt lgkmcnt(0)
	v_fmac_f32_e32 v24, v34, v37
	ds_bpermute_b32 v34, v17, v31
	v_add_co_u32_e32 v48, vcc, s22, v50
	v_addc_co_u32_e32 v49, vcc, v51, v33, vcc
	s_waitcnt vmcnt(15)
	v_lshlrev_b32_e32 v37, 16, v38
	global_load_ushort v58, v[50:51], off
	global_load_ushort v59, v[46:47], off
	v_add_co_u32_e32 v46, vcc, s22, v46
	v_sub_f32_e32 v37, v37, v60
	s_waitcnt vmcnt(16)
	v_lshlrev_b32_e32 v39, 16, v39
	v_addc_co_u32_e32 v47, vcc, v47, v33, vcc
	v_mul_f32_e32 v37, v37, v39
	s_waitcnt lgkmcnt(0)
	v_fmac_f32_e32 v24, v37, v34
	v_add_co_u32_e32 v37, vcc, s22, v48
	v_addc_co_u32_e32 v38, vcc, v49, v33, vcc
	global_load_ushort v51, v[46:47], off
	v_add_co_u32_e32 v46, vcc, s22, v46
	global_load_ushort v50, v[48:49], off
	v_addc_co_u32_e32 v47, vcc, v47, v33, vcc
	global_load_ushort v33, v[46:47], off
	s_nop 0
	global_load_ushort v37, v[37:38], off
	ds_bpermute_b32 v34, v18, v32
	ds_bpermute_b32 v38, v18, v31
	s_waitcnt vmcnt(19)
	v_lshlrev_b32_e32 v36, 16, v36
	s_waitcnt vmcnt(18)
	v_lshlrev_b32_e32 v35, 16, v35
	ds_bpermute_b32 v46, v29, v32
	s_waitcnt lgkmcnt(2)
	v_sub_f32_e32 v34, v36, v34
	ds_bpermute_b32 v36, v21, v32
	v_mul_f32_e32 v34, v34, v35
	s_waitcnt lgkmcnt(2)
	v_fmac_f32_e32 v24, v34, v38
	ds_bpermute_b32 v38, v21, v31
	s_waitcnt vmcnt(17)
	v_lshlrev_b32_e32 v34, 16, v41
	s_waitcnt lgkmcnt(1)
	v_sub_f32_e32 v34, v34, v36
	s_waitcnt vmcnt(16)
	v_lshlrev_b32_e32 v36, 16, v40
	ds_bpermute_b32 v40, v22, v32
	v_mul_f32_e32 v34, v34, v36
	s_waitcnt lgkmcnt(1)
	v_fmac_f32_e32 v24, v34, v38
	ds_bpermute_b32 v38, v22, v31
	s_waitcnt vmcnt(15)
	v_lshlrev_b32_e32 v34, 16, v43
	s_waitcnt lgkmcnt(1)
	v_sub_f32_e32 v34, v34, v40
	s_waitcnt vmcnt(14)
	v_lshlrev_b32_e32 v40, 16, v42
	;; [unrolled: 11-line block ×5, first 2 shown]
	ds_bpermute_b32 v44, v27, v32
	v_mul_f32_e32 v34, v34, v43
	s_waitcnt lgkmcnt(1)
	v_fmac_f32_e32 v24, v34, v38
	ds_bpermute_b32 v38, v27, v31
	ds_bpermute_b32 v45, v28, v32
	s_waitcnt vmcnt(7)
	v_lshlrev_b32_e32 v34, 16, v56
	s_waitcnt lgkmcnt(2)
	v_sub_f32_e32 v34, v34, v44
	s_waitcnt vmcnt(6)
	v_lshlrev_b32_e32 v44, 16, v57
	v_mul_f32_e32 v34, v34, v44
	s_waitcnt lgkmcnt(1)
	v_fmac_f32_e32 v24, v34, v38
	ds_bpermute_b32 v38, v28, v31
	v_add_f32_e32 v6, v6, v8
	v_add_f32_e32 v6, v6, v9
	;; [unrolled: 1-line block ×4, first 2 shown]
	ds_bpermute_b32 v8, v30, v31
	v_add_f32_e32 v6, v6, v35
	v_add_f32_e32 v6, v6, v36
	s_waitcnt vmcnt(5)
	v_lshlrev_b32_e32 v34, 16, v58
	s_waitcnt lgkmcnt(2)
	v_sub_f32_e32 v34, v34, v45
	s_waitcnt vmcnt(4)
	v_lshlrev_b32_e32 v45, 16, v59
	v_mul_f32_e32 v34, v34, v45
	s_waitcnt lgkmcnt(1)
	v_fmac_f32_e32 v24, v34, v38
	ds_bpermute_b32 v34, v29, v31
	v_add_f32_e32 v6, v6, v40
	v_add_f32_e32 v6, v6, v41
	;; [unrolled: 1-line block ×3, first 2 shown]
	v_add_co_u32_e32 v4, vcc, s26, v4
	v_add_f32_e32 v6, v6, v43
	v_add_f32_e32 v6, v6, v44
	;; [unrolled: 1-line block ×3, first 2 shown]
	s_waitcnt vmcnt(2)
	v_lshlrev_b32_e32 v38, 16, v50
	v_sub_f32_e32 v38, v38, v46
	v_lshlrev_b32_e32 v46, 16, v51
	s_waitcnt vmcnt(0)
	v_lshlrev_b32_e32 v10, 16, v37
	v_mul_f32_e32 v38, v38, v46
	v_lshlrev_b32_e32 v9, 16, v33
	v_sub_f32_e32 v7, v10, v7
	s_waitcnt lgkmcnt(0)
	v_fmac_f32_e32 v24, v38, v34
	v_mul_f32_e32 v7, v7, v9
	v_fmac_f32_e32 v24, v7, v8
	v_mov_b32_e32 v7, s27
	v_addc_co_u32_e32 v5, vcc, v5, v7, vcc
	v_add_co_u32_e32 v2, vcc, s4, v2
	v_mov_b32_e32 v7, s20
	v_addc_co_u32_e32 v3, vcc, 0, v3, vcc
	v_mov_b32_e32 v8, s21
	v_add_f32_e32 v6, v6, v46
	v_cmp_lt_i64_e32 vcc, s[24:25], v[7:8]
	v_add_f32_e32 v6, v6, v9
	v_mov_b32_e32 v9, s29
	v_addc_co_u32_e64 v20, s[2:3], v20, v9, s[2:3]
	s_cbranch_vccz .LBB104_10
.LBB104_7:                              ; =>This Inner Loop Header: Depth=1
	v_mov_b32_e32 v31, 0
	v_mov_b32_e32 v32, 0
	s_and_saveexec_b64 s[2:3], s[0:1]
	s_cbranch_execz .LBB104_6
; %bb.8:                                ;   in Loop: Header=BB104_7 Depth=1
	v_cmp_gt_i64_e32 vcc, s[20:21], v[2:3]
	v_mov_b32_e32 v32, 0
	v_mov_b32_e32 v31, 0
	s_and_saveexec_b64 s[30:31], vcc
	s_cbranch_execz .LBB104_5
; %bb.9:                                ;   in Loop: Header=BB104_7 Depth=1
	v_mov_b32_e32 v8, s15
	v_add_co_u32_e32 v7, vcc, s14, v4
	v_addc_co_u32_e32 v8, vcc, v8, v5, vcc
	v_mov_b32_e32 v10, s13
	v_add_co_u32_e32 v9, vcc, s12, v4
	v_addc_co_u32_e32 v10, vcc, v10, v5, vcc
	global_load_dword v32, v[9:10], off
	global_load_dword v31, v[7:8], off
	s_branch .LBB104_5
.LBB104_10:
	s_movk_i32 s0, 0x41
	v_mad_u32_u24 v2, v1, s0, v0
	v_lshl_add_u32 v2, v2, 2, 0
	ds_write_b32 v2, v24
	ds_write_b32 v2, v6 offset:4160
	v_lshrrev_b32_e32 v2, 6, v0
	v_add_u32_e32 v2, v2, v1
	v_cmp_gt_u32_e32 vcc, 64, v2
	s_waitcnt lgkmcnt(0)
	s_barrier
	s_and_saveexec_b64 s[0:1], vcc
	s_cbranch_execz .LBB104_42
; %bb.11:
	v_and_b32_e32 v1, 63, v0
	v_cmp_gt_u32_e64 s[0:1], 16, v1
	v_mul_u32_u24_e32 v3, 0x41, v1
                                        ; implicit-def: $vgpr1
                                        ; implicit-def: $vgpr5
	s_and_saveexec_b64 s[2:3], s[0:1]
	s_cbranch_execz .LBB104_13
; %bb.12:
	v_add_u32_e32 v1, v2, v3
	v_lshl_add_u32 v1, v1, 2, 0
	ds_read_b32 v5, v1
	ds_read_b32 v1, v1 offset:4160
.LBB104_13:
	s_or_b64 exec, exec, s[2:3]
	v_mbcnt_hi_u32_b32 v7, -1, v11
	v_and_b32_e32 v4, 64, v7
	v_add_u32_e32 v8, 64, v4
	v_xor_b32_e32 v4, 8, v7
	v_cmp_lt_i32_e32 vcc, v4, v8
	v_cndmask_b32_e32 v4, v7, v4, vcc
	v_lshlrev_b32_e32 v4, 2, v4
	s_waitcnt lgkmcnt(1)
	ds_bpermute_b32 v6, v4, v5
	s_waitcnt lgkmcnt(1)
	ds_bpermute_b32 v9, v4, v1
	v_cmp_eq_u32_e64 s[2:3], 0, v0
	s_mov_b32 s7, 0
	s_lshl_b64 s[4:5], s[6:7], 6
	s_waitcnt lgkmcnt(1)
	v_add_f32_e32 v6, v5, v6
	v_xor_b32_e32 v5, 4, v7
	v_cmp_lt_i32_e32 vcc, v5, v8
	v_cndmask_b32_e32 v5, v7, v5, vcc
	v_lshlrev_b32_e32 v5, 2, v5
	s_waitcnt lgkmcnt(0)
	v_add_f32_e32 v1, v1, v9
	ds_bpermute_b32 v9, v5, v6
	ds_bpermute_b32 v10, v5, v1
	s_cmp_lg_u64 s[16:17], 0
	s_cselect_b64 s[8:9], -1, 0
	s_cmp_lg_u64 s[18:19], 0
	s_waitcnt lgkmcnt(1)
	v_add_f32_e32 v9, v6, v9
	v_xor_b32_e32 v6, 2, v7
	v_cmp_lt_i32_e32 vcc, v6, v8
	v_cndmask_b32_e32 v6, v7, v6, vcc
	v_lshlrev_b32_e32 v6, 2, v6
	s_waitcnt lgkmcnt(0)
	v_add_f32_e32 v1, v1, v10
	ds_bpermute_b32 v10, v6, v9
	ds_bpermute_b32 v11, v6, v1
	s_cselect_b64 s[6:7], -1, 0
	s_waitcnt lgkmcnt(1)
	v_add_f32_e32 v0, v9, v10
	v_xor_b32_e32 v9, 1, v7
	v_cmp_lt_i32_e32 vcc, v9, v8
	v_cndmask_b32_e32 v7, v7, v9, vcc
	s_waitcnt lgkmcnt(0)
	v_add_f32_e32 v1, v1, v11
	v_lshlrev_b32_e32 v7, 2, v7
	ds_bpermute_b32 v8, v7, v0
	ds_bpermute_b32 v9, v7, v1
	s_waitcnt lgkmcnt(1)
	v_add_f32_e32 v8, v0, v8
	s_waitcnt lgkmcnt(0)
	v_add_f32_e32 v9, v1, v9
	s_and_saveexec_b64 s[10:11], s[2:3]
	s_cbranch_execz .LBB104_18
; %bb.14:
	v_mov_b32_e32 v1, s5
	v_or_b32_e32 v0, s4, v2
	v_lshlrev_b64 v[0:1], 1, v[0:1]
	s_andn2_b64 vcc, exec, s[8:9]
	s_cbranch_vccnz .LBB104_16
; %bb.15:
	v_bfe_u32 v10, v8, 16, 1
	s_movk_i32 s12, 0x7fff
	v_add3_u32 v10, v8, v10, s12
	v_cmp_o_f32_e32 vcc, v8, v8
	v_mov_b32_e32 v11, 0x7fc0
	v_cndmask_b32_sdwa v12, v11, v10, vcc dst_sel:DWORD dst_unused:UNUSED_PAD src0_sel:DWORD src1_sel:WORD_1
	v_mov_b32_e32 v11, s17
	v_add_co_u32_e32 v10, vcc, s16, v0
	v_addc_co_u32_e32 v11, vcc, v11, v1, vcc
	global_store_short v[10:11], v12, off
.LBB104_16:
	s_andn2_b64 vcc, exec, s[6:7]
	s_cbranch_vccnz .LBB104_18
; %bb.17:
	v_bfe_u32 v10, v9, 16, 1
	s_movk_i32 s12, 0x7fff
	v_add3_u32 v10, v9, v10, s12
	v_cmp_o_f32_e32 vcc, v9, v9
	v_mov_b32_e32 v11, 0x7fc0
	v_cndmask_b32_sdwa v10, v11, v10, vcc dst_sel:DWORD dst_unused:UNUSED_PAD src0_sel:DWORD src1_sel:WORD_1
	v_mov_b32_e32 v11, s19
	v_add_co_u32_e32 v0, vcc, s18, v0
	v_addc_co_u32_e32 v1, vcc, v11, v1, vcc
	global_store_short v[0:1], v10, off
.LBB104_18:
	s_or_b64 exec, exec, s[10:11]
	v_cmp_gt_u32_e32 vcc, 48, v2
	s_and_b64 exec, exec, vcc
	s_cbranch_execz .LBB104_42
; %bb.19:
	s_and_saveexec_b64 s[10:11], s[0:1]
	s_cbranch_execz .LBB104_21
; %bb.20:
	v_add_u32_e32 v0, v2, v3
	v_lshl_add_u32 v0, v0, 2, 0
	ds_read_b32 v8, v0 offset:64
	ds_read_b32 v9, v0 offset:4224
.LBB104_21:
	s_or_b64 exec, exec, s[10:11]
	s_waitcnt lgkmcnt(1)
	ds_bpermute_b32 v0, v4, v8
	s_waitcnt lgkmcnt(1)
	ds_bpermute_b32 v1, v4, v9
	s_waitcnt lgkmcnt(1)
	v_add_f32_e32 v0, v8, v0
	s_waitcnt lgkmcnt(0)
	v_add_f32_e32 v1, v9, v1
	ds_bpermute_b32 v8, v5, v0
	ds_bpermute_b32 v9, v5, v1
	s_waitcnt lgkmcnt(1)
	v_add_f32_e32 v0, v0, v8
	s_waitcnt lgkmcnt(0)
	v_add_f32_e32 v1, v1, v9
	ds_bpermute_b32 v8, v6, v0
	;; [unrolled: 6-line block ×3, first 2 shown]
	ds_bpermute_b32 v9, v7, v1
	s_waitcnt lgkmcnt(1)
	v_add_f32_e32 v0, v0, v8
	s_waitcnt lgkmcnt(0)
	v_add_f32_e32 v1, v1, v9
	s_and_saveexec_b64 s[10:11], s[2:3]
	s_cbranch_execz .LBB104_26
; %bb.22:
	s_andn2_b64 vcc, exec, s[8:9]
	s_cbranch_vccnz .LBB104_24
; %bb.23:
	v_bfe_u32 v8, v0, 16, 1
	s_movk_i32 s12, 0x7fff
	v_add3_u32 v8, v0, v8, s12
	v_cmp_o_f32_e32 vcc, v0, v0
	v_mov_b32_e32 v9, 0x7fc0
	v_cndmask_b32_sdwa v10, v9, v8, vcc dst_sel:DWORD dst_unused:UNUSED_PAD src0_sel:DWORD src1_sel:WORD_1
	v_mov_b32_e32 v9, s5
	v_add_co_u32_e32 v8, vcc, s4, v2
	v_addc_co_u32_e32 v9, vcc, 0, v9, vcc
	v_lshlrev_b64 v[8:9], 1, v[8:9]
	v_mov_b32_e32 v11, s17
	v_add_co_u32_e32 v8, vcc, s16, v8
	v_addc_co_u32_e32 v9, vcc, v11, v9, vcc
	global_store_short v[8:9], v10, off offset:32
.LBB104_24:
	s_andn2_b64 vcc, exec, s[6:7]
	s_cbranch_vccnz .LBB104_26
; %bb.25:
	v_bfe_u32 v8, v1, 16, 1
	s_movk_i32 s12, 0x7fff
	v_add3_u32 v8, v1, v8, s12
	v_cmp_o_f32_e32 vcc, v1, v1
	v_mov_b32_e32 v9, 0x7fc0
	v_cndmask_b32_sdwa v10, v9, v8, vcc dst_sel:DWORD dst_unused:UNUSED_PAD src0_sel:DWORD src1_sel:WORD_1
	v_mov_b32_e32 v9, s5
	v_add_co_u32_e32 v8, vcc, s4, v2
	v_addc_co_u32_e32 v9, vcc, 0, v9, vcc
	v_lshlrev_b64 v[8:9], 1, v[8:9]
	v_mov_b32_e32 v11, s19
	v_add_co_u32_e32 v8, vcc, s18, v8
	v_addc_co_u32_e32 v9, vcc, v11, v9, vcc
	global_store_short v[8:9], v10, off offset:32
.LBB104_26:
	s_or_b64 exec, exec, s[10:11]
	v_cmp_gt_u32_e32 vcc, 32, v2
	s_and_b64 exec, exec, vcc
	s_cbranch_execz .LBB104_42
; %bb.27:
	s_and_saveexec_b64 s[10:11], s[0:1]
	s_cbranch_execz .LBB104_29
; %bb.28:
	v_add_u32_e32 v0, v2, v3
	v_lshl_add_u32 v1, v0, 2, 0
	ds_read_b32 v0, v1 offset:128
	ds_read_b32 v1, v1 offset:4288
.LBB104_29:
	s_or_b64 exec, exec, s[10:11]
	s_waitcnt lgkmcnt(1)
	ds_bpermute_b32 v8, v4, v0
	s_waitcnt lgkmcnt(1)
	ds_bpermute_b32 v9, v4, v1
	s_waitcnt lgkmcnt(1)
	v_add_f32_e32 v0, v0, v8
	s_waitcnt lgkmcnt(0)
	v_add_f32_e32 v1, v1, v9
	ds_bpermute_b32 v8, v5, v0
	ds_bpermute_b32 v9, v5, v1
	s_waitcnt lgkmcnt(1)
	v_add_f32_e32 v0, v0, v8
	s_waitcnt lgkmcnt(0)
	v_add_f32_e32 v1, v1, v9
	ds_bpermute_b32 v8, v6, v0
	;; [unrolled: 6-line block ×3, first 2 shown]
	ds_bpermute_b32 v9, v7, v1
	s_waitcnt lgkmcnt(1)
	v_add_f32_e32 v0, v0, v8
	s_waitcnt lgkmcnt(0)
	v_add_f32_e32 v1, v1, v9
	s_and_saveexec_b64 s[10:11], s[2:3]
	s_cbranch_execz .LBB104_34
; %bb.30:
	s_andn2_b64 vcc, exec, s[8:9]
	s_cbranch_vccnz .LBB104_32
; %bb.31:
	v_bfe_u32 v8, v0, 16, 1
	s_movk_i32 s12, 0x7fff
	v_add3_u32 v8, v0, v8, s12
	v_cmp_o_f32_e32 vcc, v0, v0
	v_mov_b32_e32 v9, 0x7fc0
	v_cndmask_b32_sdwa v10, v9, v8, vcc dst_sel:DWORD dst_unused:UNUSED_PAD src0_sel:DWORD src1_sel:WORD_1
	v_mov_b32_e32 v9, s5
	v_add_co_u32_e32 v8, vcc, s4, v2
	v_addc_co_u32_e32 v9, vcc, 0, v9, vcc
	v_lshlrev_b64 v[8:9], 1, v[8:9]
	v_mov_b32_e32 v11, s17
	v_add_co_u32_e32 v8, vcc, s16, v8
	v_addc_co_u32_e32 v9, vcc, v11, v9, vcc
	global_store_short v[8:9], v10, off offset:64
.LBB104_32:
	s_andn2_b64 vcc, exec, s[6:7]
	s_cbranch_vccnz .LBB104_34
; %bb.33:
	v_bfe_u32 v8, v1, 16, 1
	s_movk_i32 s12, 0x7fff
	v_add3_u32 v8, v1, v8, s12
	v_cmp_o_f32_e32 vcc, v1, v1
	v_mov_b32_e32 v9, 0x7fc0
	v_cndmask_b32_sdwa v10, v9, v8, vcc dst_sel:DWORD dst_unused:UNUSED_PAD src0_sel:DWORD src1_sel:WORD_1
	v_mov_b32_e32 v9, s5
	v_add_co_u32_e32 v8, vcc, s4, v2
	v_addc_co_u32_e32 v9, vcc, 0, v9, vcc
	v_lshlrev_b64 v[8:9], 1, v[8:9]
	v_mov_b32_e32 v11, s19
	v_add_co_u32_e32 v8, vcc, s18, v8
	v_addc_co_u32_e32 v9, vcc, v11, v9, vcc
	global_store_short v[8:9], v10, off offset:64
.LBB104_34:
	s_or_b64 exec, exec, s[10:11]
	v_cmp_gt_u32_e32 vcc, 16, v2
	s_and_b64 exec, exec, vcc
	s_cbranch_execz .LBB104_42
; %bb.35:
	s_and_saveexec_b64 s[10:11], s[0:1]
	s_cbranch_execz .LBB104_37
; %bb.36:
	v_add_u32_e32 v0, v2, v3
	v_lshl_add_u32 v1, v0, 2, 0
	ds_read_b32 v0, v1 offset:192
	ds_read_b32 v1, v1 offset:4352
.LBB104_37:
	s_or_b64 exec, exec, s[10:11]
	s_waitcnt lgkmcnt(1)
	ds_bpermute_b32 v3, v4, v0
	s_waitcnt lgkmcnt(1)
	ds_bpermute_b32 v4, v4, v1
	s_waitcnt lgkmcnt(1)
	v_add_f32_e32 v0, v0, v3
	s_waitcnt lgkmcnt(0)
	v_add_f32_e32 v1, v1, v4
	ds_bpermute_b32 v3, v5, v0
	ds_bpermute_b32 v4, v5, v1
	s_waitcnt lgkmcnt(1)
	v_add_f32_e32 v0, v0, v3
	s_waitcnt lgkmcnt(0)
	v_add_f32_e32 v1, v1, v4
	ds_bpermute_b32 v3, v6, v0
	;; [unrolled: 6-line block ×3, first 2 shown]
	ds_bpermute_b32 v1, v7, v0
	s_and_b64 exec, exec, s[2:3]
	s_cbranch_execz .LBB104_42
; %bb.38:
	s_andn2_b64 vcc, exec, s[8:9]
	s_cbranch_vccnz .LBB104_40
; %bb.39:
	s_waitcnt lgkmcnt(1)
	v_add_f32_e32 v3, v3, v4
	v_bfe_u32 v4, v3, 16, 1
	s_movk_i32 s0, 0x7fff
	v_add3_u32 v4, v3, v4, s0
	v_cmp_o_f32_e32 vcc, v3, v3
	v_mov_b32_e32 v3, 0x7fc0
	v_cndmask_b32_sdwa v5, v3, v4, vcc dst_sel:DWORD dst_unused:UNUSED_PAD src0_sel:DWORD src1_sel:WORD_1
	v_mov_b32_e32 v4, s5
	v_add_co_u32_e32 v3, vcc, s4, v2
	v_addc_co_u32_e32 v4, vcc, 0, v4, vcc
	v_lshlrev_b64 v[3:4], 1, v[3:4]
	v_mov_b32_e32 v6, s17
	v_add_co_u32_e32 v3, vcc, s16, v3
	v_addc_co_u32_e32 v4, vcc, v6, v4, vcc
	global_store_short v[3:4], v5, off offset:96
.LBB104_40:
	s_andn2_b64 vcc, exec, s[6:7]
	s_cbranch_vccnz .LBB104_42
; %bb.41:
	s_waitcnt lgkmcnt(0)
	v_add_f32_e32 v0, v0, v1
	v_bfe_u32 v1, v0, 16, 1
	s_movk_i32 s0, 0x7fff
	v_add3_u32 v1, v0, v1, s0
	v_cmp_o_f32_e32 vcc, v0, v0
	v_mov_b32_e32 v0, 0x7fc0
	v_cndmask_b32_sdwa v3, v0, v1, vcc dst_sel:DWORD dst_unused:UNUSED_PAD src0_sel:DWORD src1_sel:WORD_1
	v_mov_b32_e32 v1, s5
	v_add_co_u32_e32 v0, vcc, s4, v2
	v_addc_co_u32_e32 v1, vcc, 0, v1, vcc
	v_lshlrev_b64 v[0:1], 1, v[0:1]
	v_mov_b32_e32 v2, s19
	v_add_co_u32_e32 v0, vcc, s18, v0
	v_addc_co_u32_e32 v1, vcc, v2, v1, vcc
	global_store_short v[0:1], v3, off offset:96
.LBB104_42:
	s_endpgm
	.section	.rodata,"a",@progbits
	.p2align	6, 0x0
	.amdhsa_kernel _ZN2at6native12_GLOBAL__N_135GammaBetaBackwardCUDAKernelTemplateIN3c108BFloat16EfLj64ELj16ELj256ELb0ELb1ELb0EEEvllPKT_S7_PKT0_SA_PS5_SB_
		.amdhsa_group_segment_fixed_size 0
		.amdhsa_private_segment_fixed_size 0
		.amdhsa_kernarg_size 320
		.amdhsa_user_sgpr_count 6
		.amdhsa_user_sgpr_private_segment_buffer 1
		.amdhsa_user_sgpr_dispatch_ptr 0
		.amdhsa_user_sgpr_queue_ptr 0
		.amdhsa_user_sgpr_kernarg_segment_ptr 1
		.amdhsa_user_sgpr_dispatch_id 0
		.amdhsa_user_sgpr_flat_scratch_init 0
		.amdhsa_user_sgpr_private_segment_size 0
		.amdhsa_uses_dynamic_stack 0
		.amdhsa_system_sgpr_private_segment_wavefront_offset 0
		.amdhsa_system_sgpr_workgroup_id_x 1
		.amdhsa_system_sgpr_workgroup_id_y 1
		.amdhsa_system_sgpr_workgroup_id_z 0
		.amdhsa_system_sgpr_workgroup_info 0
		.amdhsa_system_vgpr_workitem_id 1
		.amdhsa_next_free_vgpr 61
		.amdhsa_next_free_sgpr 32
		.amdhsa_reserve_vcc 1
		.amdhsa_reserve_flat_scratch 0
		.amdhsa_float_round_mode_32 0
		.amdhsa_float_round_mode_16_64 0
		.amdhsa_float_denorm_mode_32 3
		.amdhsa_float_denorm_mode_16_64 3
		.amdhsa_dx10_clamp 1
		.amdhsa_ieee_mode 1
		.amdhsa_fp16_overflow 0
		.amdhsa_exception_fp_ieee_invalid_op 0
		.amdhsa_exception_fp_denorm_src 0
		.amdhsa_exception_fp_ieee_div_zero 0
		.amdhsa_exception_fp_ieee_overflow 0
		.amdhsa_exception_fp_ieee_underflow 0
		.amdhsa_exception_fp_ieee_inexact 0
		.amdhsa_exception_int_div_zero 0
	.end_amdhsa_kernel
	.section	.text._ZN2at6native12_GLOBAL__N_135GammaBetaBackwardCUDAKernelTemplateIN3c108BFloat16EfLj64ELj16ELj256ELb0ELb1ELb0EEEvllPKT_S7_PKT0_SA_PS5_SB_,"axG",@progbits,_ZN2at6native12_GLOBAL__N_135GammaBetaBackwardCUDAKernelTemplateIN3c108BFloat16EfLj64ELj16ELj256ELb0ELb1ELb0EEEvllPKT_S7_PKT0_SA_PS5_SB_,comdat
.Lfunc_end104:
	.size	_ZN2at6native12_GLOBAL__N_135GammaBetaBackwardCUDAKernelTemplateIN3c108BFloat16EfLj64ELj16ELj256ELb0ELb1ELb0EEEvllPKT_S7_PKT0_SA_PS5_SB_, .Lfunc_end104-_ZN2at6native12_GLOBAL__N_135GammaBetaBackwardCUDAKernelTemplateIN3c108BFloat16EfLj64ELj16ELj256ELb0ELb1ELb0EEEvllPKT_S7_PKT0_SA_PS5_SB_
                                        ; -- End function
	.set _ZN2at6native12_GLOBAL__N_135GammaBetaBackwardCUDAKernelTemplateIN3c108BFloat16EfLj64ELj16ELj256ELb0ELb1ELb0EEEvllPKT_S7_PKT0_SA_PS5_SB_.num_vgpr, 61
	.set _ZN2at6native12_GLOBAL__N_135GammaBetaBackwardCUDAKernelTemplateIN3c108BFloat16EfLj64ELj16ELj256ELb0ELb1ELb0EEEvllPKT_S7_PKT0_SA_PS5_SB_.num_agpr, 0
	.set _ZN2at6native12_GLOBAL__N_135GammaBetaBackwardCUDAKernelTemplateIN3c108BFloat16EfLj64ELj16ELj256ELb0ELb1ELb0EEEvllPKT_S7_PKT0_SA_PS5_SB_.numbered_sgpr, 32
	.set _ZN2at6native12_GLOBAL__N_135GammaBetaBackwardCUDAKernelTemplateIN3c108BFloat16EfLj64ELj16ELj256ELb0ELb1ELb0EEEvllPKT_S7_PKT0_SA_PS5_SB_.num_named_barrier, 0
	.set _ZN2at6native12_GLOBAL__N_135GammaBetaBackwardCUDAKernelTemplateIN3c108BFloat16EfLj64ELj16ELj256ELb0ELb1ELb0EEEvllPKT_S7_PKT0_SA_PS5_SB_.private_seg_size, 0
	.set _ZN2at6native12_GLOBAL__N_135GammaBetaBackwardCUDAKernelTemplateIN3c108BFloat16EfLj64ELj16ELj256ELb0ELb1ELb0EEEvllPKT_S7_PKT0_SA_PS5_SB_.uses_vcc, 1
	.set _ZN2at6native12_GLOBAL__N_135GammaBetaBackwardCUDAKernelTemplateIN3c108BFloat16EfLj64ELj16ELj256ELb0ELb1ELb0EEEvllPKT_S7_PKT0_SA_PS5_SB_.uses_flat_scratch, 0
	.set _ZN2at6native12_GLOBAL__N_135GammaBetaBackwardCUDAKernelTemplateIN3c108BFloat16EfLj64ELj16ELj256ELb0ELb1ELb0EEEvllPKT_S7_PKT0_SA_PS5_SB_.has_dyn_sized_stack, 0
	.set _ZN2at6native12_GLOBAL__N_135GammaBetaBackwardCUDAKernelTemplateIN3c108BFloat16EfLj64ELj16ELj256ELb0ELb1ELb0EEEvllPKT_S7_PKT0_SA_PS5_SB_.has_recursion, 0
	.set _ZN2at6native12_GLOBAL__N_135GammaBetaBackwardCUDAKernelTemplateIN3c108BFloat16EfLj64ELj16ELj256ELb0ELb1ELb0EEEvllPKT_S7_PKT0_SA_PS5_SB_.has_indirect_call, 0
	.section	.AMDGPU.csdata,"",@progbits
; Kernel info:
; codeLenInByte = 3576
; TotalNumSgprs: 36
; NumVgprs: 61
; ScratchSize: 0
; MemoryBound: 0
; FloatMode: 240
; IeeeMode: 1
; LDSByteSize: 0 bytes/workgroup (compile time only)
; SGPRBlocks: 4
; VGPRBlocks: 15
; NumSGPRsForWavesPerEU: 36
; NumVGPRsForWavesPerEU: 61
; Occupancy: 4
; WaveLimiterHint : 0
; COMPUTE_PGM_RSRC2:SCRATCH_EN: 0
; COMPUTE_PGM_RSRC2:USER_SGPR: 6
; COMPUTE_PGM_RSRC2:TRAP_HANDLER: 0
; COMPUTE_PGM_RSRC2:TGID_X_EN: 1
; COMPUTE_PGM_RSRC2:TGID_Y_EN: 1
; COMPUTE_PGM_RSRC2:TGID_Z_EN: 0
; COMPUTE_PGM_RSRC2:TIDIG_COMP_CNT: 1
	.section	.text._ZN2at6native12_GLOBAL__N_135GammaBetaBackwardCUDAKernelTemplateIN3c108BFloat16EfLj64ELj16ELj256ELb0ELb0ELb0EEEvllPKT_S7_PKT0_SA_PS5_SB_,"axG",@progbits,_ZN2at6native12_GLOBAL__N_135GammaBetaBackwardCUDAKernelTemplateIN3c108BFloat16EfLj64ELj16ELj256ELb0ELb0ELb0EEEvllPKT_S7_PKT0_SA_PS5_SB_,comdat
	.globl	_ZN2at6native12_GLOBAL__N_135GammaBetaBackwardCUDAKernelTemplateIN3c108BFloat16EfLj64ELj16ELj256ELb0ELb0ELb0EEEvllPKT_S7_PKT0_SA_PS5_SB_ ; -- Begin function _ZN2at6native12_GLOBAL__N_135GammaBetaBackwardCUDAKernelTemplateIN3c108BFloat16EfLj64ELj16ELj256ELb0ELb0ELb0EEEvllPKT_S7_PKT0_SA_PS5_SB_
	.p2align	8
	.type	_ZN2at6native12_GLOBAL__N_135GammaBetaBackwardCUDAKernelTemplateIN3c108BFloat16EfLj64ELj16ELj256ELb0ELb0ELb0EEEvllPKT_S7_PKT0_SA_PS5_SB_,@function
_ZN2at6native12_GLOBAL__N_135GammaBetaBackwardCUDAKernelTemplateIN3c108BFloat16EfLj64ELj16ELj256ELb0ELb0ELb0EEEvllPKT_S7_PKT0_SA_PS5_SB_: ; @_ZN2at6native12_GLOBAL__N_135GammaBetaBackwardCUDAKernelTemplateIN3c108BFloat16EfLj64ELj16ELj256ELb0ELb0ELb0EEEvllPKT_S7_PKT0_SA_PS5_SB_
; %bb.0:
	s_mov_b64 s[38:39], s[2:3]
	s_mov_b64 s[36:37], s[0:1]
	s_add_u32 s36, s36, s8
	s_addc_u32 s37, s37, 0
	buffer_store_dword v1, off, s[36:39], 0 offset:216 ; 4-byte Folded Spill
	s_load_dwordx8 s[12:19], s[4:5], 0x0
	s_load_dwordx4 s[20:23], s[4:5], 0x20
	s_lshl_b32 s10, s7, 8
	v_mov_b32_e32 v15, v0
	s_lshl_b32 s33, s6, 6
	s_mov_b32 s11, 0
	v_mov_b32_e32 v0, s10
	s_or_b32 s0, s33, 63
	v_mov_b32_e32 v1, s11
	v_mov_b32_e32 v35, s0
	;; [unrolled: 1-line block ×3, first 2 shown]
	s_waitcnt lgkmcnt(0)
	v_cmp_gt_i64_e64 s[0:1], s[12:13], v[0:1]
	v_cmp_le_i64_e32 vcc, s[14:15], v[35:36]
	v_cndmask_b32_e64 v0, 0, 1, s[0:1]
	v_cmp_ne_u32_e64 s[0:1], 1, v0
	s_cbranch_vccz .LBB105_81
; %bb.1:
	s_and_b64 vcc, exec, s[0:1]
	v_mov_b32_e32 v5, 0
	s_cbranch_vccnz .LBB105_83
; %bb.2:
	buffer_load_dword v0, off, s[36:39], 0 offset:216 ; 4-byte Folded Reload
	v_mov_b32_e32 v6, s17
	v_mov_b32_e32 v8, s19
	s_load_dword s7, s[4:5], 0x44
	s_add_u32 s24, s4, 64
	s_addc_u32 s25, s5, 0
	s_mov_b64 s[30:31], s[10:11]
	v_mov_b32_e32 v42, 0
	s_waitcnt lgkmcnt(0)
	s_lshl_b32 s7, s7, 8
	s_mul_i32 s8, s15, s7
	s_mul_hi_u32 s9, s14, s7
	s_add_i32 s9, s9, s8
	s_mul_i32 s8, s14, s7
	s_lshl_b64 s[26:27], s[8:9], 1
	s_add_u32 s28, s10, 0xff
	s_addc_u32 s29, 0, 0
	buffer_store_dword v15, off, s[36:39], 0 offset:364 ; 4-byte Folded Spill
	s_waitcnt vmcnt(1)
	v_lshlrev_b32_e32 v0, 4, v0
	v_add_co_u32_e32 v2, vcc, s10, v0
	v_addc_co_u32_e64 v3, s[2:3], 0, 0, vcc
	buffer_store_dword v0, off, s[36:39], 0 offset:236 ; 4-byte Folded Spill
	v_mul_lo_u32 v4, s15, v2
	v_mul_lo_u32 v5, s14, v3
	v_mad_u64_u32 v[0:1], s[2:3], s14, v2, 0
	v_add3_u32 v1, v1, v5, v4
	v_lshlrev_b64 v[4:5], 1, v[0:1]
	v_add_co_u32_e32 v7, vcc, s16, v4
	v_addc_co_u32_e32 v6, vcc, v6, v5, vcc
	buffer_store_dword v6, off, s[36:39], 0 offset:4 ; 4-byte Folded Spill
	v_add_co_u32_e32 v6, vcc, 15, v2
	buffer_store_dword v7, off, s[36:39], 0 ; 4-byte Folded Spill
	v_addc_co_u32_e32 v7, vcc, 0, v3, vcc
	v_mul_lo_u32 v9, s15, v6
	v_mul_lo_u32 v10, s14, v7
	v_mad_u64_u32 v[6:7], s[2:3], s14, v6, 0
	v_add_co_u32_e32 v4, vcc, s18, v4
	buffer_store_dword v4, off, s[36:39], 0 offset:8 ; 4-byte Folded Spill
	v_addc_co_u32_e32 v4, vcc, v8, v5, vcc
	v_add3_u32 v7, v7, v10, v9
	buffer_store_dword v4, off, s[36:39], 0 offset:12 ; 4-byte Folded Spill
	v_lshlrev_b64 v[4:5], 1, v[6:7]
	v_mov_b32_e32 v6, s17
	v_add_co_u32_e32 v7, vcc, s16, v4
	v_addc_co_u32_e32 v6, vcc, v6, v5, vcc
	buffer_store_dword v6, off, s[36:39], 0 offset:24 ; 4-byte Folded Spill
	v_add_co_u32_e32 v6, vcc, 14, v2
	buffer_store_dword v7, off, s[36:39], 0 offset:16 ; 4-byte Folded Spill
	v_addc_co_u32_e32 v7, vcc, 0, v3, vcc
	v_mul_lo_u32 v9, s15, v6
	v_mul_lo_u32 v10, s14, v7
	v_mad_u64_u32 v[6:7], s[2:3], s14, v6, 0
	v_add_co_u32_e32 v4, vcc, s18, v4
	buffer_store_dword v4, off, s[36:39], 0 offset:32 ; 4-byte Folded Spill
	v_addc_co_u32_e32 v4, vcc, v8, v5, vcc
	v_add3_u32 v7, v7, v10, v9
	buffer_store_dword v4, off, s[36:39], 0 offset:40 ; 4-byte Folded Spill
	v_lshlrev_b64 v[4:5], 1, v[6:7]
	v_mov_b32_e32 v6, s17
	v_add_co_u32_e32 v7, vcc, s16, v4
	v_addc_co_u32_e32 v6, vcc, v6, v5, vcc
	buffer_store_dword v6, off, s[36:39], 0 offset:56 ; 4-byte Folded Spill
	v_add_co_u32_e32 v6, vcc, 13, v2
	buffer_store_dword v7, off, s[36:39], 0 offset:48 ; 4-byte Folded Spill
	;; [unrolled: 16-line block ×9, first 2 shown]
	v_addc_co_u32_e32 v7, vcc, 0, v3, vcc
	v_mul_lo_u32 v9, s15, v6
	v_mul_lo_u32 v10, s14, v7
	v_mad_u64_u32 v[6:7], s[2:3], s14, v6, 0
	v_add_co_u32_e32 v4, vcc, s18, v4
	buffer_store_dword v4, off, s[36:39], 0 offset:204 ; 4-byte Folded Spill
	v_addc_co_u32_e32 v4, vcc, v8, v5, vcc
	v_add3_u32 v7, v7, v10, v9
	buffer_store_dword v4, off, s[36:39], 0 offset:208 ; 4-byte Folded Spill
	v_lshlrev_b64 v[4:5], 1, v[6:7]
	v_mov_b32_e32 v6, s17
	v_add_co_u32_e32 v7, vcc, s16, v4
	v_addc_co_u32_e32 v62, vcc, v6, v5, vcc
	v_add_co_u32_e32 v6, vcc, 5, v2
	buffer_store_dword v7, off, s[36:39], 0 offset:212 ; 4-byte Folded Spill
	v_addc_co_u32_e32 v7, vcc, 0, v3, vcc
	v_mul_lo_u32 v9, s15, v6
	v_mul_lo_u32 v10, s14, v7
	v_mad_u64_u32 v[6:7], s[2:3], s14, v6, 0
	v_add_co_u32_e32 v63, vcc, s18, v4
	v_add3_u32 v7, v7, v10, v9
	v_addc_co_u32_e32 v19, vcc, v8, v5, vcc
	v_lshlrev_b64 v[4:5], 1, v[6:7]
	v_mov_b32_e32 v6, s17
	v_add_co_u32_e32 v20, vcc, s16, v4
	v_addc_co_u32_e32 v21, vcc, v6, v5, vcc
	v_mov_b32_e32 v6, s19
	v_add_co_u32_e32 v22, vcc, s18, v4
	v_addc_co_u32_e32 v23, vcc, v6, v5, vcc
	v_add_co_u32_e32 v4, vcc, 4, v2
	v_addc_co_u32_e32 v5, vcc, 0, v3, vcc
	v_mul_lo_u32 v6, s15, v4
	v_mul_lo_u32 v7, s14, v5
	v_mad_u64_u32 v[4:5], s[2:3], s14, v4, 0
	v_add_co_u32_e32 v0, vcc, s14, v0
	v_add3_u32 v5, v5, v7, v6
	v_lshlrev_b64 v[4:5], 1, v[4:5]
	v_mov_b32_e32 v6, s15
	v_addc_co_u32_e32 v1, vcc, v1, v6, vcc
	v_mov_b32_e32 v6, s17
	v_add_co_u32_e32 v24, vcc, s16, v4
	v_addc_co_u32_e32 v25, vcc, v6, v5, vcc
	v_mov_b32_e32 v6, s19
	v_add_co_u32_e32 v26, vcc, s18, v4
	v_addc_co_u32_e32 v27, vcc, v6, v5, vcc
	v_add_co_u32_e32 v4, vcc, 3, v2
	v_addc_co_u32_e32 v5, vcc, 0, v3, vcc
	v_mul_lo_u32 v6, s14, v5
	v_mul_lo_u32 v7, s15, v4
	v_mad_u64_u32 v[4:5], s[2:3], s14, v4, 0
	v_lshlrev_b64 v[0:1], 1, v[0:1]
	v_add3_u32 v5, v5, v6, v7
	v_lshlrev_b64 v[4:5], 1, v[4:5]
	v_mov_b32_e32 v6, s17
	v_add_co_u32_e32 v28, vcc, s16, v4
	v_addc_co_u32_e32 v29, vcc, v6, v5, vcc
	v_mov_b32_e32 v6, s19
	v_add_co_u32_e32 v30, vcc, s18, v4
	v_addc_co_u32_e32 v31, vcc, v6, v5, vcc
	v_add_co_u32_e32 v2, vcc, 2, v2
	v_addc_co_u32_e32 v3, vcc, 0, v3, vcc
	v_mul_lo_u32 v4, s14, v3
	v_mul_lo_u32 v5, s15, v2
	v_mad_u64_u32 v[2:3], s[2:3], s14, v2, 0
	v_add3_u32 v3, v3, v4, v5
	v_lshlrev_b64 v[2:3], 1, v[2:3]
	v_mov_b32_e32 v4, s17
	v_add_co_u32_e32 v32, vcc, s16, v2
	v_addc_co_u32_e32 v33, vcc, v4, v3, vcc
	v_mov_b32_e32 v4, s19
	v_add_co_u32_e32 v34, vcc, s18, v2
	v_addc_co_u32_e32 v35, vcc, v4, v3, vcc
	;; [unrolled: 3-line block ×4, first 2 shown]
	v_mov_b32_e32 v2, 0
	v_mbcnt_lo_u32_b32 v3, -1, 0
	v_add_u32_e32 v0, s33, v15
	v_mov_b32_e32 v1, v2
	v_mbcnt_hi_u32_b32 v3, -1, v3
	v_cmp_gt_i64_e64 s[2:3], s[14:15], v[0:1]
	v_lshlrev_b64 v[0:1], 1, v[0:1]
	v_lshlrev_b32_e32 v3, 2, v3
	v_and_b32_e32 v41, 0x100, v3
	v_mov_b32_e32 v3, 0
	buffer_store_dword v3, off, s[36:39], 0 offset:220 ; 4-byte Folded Spill
.LBB105_3:                              ; =>This Inner Loop Header: Depth=1
	v_mov_b32_e32 v3, s12
	v_mov_b32_e32 v4, s13
	v_cmp_ge_i64_e32 vcc, s[28:29], v[3:4]
	buffer_load_dword v4, off, s[36:39], 0 offset:236 ; 4-byte Folded Reload
	v_mov_b32_e32 v3, s29
	s_and_b64 vcc, exec, vcc
                                        ; implicit-def: $vgpr48
                                        ; implicit-def: $vgpr47
                                        ; implicit-def: $vgpr36
	s_waitcnt vmcnt(0)
	v_add_co_u32_e64 v43, s[8:9], s28, v4
	v_addc_co_u32_e64 v44, s[8:9], 0, v3, s[8:9]
	s_mov_b64 s[8:9], -1
                                        ; implicit-def: $vgpr3_vgpr4_vgpr5_vgpr6_vgpr7_vgpr8_vgpr9_vgpr10_vgpr11_vgpr12_vgpr13_vgpr14_vgpr15_vgpr16_vgpr17_vgpr18
                                        ; implicit-def: $vgpr4
                                        ; implicit-def: $vgpr3
	s_cbranch_vccz .LBB105_41
; %bb.4:                                ;   in Loop: Header=BB105_3 Depth=1
	s_load_dword s8, s[24:25], 0xc
	buffer_load_dword v3, off, s[36:39], 0 offset:364 ; 4-byte Folded Reload
	buffer_load_dword v4, off, s[36:39], 0 offset:216 ; 4-byte Folded Reload
	v_mov_b32_e32 v36, 0
	v_mov_b32_e32 v45, 0
	;; [unrolled: 1-line block ×3, first 2 shown]
	s_waitcnt lgkmcnt(0)
	s_and_b32 s8, s8, 0xffff
	s_waitcnt vmcnt(0)
	v_mad_u32_u24 v3, v4, s8, v3
	v_and_b32_e32 v3, 63, v3
	v_cmp_gt_u32_e32 vcc, 16, v3
	s_and_saveexec_b64 s[8:9], vcc
	s_cbranch_execz .LBB105_8
; %bb.5:                                ;   in Loop: Header=BB105_3 Depth=1
	v_add_co_u32_e32 v3, vcc, v43, v3
	v_addc_co_u32_e32 v4, vcc, 0, v44, vcc
	v_add_co_u32_e32 v3, vcc, 0xffffff01, v3
	v_addc_co_u32_e32 v4, vcc, -1, v4, vcc
	v_cmp_gt_i64_e32 vcc, s[12:13], v[3:4]
	v_mov_b32_e32 v46, 0
	v_mov_b32_e32 v45, 0
	s_and_saveexec_b64 s[34:35], vcc
	s_cbranch_execz .LBB105_7
; %bb.6:                                ;   in Loop: Header=BB105_3 Depth=1
	v_lshlrev_b64 v[3:4], 2, v[3:4]
	v_mov_b32_e32 v6, s23
	v_add_co_u32_e32 v5, vcc, s22, v3
	v_addc_co_u32_e32 v6, vcc, v6, v4, vcc
	v_mov_b32_e32 v7, s21
	v_add_co_u32_e32 v3, vcc, s20, v3
	v_addc_co_u32_e32 v4, vcc, v7, v4, vcc
	global_load_dword v46, v[3:4], off
	global_load_dword v45, v[5:6], off
.LBB105_7:                              ;   in Loop: Header=BB105_3 Depth=1
	s_or_b64 exec, exec, s[34:35]
.LBB105_8:                              ;   in Loop: Header=BB105_3 Depth=1
	s_or_b64 exec, exec, s[8:9]
	v_add_co_u32_e32 v3, vcc, 0xffffff01, v43
	v_addc_co_u32_e32 v4, vcc, -1, v44, vcc
	v_cmp_gt_i64_e32 vcc, s[12:13], v[3:4]
	v_mov_b32_e32 v3, v2
	v_mov_b32_e32 v4, v2
	;; [unrolled: 1-line block ×31, first 2 shown]
	s_and_b64 s[34:35], s[2:3], vcc
	s_and_saveexec_b64 s[8:9], s[34:35]
	s_cbranch_execz .LBB105_10
; %bb.9:                                ;   in Loop: Header=BB105_3 Depth=1
	buffer_load_dword v3, off, s[36:39], 0  ; 4-byte Folded Reload
	buffer_load_dword v4, off, s[36:39], 0 offset:4 ; 4-byte Folded Reload
	v_mov_b32_e32 v5, v2
	v_mov_b32_e32 v6, v2
	;; [unrolled: 1-line block ×14, first 2 shown]
	s_waitcnt vmcnt(1)
	v_add_co_u32_e32 v3, vcc, v3, v0
	s_waitcnt vmcnt(0)
	v_addc_co_u32_e32 v4, vcc, v4, v1, vcc
	global_load_ushort v36, v[3:4], off
	s_nop 0
	buffer_load_dword v3, off, s[36:39], 0 offset:8 ; 4-byte Folded Reload
	buffer_load_dword v4, off, s[36:39], 0 offset:12 ; 4-byte Folded Reload
	s_waitcnt vmcnt(1)
	v_add_co_u32_e32 v3, vcc, v3, v0
	s_waitcnt vmcnt(0)
	v_addc_co_u32_e32 v4, vcc, v4, v1, vcc
	global_load_ushort v47, v[3:4], off
	v_mov_b32_e32 v4, v2
	v_lshlrev_b32_e32 v3, 16, v36
	s_waitcnt vmcnt(0)
	v_lshlrev_b32_e32 v36, 16, v47
.LBB105_10:                             ;   in Loop: Header=BB105_3 Depth=1
	s_or_b64 exec, exec, s[8:9]
	v_add_co_u32_e32 v47, vcc, 0xffffff02, v43
	v_addc_co_u32_e32 v48, vcc, -1, v44, vcc
	v_cmp_gt_i64_e32 vcc, s[12:13], v[47:48]
	v_mov_b32_e32 v61, 0
	s_and_b64 s[34:35], s[2:3], vcc
	v_mov_b32_e32 v47, 0
	buffer_store_dword v47, off, s[36:39], 0 offset:224 ; 4-byte Folded Spill
	s_and_saveexec_b64 s[8:9], s[34:35]
	s_cbranch_execz .LBB105_12
; %bb.11:                               ;   in Loop: Header=BB105_3 Depth=1
	v_add_co_u32_e32 v47, vcc, v37, v0
	v_addc_co_u32_e32 v48, vcc, v38, v1, vcc
	global_load_ushort v4, v[47:48], off
	v_add_co_u32_e32 v47, vcc, v39, v0
	v_addc_co_u32_e32 v48, vcc, v40, v1, vcc
	global_load_ushort v47, v[47:48], off
	s_waitcnt vmcnt(1)
	v_lshlrev_b32_e32 v4, 16, v4
	s_waitcnt vmcnt(0)
	v_lshlrev_b32_e32 v47, 16, v47
	buffer_store_dword v47, off, s[36:39], 0 offset:224 ; 4-byte Folded Spill
.LBB105_12:                             ;   in Loop: Header=BB105_3 Depth=1
	s_or_b64 exec, exec, s[8:9]
	v_add_co_u32_e32 v47, vcc, 0xffffff03, v43
	v_addc_co_u32_e32 v48, vcc, -1, v44, vcc
	v_cmp_gt_i64_e32 vcc, s[12:13], v[47:48]
	s_and_b64 s[34:35], s[2:3], vcc
	s_and_saveexec_b64 s[8:9], s[34:35]
	s_cbranch_execz .LBB105_14
; %bb.13:                               ;   in Loop: Header=BB105_3 Depth=1
	v_add_co_u32_e32 v47, vcc, v32, v0
	v_addc_co_u32_e32 v48, vcc, v33, v1, vcc
	global_load_ushort v5, v[47:48], off
	v_add_co_u32_e32 v47, vcc, v34, v0
	v_addc_co_u32_e32 v48, vcc, v35, v1, vcc
	global_load_ushort v47, v[47:48], off
	s_waitcnt vmcnt(1)
	v_lshlrev_b32_e32 v5, 16, v5
	s_waitcnt vmcnt(0)
	v_lshlrev_b32_e32 v61, 16, v47
.LBB105_14:                             ;   in Loop: Header=BB105_3 Depth=1
	s_or_b64 exec, exec, s[8:9]
	v_add_co_u32_e32 v47, vcc, 0xffffff04, v43
	v_addc_co_u32_e32 v48, vcc, -1, v44, vcc
	v_cmp_gt_i64_e32 vcc, s[12:13], v[47:48]
	v_mov_b32_e32 v47, 0
	s_and_b64 s[34:35], s[2:3], vcc
	v_mov_b32_e32 v50, 0
	buffer_store_dword v47, off, s[36:39], 0 offset:228 ; 4-byte Folded Spill
	s_and_saveexec_b64 s[8:9], s[34:35]
	s_cbranch_execz .LBB105_16
; %bb.15:                               ;   in Loop: Header=BB105_3 Depth=1
	v_add_co_u32_e32 v47, vcc, v28, v0
	v_addc_co_u32_e32 v48, vcc, v29, v1, vcc
	global_load_ushort v6, v[47:48], off
	v_add_co_u32_e32 v47, vcc, v30, v0
	v_addc_co_u32_e32 v48, vcc, v31, v1, vcc
	global_load_ushort v47, v[47:48], off
	s_waitcnt vmcnt(1)
	v_lshlrev_b32_e32 v6, 16, v6
	s_waitcnt vmcnt(0)
	v_lshlrev_b32_e32 v50, 16, v47
.LBB105_16:                             ;   in Loop: Header=BB105_3 Depth=1
	s_or_b64 exec, exec, s[8:9]
	v_add_co_u32_e32 v47, vcc, 0xffffff05, v43
	v_addc_co_u32_e32 v48, vcc, -1, v44, vcc
	v_cmp_gt_i64_e32 vcc, s[12:13], v[47:48]
	s_and_b64 s[34:35], s[2:3], vcc
	s_and_saveexec_b64 s[8:9], s[34:35]
	s_cbranch_execz .LBB105_18
; %bb.17:                               ;   in Loop: Header=BB105_3 Depth=1
	v_add_co_u32_e32 v47, vcc, v24, v0
	v_addc_co_u32_e32 v48, vcc, v25, v1, vcc
	global_load_ushort v7, v[47:48], off
	v_add_co_u32_e32 v47, vcc, v26, v0
	v_addc_co_u32_e32 v48, vcc, v27, v1, vcc
	global_load_ushort v47, v[47:48], off
	s_waitcnt vmcnt(1)
	v_lshlrev_b32_e32 v7, 16, v7
	s_waitcnt vmcnt(0)
	v_lshlrev_b32_e32 v47, 16, v47
	buffer_store_dword v47, off, s[36:39], 0 offset:228 ; 4-byte Folded Spill
.LBB105_18:                             ;   in Loop: Header=BB105_3 Depth=1
	s_or_b64 exec, exec, s[8:9]
	v_add_co_u32_e32 v47, vcc, 0xffffff06, v43
	v_addc_co_u32_e32 v48, vcc, -1, v44, vcc
	v_cmp_gt_i64_e32 vcc, s[12:13], v[47:48]
	v_mov_b32_e32 v47, 0
	s_and_b64 s[34:35], s[2:3], vcc
	v_mov_b32_e32 v51, 0
	buffer_store_dword v47, off, s[36:39], 0 offset:232 ; 4-byte Folded Spill
	s_and_saveexec_b64 s[8:9], s[34:35]
	s_cbranch_execz .LBB105_20
; %bb.19:                               ;   in Loop: Header=BB105_3 Depth=1
	v_add_co_u32_e32 v47, vcc, v20, v0
	v_addc_co_u32_e32 v48, vcc, v21, v1, vcc
	global_load_ushort v8, v[47:48], off
	v_add_co_u32_e32 v47, vcc, v22, v0
	v_addc_co_u32_e32 v48, vcc, v23, v1, vcc
	global_load_ushort v47, v[47:48], off
	s_waitcnt vmcnt(1)
	v_lshlrev_b32_e32 v8, 16, v8
	s_waitcnt vmcnt(0)
	v_lshlrev_b32_e32 v51, 16, v47
.LBB105_20:                             ;   in Loop: Header=BB105_3 Depth=1
	s_or_b64 exec, exec, s[8:9]
	v_add_co_u32_e32 v47, vcc, 0xffffff07, v43
	v_addc_co_u32_e32 v48, vcc, -1, v44, vcc
	v_cmp_gt_i64_e32 vcc, s[12:13], v[47:48]
	s_and_b64 s[34:35], s[2:3], vcc
	s_and_saveexec_b64 s[8:9], s[34:35]
	s_cbranch_execz .LBB105_22
; %bb.21:                               ;   in Loop: Header=BB105_3 Depth=1
	buffer_load_dword v9, off, s[36:39], 0 offset:212 ; 4-byte Folded Reload
	s_waitcnt vmcnt(0)
	v_add_co_u32_e32 v47, vcc, v9, v0
	v_addc_co_u32_e32 v48, vcc, v62, v1, vcc
	global_load_ushort v9, v[47:48], off
	v_add_co_u32_e32 v47, vcc, v63, v0
	v_addc_co_u32_e32 v48, vcc, v19, v1, vcc
	global_load_ushort v47, v[47:48], off
	s_waitcnt vmcnt(1)
	v_lshlrev_b32_e32 v9, 16, v9
	s_waitcnt vmcnt(0)
	v_lshlrev_b32_e32 v47, 16, v47
	buffer_store_dword v47, off, s[36:39], 0 offset:232 ; 4-byte Folded Spill
.LBB105_22:                             ;   in Loop: Header=BB105_3 Depth=1
	s_or_b64 exec, exec, s[8:9]
	v_add_co_u32_e32 v47, vcc, 0xffffff08, v43
	v_addc_co_u32_e32 v48, vcc, -1, v44, vcc
	v_cmp_gt_i64_e32 vcc, s[12:13], v[47:48]
	v_mov_b32_e32 v48, 0
	s_and_b64 s[34:35], s[2:3], vcc
	v_mov_b32_e32 v49, 0
	s_and_saveexec_b64 s[8:9], s[34:35]
	s_cbranch_execz .LBB105_24
; %bb.23:                               ;   in Loop: Header=BB105_3 Depth=1
	buffer_load_dword v10, off, s[36:39], 0 offset:196 ; 4-byte Folded Reload
	buffer_load_dword v47, off, s[36:39], 0 offset:204 ; 4-byte Folded Reload
	s_waitcnt vmcnt(1)
	v_add_co_u32_e32 v52, vcc, v10, v0
	buffer_load_dword v10, off, s[36:39], 0 offset:200 ; 4-byte Folded Reload
	s_waitcnt vmcnt(0)
	v_addc_co_u32_e32 v53, vcc, v10, v1, vcc
	global_load_ushort v10, v[52:53], off
	v_add_co_u32_e32 v52, vcc, v47, v0
	buffer_load_dword v47, off, s[36:39], 0 offset:208 ; 4-byte Folded Reload
	s_waitcnt vmcnt(1)
	v_lshlrev_b32_e32 v10, 16, v10
	s_waitcnt vmcnt(0)
	v_addc_co_u32_e32 v53, vcc, v47, v1, vcc
	global_load_ushort v47, v[52:53], off
	s_waitcnt vmcnt(0)
	v_lshlrev_b32_e32 v49, 16, v47
.LBB105_24:                             ;   in Loop: Header=BB105_3 Depth=1
	s_or_b64 exec, exec, s[8:9]
	v_add_co_u32_e32 v52, vcc, 0xffffff09, v43
	v_addc_co_u32_e32 v53, vcc, -1, v44, vcc
	v_cmp_gt_i64_e32 vcc, s[12:13], v[52:53]
	s_and_b64 s[34:35], s[2:3], vcc
	s_and_saveexec_b64 s[8:9], s[34:35]
	s_cbranch_execz .LBB105_26
; %bb.25:                               ;   in Loop: Header=BB105_3 Depth=1
	buffer_load_dword v11, off, s[36:39], 0 offset:180 ; 4-byte Folded Reload
	s_waitcnt vmcnt(0)
	v_add_co_u32_e32 v47, vcc, v11, v0
	buffer_load_dword v11, off, s[36:39], 0 offset:184 ; 4-byte Folded Reload
	s_waitcnt vmcnt(0)
	v_addc_co_u32_e32 v48, vcc, v11, v1, vcc
	global_load_ushort v11, v[47:48], off
	s_waitcnt vmcnt(0)
	v_lshlrev_b32_e32 v11, 16, v11
	buffer_load_dword v47, off, s[36:39], 0 offset:188 ; 4-byte Folded Reload
	buffer_load_dword v48, off, s[36:39], 0 offset:192 ; 4-byte Folded Reload
	s_waitcnt vmcnt(1)
	v_add_co_u32_e32 v47, vcc, v47, v0
	s_waitcnt vmcnt(0)
	v_addc_co_u32_e32 v48, vcc, v48, v1, vcc
	global_load_ushort v47, v[47:48], off
	s_waitcnt vmcnt(0)
	v_lshlrev_b32_e32 v48, 16, v47
.LBB105_26:                             ;   in Loop: Header=BB105_3 Depth=1
	s_or_b64 exec, exec, s[8:9]
	v_add_co_u32_e32 v52, vcc, 0xffffff0a, v43
	v_addc_co_u32_e32 v53, vcc, -1, v44, vcc
	v_cmp_gt_i64_e32 vcc, s[12:13], v[52:53]
	v_mov_b32_e32 v52, 0
	s_and_b64 s[34:35], s[2:3], vcc
	v_mov_b32_e32 v54, 0
	s_and_saveexec_b64 s[8:9], s[34:35]
	s_cbranch_execz .LBB105_28
; %bb.27:                               ;   in Loop: Header=BB105_3 Depth=1
	buffer_load_dword v12, off, s[36:39], 0 offset:164 ; 4-byte Folded Reload
	buffer_load_dword v47, off, s[36:39], 0 offset:172 ; 4-byte Folded Reload
	s_waitcnt vmcnt(1)
	v_add_co_u32_e32 v53, vcc, v12, v0
	buffer_load_dword v12, off, s[36:39], 0 offset:168 ; 4-byte Folded Reload
	s_waitcnt vmcnt(0)
	v_addc_co_u32_e32 v54, vcc, v12, v1, vcc
	global_load_ushort v12, v[53:54], off
	v_add_co_u32_e32 v53, vcc, v47, v0
	buffer_load_dword v47, off, s[36:39], 0 offset:176 ; 4-byte Folded Reload
	s_waitcnt vmcnt(1)
	v_lshlrev_b32_e32 v12, 16, v12
	s_waitcnt vmcnt(0)
	v_addc_co_u32_e32 v54, vcc, v47, v1, vcc
	global_load_ushort v47, v[53:54], off
	s_waitcnt vmcnt(0)
	v_lshlrev_b32_e32 v54, 16, v47
.LBB105_28:                             ;   in Loop: Header=BB105_3 Depth=1
	s_or_b64 exec, exec, s[8:9]
	v_add_co_u32_e32 v55, vcc, 0xffffff0b, v43
	v_addc_co_u32_e32 v56, vcc, -1, v44, vcc
	v_cmp_gt_i64_e32 vcc, s[12:13], v[55:56]
	s_and_b64 s[34:35], s[2:3], vcc
	s_and_saveexec_b64 s[8:9], s[34:35]
	s_cbranch_execz .LBB105_30
; %bb.29:                               ;   in Loop: Header=BB105_3 Depth=1
	buffer_load_dword v13, off, s[36:39], 0 offset:148 ; 4-byte Folded Reload
	buffer_load_dword v47, off, s[36:39], 0 offset:156 ; 4-byte Folded Reload
	s_waitcnt vmcnt(1)
	v_add_co_u32_e32 v52, vcc, v13, v0
	buffer_load_dword v13, off, s[36:39], 0 offset:152 ; 4-byte Folded Reload
	s_waitcnt vmcnt(0)
	v_addc_co_u32_e32 v53, vcc, v13, v1, vcc
	global_load_ushort v13, v[52:53], off
	v_add_co_u32_e32 v52, vcc, v47, v0
	buffer_load_dword v47, off, s[36:39], 0 offset:160 ; 4-byte Folded Reload
	s_waitcnt vmcnt(1)
	v_lshlrev_b32_e32 v13, 16, v13
	s_waitcnt vmcnt(0)
	v_addc_co_u32_e32 v53, vcc, v47, v1, vcc
	global_load_ushort v47, v[52:53], off
	s_waitcnt vmcnt(0)
	v_lshlrev_b32_e32 v52, 16, v47
.LBB105_30:                             ;   in Loop: Header=BB105_3 Depth=1
	s_or_b64 exec, exec, s[8:9]
	v_add_co_u32_e32 v55, vcc, 0xffffff0c, v43
	v_addc_co_u32_e32 v56, vcc, -1, v44, vcc
	v_cmp_gt_i64_e32 vcc, s[12:13], v[55:56]
	v_mov_b32_e32 v53, 0
	s_and_b64 s[34:35], s[2:3], vcc
	v_mov_b32_e32 v56, 0
	s_and_saveexec_b64 s[8:9], s[34:35]
	s_cbranch_execz .LBB105_32
; %bb.31:                               ;   in Loop: Header=BB105_3 Depth=1
	buffer_load_dword v14, off, s[36:39], 0 offset:132 ; 4-byte Folded Reload
	buffer_load_dword v47, off, s[36:39], 0 offset:140 ; 4-byte Folded Reload
	s_waitcnt vmcnt(1)
	v_add_co_u32_e32 v55, vcc, v14, v0
	buffer_load_dword v14, off, s[36:39], 0 offset:136 ; 4-byte Folded Reload
	s_waitcnt vmcnt(0)
	v_addc_co_u32_e32 v56, vcc, v14, v1, vcc
	global_load_ushort v14, v[55:56], off
	v_add_co_u32_e32 v55, vcc, v47, v0
	buffer_load_dword v47, off, s[36:39], 0 offset:144 ; 4-byte Folded Reload
	s_waitcnt vmcnt(1)
	v_lshlrev_b32_e32 v14, 16, v14
	s_waitcnt vmcnt(0)
	v_addc_co_u32_e32 v56, vcc, v47, v1, vcc
	global_load_ushort v47, v[55:56], off
	s_waitcnt vmcnt(0)
	v_lshlrev_b32_e32 v56, 16, v47
.LBB105_32:                             ;   in Loop: Header=BB105_3 Depth=1
	s_or_b64 exec, exec, s[8:9]
	v_add_co_u32_e32 v57, vcc, 0xffffff0d, v43
	v_addc_co_u32_e32 v58, vcc, -1, v44, vcc
	v_cmp_gt_i64_e32 vcc, s[12:13], v[57:58]
	s_and_b64 s[34:35], s[2:3], vcc
	s_and_saveexec_b64 s[8:9], s[34:35]
	s_cbranch_execz .LBB105_34
; %bb.33:                               ;   in Loop: Header=BB105_3 Depth=1
	buffer_load_dword v15, off, s[36:39], 0 offset:112 ; 4-byte Folded Reload
	buffer_load_dword v47, off, s[36:39], 0 offset:124 ; 4-byte Folded Reload
	s_waitcnt vmcnt(1)
	v_add_co_u32_e32 v57, vcc, v15, v0
	buffer_load_dword v15, off, s[36:39], 0 offset:120 ; 4-byte Folded Reload
	s_waitcnt vmcnt(0)
	v_addc_co_u32_e32 v58, vcc, v15, v1, vcc
	global_load_ushort v15, v[57:58], off
	v_add_co_u32_e32 v57, vcc, v47, v0
	buffer_load_dword v47, off, s[36:39], 0 offset:128 ; 4-byte Folded Reload
	s_waitcnt vmcnt(1)
	v_lshlrev_b32_e32 v15, 16, v15
	s_waitcnt vmcnt(0)
	v_addc_co_u32_e32 v58, vcc, v47, v1, vcc
	global_load_ushort v47, v[57:58], off
	s_waitcnt vmcnt(0)
	v_lshlrev_b32_e32 v53, 16, v47
.LBB105_34:                             ;   in Loop: Header=BB105_3 Depth=1
	;; [unrolled: 54-line block ×3, first 2 shown]
	s_or_b64 exec, exec, s[8:9]
	v_add_co_u32_e32 v58, vcc, 0xffffff10, v43
	v_addc_co_u32_e32 v59, vcc, -1, v44, vcc
	v_cmp_gt_i64_e32 vcc, s[12:13], v[58:59]
	v_mov_b32_e32 v47, 0
	s_and_b64 s[34:35], s[2:3], vcc
	s_and_saveexec_b64 s[8:9], s[34:35]
	s_cbranch_execz .LBB105_40
; %bb.39:                               ;   in Loop: Header=BB105_3 Depth=1
	buffer_load_dword v18, off, s[36:39], 0 offset:16 ; 4-byte Folded Reload
	buffer_load_dword v47, off, s[36:39], 0 offset:32 ; 4-byte Folded Reload
	s_waitcnt vmcnt(1)
	v_add_co_u32_e32 v58, vcc, v18, v0
	buffer_load_dword v18, off, s[36:39], 0 offset:24 ; 4-byte Folded Reload
	s_waitcnt vmcnt(0)
	v_addc_co_u32_e32 v59, vcc, v18, v1, vcc
	global_load_ushort v18, v[58:59], off
	v_add_co_u32_e32 v58, vcc, v47, v0
	buffer_load_dword v47, off, s[36:39], 0 offset:40 ; 4-byte Folded Reload
	s_waitcnt vmcnt(1)
	v_lshlrev_b32_e32 v18, 16, v18
	s_waitcnt vmcnt(0)
	v_addc_co_u32_e32 v59, vcc, v47, v1, vcc
	global_load_ushort v47, v[58:59], off
	s_waitcnt vmcnt(0)
	v_lshlrev_b32_e32 v47, 16, v47
.LBB105_40:                             ;   in Loop: Header=BB105_3 Depth=1
	s_or_b64 exec, exec, s[8:9]
	s_waitcnt vmcnt(4)
	ds_bpermute_b32 v59, v41, v46
	s_waitcnt vmcnt(3)
	ds_bpermute_b32 v58, v41, v45
	s_mov_b64 s[8:9], 0
	buffer_load_dword v60, off, s[36:39], 0 offset:224 ; 4-byte Folded Reload
	s_waitcnt lgkmcnt(1)
	v_sub_f32_e32 v36, v36, v59
	v_mul_f32_e32 v36, v3, v36
	s_waitcnt lgkmcnt(0)
	v_fma_f32 v36, v36, v58, v42
	buffer_load_dword v58, off, s[36:39], 0 offset:220 ; 4-byte Folded Reload
	ds_bpermute_b32 v59, v41, v46 offset:4
	s_waitcnt vmcnt(1) lgkmcnt(0)
	v_sub_f32_e32 v59, v60, v59
	v_mul_f32_e32 v59, v4, v59
	s_waitcnt vmcnt(0)
	v_add_f32_e32 v3, v58, v3
	ds_bpermute_b32 v58, v41, v45 offset:4
	v_add_f32_e32 v3, v4, v3
	v_add_f32_e32 v3, v5, v3
	v_add_f32_e32 v3, v6, v3
	ds_bpermute_b32 v4, v41, v45 offset:8
	s_waitcnt lgkmcnt(1)
	v_fmac_f32_e32 v36, v59, v58
	ds_bpermute_b32 v58, v41, v46 offset:8
	v_add_f32_e32 v3, v7, v3
	v_add_f32_e32 v3, v8, v3
	;; [unrolled: 1-line block ×4, first 2 shown]
	s_waitcnt lgkmcnt(0)
	v_sub_f32_e32 v58, v61, v58
	v_mul_f32_e32 v58, v5, v58
	ds_bpermute_b32 v5, v41, v46 offset:12
	v_fmac_f32_e32 v36, v58, v4
	ds_bpermute_b32 v4, v41, v45 offset:12
	v_add_f32_e32 v3, v11, v3
	v_add_f32_e32 v3, v12, v3
	s_waitcnt lgkmcnt(1)
	v_sub_f32_e32 v5, v50, v5
	v_mul_f32_e32 v5, v6, v5
	buffer_load_dword v6, off, s[36:39], 0 offset:228 ; 4-byte Folded Reload
	s_waitcnt lgkmcnt(0)
	v_fmac_f32_e32 v36, v5, v4
	ds_bpermute_b32 v5, v41, v46 offset:16
	ds_bpermute_b32 v4, v41, v45 offset:16
	v_add_f32_e32 v3, v13, v3
	v_add_f32_e32 v3, v14, v3
	;; [unrolled: 1-line block ×5, first 2 shown]
	s_waitcnt vmcnt(0) lgkmcnt(1)
	v_sub_f32_e32 v5, v6, v5
	buffer_load_dword v6, off, s[36:39], 0 offset:232 ; 4-byte Folded Reload
	v_mul_f32_e32 v5, v7, v5
	s_waitcnt lgkmcnt(0)
	v_fmac_f32_e32 v36, v5, v4
	ds_bpermute_b32 v5, v41, v46 offset:20
	ds_bpermute_b32 v4, v41, v45 offset:20
	s_waitcnt lgkmcnt(1)
	v_sub_f32_e32 v5, v51, v5
	v_mul_f32_e32 v5, v8, v5
	s_waitcnt lgkmcnt(0)
	v_fmac_f32_e32 v36, v5, v4
	ds_bpermute_b32 v5, v41, v46 offset:24
	ds_bpermute_b32 v4, v41, v45 offset:24
	s_waitcnt vmcnt(0) lgkmcnt(1)
	v_sub_f32_e32 v5, v6, v5
	v_mul_f32_e32 v5, v9, v5
	s_waitcnt lgkmcnt(0)
	v_fmac_f32_e32 v36, v5, v4
	ds_bpermute_b32 v5, v41, v46 offset:28
	ds_bpermute_b32 v4, v41, v45 offset:28
	s_waitcnt lgkmcnt(1)
	v_sub_f32_e32 v5, v49, v5
	v_mul_f32_e32 v5, v10, v5
	s_waitcnt lgkmcnt(0)
	v_fmac_f32_e32 v36, v5, v4
	ds_bpermute_b32 v5, v41, v46 offset:32
	ds_bpermute_b32 v4, v41, v45 offset:32
	s_waitcnt lgkmcnt(1)
	v_sub_f32_e32 v5, v48, v5
	v_mul_f32_e32 v5, v11, v5
	s_waitcnt lgkmcnt(0)
	v_fmac_f32_e32 v36, v5, v4
	ds_bpermute_b32 v5, v41, v46 offset:36
	ds_bpermute_b32 v4, v41, v45 offset:36
	;; [unrolled: 1-line block ×3, first 2 shown]
	s_waitcnt lgkmcnt(2)
	v_sub_f32_e32 v5, v54, v5
	v_mul_f32_e32 v5, v12, v5
	s_waitcnt lgkmcnt(1)
	v_fmac_f32_e32 v36, v5, v4
	ds_bpermute_b32 v5, v41, v46 offset:40
	ds_bpermute_b32 v4, v41, v45 offset:40
	s_waitcnt lgkmcnt(1)
	v_sub_f32_e32 v5, v52, v5
	v_mul_f32_e32 v5, v13, v5
	s_waitcnt lgkmcnt(0)
	v_fmac_f32_e32 v36, v5, v4
	ds_bpermute_b32 v5, v41, v46 offset:44
	ds_bpermute_b32 v4, v41, v45 offset:44
	;; [unrolled: 7-line block ×5, first 2 shown]
	s_waitcnt lgkmcnt(1)
	v_sub_f32_e32 v5, v55, v5
	v_mul_f32_e32 v5, v17, v5
	s_waitcnt lgkmcnt(0)
	v_fmac_f32_e32 v36, v5, v4
	ds_bpermute_b32 v4, v41, v46 offset:60
.LBB105_41:                             ;   in Loop: Header=BB105_3 Depth=1
	s_and_b64 vcc, exec, s[8:9]
	s_cbranch_vccz .LBB105_77
; %bb.42:                               ;   in Loop: Header=BB105_3 Depth=1
	s_load_dword s8, s[24:25], 0x0
	v_mov_b32_e32 v46, 0
	v_mov_b32_e32 v36, 0
	;; [unrolled: 1-line block ×3, first 2 shown]
	s_waitcnt lgkmcnt(0)
	s_cmp_lt_u32 s6, s8
	s_cselect_b32 s8, 12, 18
	s_add_u32 s8, s24, s8
	s_addc_u32 s9, s25, 0
	global_load_ushort v3, v2, s[8:9]
	buffer_load_dword v4, off, s[36:39], 0 offset:364 ; 4-byte Folded Reload
	buffer_load_dword v5, off, s[36:39], 0 offset:216 ; 4-byte Folded Reload
	s_waitcnt vmcnt(0)
	v_mad_u32_u24 v3, v5, v3, v4
	v_and_b32_e32 v3, 63, v3
	v_cmp_gt_u32_e32 vcc, 16, v3
	s_and_saveexec_b64 s[8:9], vcc
	s_cbranch_execz .LBB105_46
; %bb.43:                               ;   in Loop: Header=BB105_3 Depth=1
	v_add_co_u32_e32 v3, vcc, v43, v3
	v_addc_co_u32_e32 v4, vcc, 0, v44, vcc
	v_add_co_u32_e32 v3, vcc, 0xffffff01, v3
	v_addc_co_u32_e32 v4, vcc, -1, v4, vcc
	v_cmp_gt_i64_e32 vcc, s[12:13], v[3:4]
	v_mov_b32_e32 v45, 0
	v_mov_b32_e32 v36, 0
	s_and_saveexec_b64 s[34:35], vcc
	s_cbranch_execz .LBB105_45
; %bb.44:                               ;   in Loop: Header=BB105_3 Depth=1
	v_lshlrev_b64 v[3:4], 2, v[3:4]
	v_mov_b32_e32 v6, s23
	v_add_co_u32_e32 v5, vcc, s22, v3
	v_addc_co_u32_e32 v6, vcc, v6, v4, vcc
	v_mov_b32_e32 v7, s21
	v_add_co_u32_e32 v3, vcc, s20, v3
	v_addc_co_u32_e32 v4, vcc, v7, v4, vcc
	global_load_dword v45, v[3:4], off
	global_load_dword v36, v[5:6], off
.LBB105_45:                             ;   in Loop: Header=BB105_3 Depth=1
	s_or_b64 exec, exec, s[34:35]
.LBB105_46:                             ;   in Loop: Header=BB105_3 Depth=1
	s_or_b64 exec, exec, s[8:9]
	v_mov_b32_e32 v3, v2
	v_mov_b32_e32 v4, v2
	;; [unrolled: 1-line block ×31, first 2 shown]
	s_and_saveexec_b64 s[8:9], s[2:3]
	s_cbranch_execz .LBB105_48
; %bb.47:                               ;   in Loop: Header=BB105_3 Depth=1
	buffer_load_dword v3, off, s[36:39], 0  ; 4-byte Folded Reload
	buffer_load_dword v4, off, s[36:39], 0 offset:4 ; 4-byte Folded Reload
	v_mov_b32_e32 v5, v2
	v_mov_b32_e32 v6, v2
	;; [unrolled: 1-line block ×14, first 2 shown]
	s_waitcnt vmcnt(1)
	v_add_co_u32_e32 v3, vcc, v3, v0
	s_waitcnt vmcnt(0)
	v_addc_co_u32_e32 v4, vcc, v4, v1, vcc
	global_load_ushort v43, v[3:4], off
	s_nop 0
	buffer_load_dword v3, off, s[36:39], 0 offset:8 ; 4-byte Folded Reload
	buffer_load_dword v4, off, s[36:39], 0 offset:12 ; 4-byte Folded Reload
	s_waitcnt vmcnt(1)
	v_add_co_u32_e32 v3, vcc, v3, v0
	s_waitcnt vmcnt(0)
	v_addc_co_u32_e32 v4, vcc, v4, v1, vcc
	global_load_ushort v44, v[3:4], off
	v_mov_b32_e32 v4, v2
	v_lshlrev_b32_e32 v3, 16, v43
	s_waitcnt vmcnt(0)
	v_lshlrev_b32_e32 v46, 16, v44
.LBB105_48:                             ;   in Loop: Header=BB105_3 Depth=1
	s_or_b64 exec, exec, s[8:9]
	v_mov_b32_e32 v52, 0
	v_mov_b32_e32 v59, 0
	s_and_saveexec_b64 s[8:9], s[2:3]
	s_cbranch_execz .LBB105_50
; %bb.49:                               ;   in Loop: Header=BB105_3 Depth=1
	v_add_co_u32_e32 v43, vcc, v37, v0
	v_addc_co_u32_e32 v44, vcc, v38, v1, vcc
	global_load_ushort v4, v[43:44], off
	v_add_co_u32_e32 v43, vcc, v39, v0
	v_addc_co_u32_e32 v44, vcc, v40, v1, vcc
	global_load_ushort v43, v[43:44], off
	s_waitcnt vmcnt(1)
	v_lshlrev_b32_e32 v4, 16, v4
	s_waitcnt vmcnt(0)
	v_lshlrev_b32_e32 v59, 16, v43
.LBB105_50:                             ;   in Loop: Header=BB105_3 Depth=1
	s_or_b64 exec, exec, s[8:9]
	s_and_saveexec_b64 s[8:9], s[2:3]
	s_cbranch_execz .LBB105_52
; %bb.51:                               ;   in Loop: Header=BB105_3 Depth=1
	v_add_co_u32_e32 v43, vcc, v32, v0
	v_addc_co_u32_e32 v44, vcc, v33, v1, vcc
	global_load_ushort v5, v[43:44], off
	v_add_co_u32_e32 v43, vcc, v34, v0
	v_addc_co_u32_e32 v44, vcc, v35, v1, vcc
	global_load_ushort v43, v[43:44], off
	s_waitcnt vmcnt(1)
	v_lshlrev_b32_e32 v5, 16, v5
	s_waitcnt vmcnt(0)
	v_lshlrev_b32_e32 v52, 16, v43
.LBB105_52:                             ;   in Loop: Header=BB105_3 Depth=1
	s_or_b64 exec, exec, s[8:9]
	v_mov_b32_e32 v51, 0
	v_mov_b32_e32 v58, 0
	s_and_saveexec_b64 s[8:9], s[2:3]
	s_cbranch_execz .LBB105_54
; %bb.53:                               ;   in Loop: Header=BB105_3 Depth=1
	v_add_co_u32_e32 v43, vcc, v28, v0
	v_addc_co_u32_e32 v44, vcc, v29, v1, vcc
	global_load_ushort v6, v[43:44], off
	v_add_co_u32_e32 v43, vcc, v30, v0
	v_addc_co_u32_e32 v44, vcc, v31, v1, vcc
	global_load_ushort v43, v[43:44], off
	s_waitcnt vmcnt(1)
	v_lshlrev_b32_e32 v6, 16, v6
	s_waitcnt vmcnt(0)
	v_lshlrev_b32_e32 v58, 16, v43
.LBB105_54:                             ;   in Loop: Header=BB105_3 Depth=1
	s_or_b64 exec, exec, s[8:9]
	s_and_saveexec_b64 s[8:9], s[2:3]
	s_cbranch_execz .LBB105_56
; %bb.55:                               ;   in Loop: Header=BB105_3 Depth=1
	v_add_co_u32_e32 v43, vcc, v24, v0
	v_addc_co_u32_e32 v44, vcc, v25, v1, vcc
	global_load_ushort v7, v[43:44], off
	v_add_co_u32_e32 v43, vcc, v26, v0
	v_addc_co_u32_e32 v44, vcc, v27, v1, vcc
	global_load_ushort v43, v[43:44], off
	s_waitcnt vmcnt(1)
	v_lshlrev_b32_e32 v7, 16, v7
	s_waitcnt vmcnt(0)
	v_lshlrev_b32_e32 v51, 16, v43
.LBB105_56:                             ;   in Loop: Header=BB105_3 Depth=1
	s_or_b64 exec, exec, s[8:9]
	v_mov_b32_e32 v50, 0
	v_mov_b32_e32 v57, 0
	s_and_saveexec_b64 s[8:9], s[2:3]
	s_cbranch_execz .LBB105_58
; %bb.57:                               ;   in Loop: Header=BB105_3 Depth=1
	v_add_co_u32_e32 v43, vcc, v20, v0
	v_addc_co_u32_e32 v44, vcc, v21, v1, vcc
	global_load_ushort v8, v[43:44], off
	v_add_co_u32_e32 v43, vcc, v22, v0
	v_addc_co_u32_e32 v44, vcc, v23, v1, vcc
	global_load_ushort v43, v[43:44], off
	s_waitcnt vmcnt(1)
	v_lshlrev_b32_e32 v8, 16, v8
	s_waitcnt vmcnt(0)
	v_lshlrev_b32_e32 v57, 16, v43
.LBB105_58:                             ;   in Loop: Header=BB105_3 Depth=1
	s_or_b64 exec, exec, s[8:9]
	s_and_saveexec_b64 s[8:9], s[2:3]
	s_cbranch_execz .LBB105_60
; %bb.59:                               ;   in Loop: Header=BB105_3 Depth=1
	buffer_load_dword v9, off, s[36:39], 0 offset:212 ; 4-byte Folded Reload
	s_waitcnt vmcnt(0)
	v_add_co_u32_e32 v43, vcc, v9, v0
	v_addc_co_u32_e32 v44, vcc, v62, v1, vcc
	global_load_ushort v9, v[43:44], off
	v_add_co_u32_e32 v43, vcc, v63, v0
	v_addc_co_u32_e32 v44, vcc, v19, v1, vcc
	global_load_ushort v43, v[43:44], off
	s_waitcnt vmcnt(1)
	v_lshlrev_b32_e32 v9, 16, v9
	s_waitcnt vmcnt(0)
	v_lshlrev_b32_e32 v50, 16, v43
.LBB105_60:                             ;   in Loop: Header=BB105_3 Depth=1
	s_or_b64 exec, exec, s[8:9]
	v_mov_b32_e32 v49, 0
	v_mov_b32_e32 v56, 0
	s_and_saveexec_b64 s[8:9], s[2:3]
	s_cbranch_execz .LBB105_62
; %bb.61:                               ;   in Loop: Header=BB105_3 Depth=1
	buffer_load_dword v10, off, s[36:39], 0 offset:196 ; 4-byte Folded Reload
	s_waitcnt vmcnt(0)
	v_add_co_u32_e32 v43, vcc, v10, v0
	buffer_load_dword v10, off, s[36:39], 0 offset:200 ; 4-byte Folded Reload
	s_waitcnt vmcnt(0)
	v_addc_co_u32_e32 v44, vcc, v10, v1, vcc
	global_load_ushort v10, v[43:44], off
	s_waitcnt vmcnt(0)
	v_lshlrev_b32_e32 v10, 16, v10
	buffer_load_dword v43, off, s[36:39], 0 offset:204 ; 4-byte Folded Reload
	buffer_load_dword v44, off, s[36:39], 0 offset:208 ; 4-byte Folded Reload
	s_waitcnt vmcnt(1)
	v_add_co_u32_e32 v43, vcc, v43, v0
	s_waitcnt vmcnt(0)
	v_addc_co_u32_e32 v44, vcc, v44, v1, vcc
	global_load_ushort v43, v[43:44], off
	s_waitcnt vmcnt(0)
	v_lshlrev_b32_e32 v56, 16, v43
.LBB105_62:                             ;   in Loop: Header=BB105_3 Depth=1
	s_or_b64 exec, exec, s[8:9]
	s_and_saveexec_b64 s[8:9], s[2:3]
	s_cbranch_execz .LBB105_64
; %bb.63:                               ;   in Loop: Header=BB105_3 Depth=1
	buffer_load_dword v11, off, s[36:39], 0 offset:180 ; 4-byte Folded Reload
	s_waitcnt vmcnt(0)
	v_add_co_u32_e32 v43, vcc, v11, v0
	buffer_load_dword v11, off, s[36:39], 0 offset:184 ; 4-byte Folded Reload
	s_waitcnt vmcnt(0)
	v_addc_co_u32_e32 v44, vcc, v11, v1, vcc
	global_load_ushort v11, v[43:44], off
	s_waitcnt vmcnt(0)
	v_lshlrev_b32_e32 v11, 16, v11
	buffer_load_dword v43, off, s[36:39], 0 offset:188 ; 4-byte Folded Reload
	buffer_load_dword v44, off, s[36:39], 0 offset:192 ; 4-byte Folded Reload
	s_waitcnt vmcnt(1)
	v_add_co_u32_e32 v43, vcc, v43, v0
	s_waitcnt vmcnt(0)
	v_addc_co_u32_e32 v44, vcc, v44, v1, vcc
	global_load_ushort v43, v[43:44], off
	s_waitcnt vmcnt(0)
	v_lshlrev_b32_e32 v49, 16, v43
.LBB105_64:                             ;   in Loop: Header=BB105_3 Depth=1
	s_or_b64 exec, exec, s[8:9]
	v_mov_b32_e32 v48, 0
	v_mov_b32_e32 v55, 0
	s_and_saveexec_b64 s[8:9], s[2:3]
	s_cbranch_execz .LBB105_66
; %bb.65:                               ;   in Loop: Header=BB105_3 Depth=1
	buffer_load_dword v12, off, s[36:39], 0 offset:164 ; 4-byte Folded Reload
	s_waitcnt vmcnt(0)
	v_add_co_u32_e32 v43, vcc, v12, v0
	buffer_load_dword v12, off, s[36:39], 0 offset:168 ; 4-byte Folded Reload
	s_waitcnt vmcnt(0)
	v_addc_co_u32_e32 v44, vcc, v12, v1, vcc
	global_load_ushort v12, v[43:44], off
	s_waitcnt vmcnt(0)
	v_lshlrev_b32_e32 v12, 16, v12
	buffer_load_dword v43, off, s[36:39], 0 offset:172 ; 4-byte Folded Reload
	buffer_load_dword v44, off, s[36:39], 0 offset:176 ; 4-byte Folded Reload
	s_waitcnt vmcnt(1)
	v_add_co_u32_e32 v43, vcc, v43, v0
	s_waitcnt vmcnt(0)
	v_addc_co_u32_e32 v44, vcc, v44, v1, vcc
	global_load_ushort v43, v[43:44], off
	s_waitcnt vmcnt(0)
	v_lshlrev_b32_e32 v55, 16, v43
.LBB105_66:                             ;   in Loop: Header=BB105_3 Depth=1
	s_or_b64 exec, exec, s[8:9]
	s_and_saveexec_b64 s[8:9], s[2:3]
	s_cbranch_execz .LBB105_68
; %bb.67:                               ;   in Loop: Header=BB105_3 Depth=1
	buffer_load_dword v13, off, s[36:39], 0 offset:148 ; 4-byte Folded Reload
	s_waitcnt vmcnt(0)
	v_add_co_u32_e32 v43, vcc, v13, v0
	buffer_load_dword v13, off, s[36:39], 0 offset:152 ; 4-byte Folded Reload
	s_waitcnt vmcnt(0)
	v_addc_co_u32_e32 v44, vcc, v13, v1, vcc
	global_load_ushort v13, v[43:44], off
	s_waitcnt vmcnt(0)
	v_lshlrev_b32_e32 v13, 16, v13
	buffer_load_dword v43, off, s[36:39], 0 offset:156 ; 4-byte Folded Reload
	buffer_load_dword v44, off, s[36:39], 0 offset:160 ; 4-byte Folded Reload
	s_waitcnt vmcnt(1)
	v_add_co_u32_e32 v43, vcc, v43, v0
	s_waitcnt vmcnt(0)
	v_addc_co_u32_e32 v44, vcc, v44, v1, vcc
	global_load_ushort v43, v[43:44], off
	s_waitcnt vmcnt(0)
	v_lshlrev_b32_e32 v48, 16, v43
.LBB105_68:                             ;   in Loop: Header=BB105_3 Depth=1
	s_or_b64 exec, exec, s[8:9]
	v_mov_b32_e32 v44, 0
	v_mov_b32_e32 v54, 0
	s_and_saveexec_b64 s[8:9], s[2:3]
	s_cbranch_execz .LBB105_70
; %bb.69:                               ;   in Loop: Header=BB105_3 Depth=1
	buffer_load_dword v14, off, s[36:39], 0 offset:132 ; 4-byte Folded Reload
	buffer_load_dword v43, off, s[36:39], 0 offset:140 ; 4-byte Folded Reload
	s_waitcnt vmcnt(1)
	v_add_co_u32_e32 v53, vcc, v14, v0
	buffer_load_dword v14, off, s[36:39], 0 offset:136 ; 4-byte Folded Reload
	s_waitcnt vmcnt(0)
	v_addc_co_u32_e32 v54, vcc, v14, v1, vcc
	global_load_ushort v14, v[53:54], off
	v_add_co_u32_e32 v53, vcc, v43, v0
	buffer_load_dword v43, off, s[36:39], 0 offset:144 ; 4-byte Folded Reload
	s_waitcnt vmcnt(1)
	v_lshlrev_b32_e32 v14, 16, v14
	s_waitcnt vmcnt(0)
	v_addc_co_u32_e32 v54, vcc, v43, v1, vcc
	global_load_ushort v43, v[53:54], off
	s_waitcnt vmcnt(0)
	v_lshlrev_b32_e32 v54, 16, v43
.LBB105_70:                             ;   in Loop: Header=BB105_3 Depth=1
	s_or_b64 exec, exec, s[8:9]
	s_and_saveexec_b64 s[8:9], s[2:3]
	s_cbranch_execz .LBB105_72
; %bb.71:                               ;   in Loop: Header=BB105_3 Depth=1
	buffer_load_dword v15, off, s[36:39], 0 offset:112 ; 4-byte Folded Reload
	s_waitcnt vmcnt(0)
	v_add_co_u32_e32 v43, vcc, v15, v0
	buffer_load_dword v15, off, s[36:39], 0 offset:120 ; 4-byte Folded Reload
	s_waitcnt vmcnt(0)
	v_addc_co_u32_e32 v44, vcc, v15, v1, vcc
	global_load_ushort v15, v[43:44], off
	s_waitcnt vmcnt(0)
	v_lshlrev_b32_e32 v15, 16, v15
	buffer_load_dword v43, off, s[36:39], 0 offset:124 ; 4-byte Folded Reload
	buffer_load_dword v44, off, s[36:39], 0 offset:128 ; 4-byte Folded Reload
	s_waitcnt vmcnt(1)
	v_add_co_u32_e32 v43, vcc, v43, v0
	s_waitcnt vmcnt(0)
	v_addc_co_u32_e32 v44, vcc, v44, v1, vcc
	global_load_ushort v43, v[43:44], off
	s_waitcnt vmcnt(0)
	v_lshlrev_b32_e32 v44, 16, v43
.LBB105_72:                             ;   in Loop: Header=BB105_3 Depth=1
	s_or_b64 exec, exec, s[8:9]
	v_mov_b32_e32 v43, 0
	v_mov_b32_e32 v53, 0
	s_and_saveexec_b64 s[8:9], s[2:3]
	s_cbranch_execnz .LBB105_79
; %bb.73:                               ;   in Loop: Header=BB105_3 Depth=1
	s_or_b64 exec, exec, s[8:9]
	s_and_saveexec_b64 s[8:9], s[2:3]
	s_cbranch_execnz .LBB105_80
.LBB105_74:                             ;   in Loop: Header=BB105_3 Depth=1
	s_or_b64 exec, exec, s[8:9]
	v_mov_b32_e32 v47, 0
	s_and_saveexec_b64 s[8:9], s[2:3]
	s_cbranch_execz .LBB105_76
.LBB105_75:                             ;   in Loop: Header=BB105_3 Depth=1
	buffer_load_dword v18, off, s[36:39], 0 offset:16 ; 4-byte Folded Reload
	buffer_load_dword v47, off, s[36:39], 0 offset:32 ; 4-byte Folded Reload
	s_waitcnt vmcnt(1)
	v_add_co_u32_e32 v60, vcc, v18, v0
	buffer_load_dword v18, off, s[36:39], 0 offset:24 ; 4-byte Folded Reload
	s_waitcnt vmcnt(0)
	v_addc_co_u32_e32 v61, vcc, v18, v1, vcc
	global_load_ushort v18, v[60:61], off
	v_add_co_u32_e32 v60, vcc, v47, v0
	buffer_load_dword v47, off, s[36:39], 0 offset:40 ; 4-byte Folded Reload
	s_waitcnt vmcnt(1)
	v_lshlrev_b32_e32 v18, 16, v18
	s_waitcnt vmcnt(0)
	v_addc_co_u32_e32 v61, vcc, v47, v1, vcc
	global_load_ushort v47, v[60:61], off
	s_waitcnt vmcnt(0)
	v_lshlrev_b32_e32 v47, 16, v47
.LBB105_76:                             ;   in Loop: Header=BB105_3 Depth=1
	s_or_b64 exec, exec, s[8:9]
	s_waitcnt vmcnt(1)
	ds_bpermute_b32 v61, v41, v45
	s_waitcnt vmcnt(0)
	ds_bpermute_b32 v60, v41, v36
	s_waitcnt lgkmcnt(1)
	v_sub_f32_e32 v46, v46, v61
	v_mul_f32_e32 v46, v3, v46
	s_waitcnt lgkmcnt(0)
	v_fmac_f32_e32 v42, v46, v60
	buffer_load_dword v46, off, s[36:39], 0 offset:220 ; 4-byte Folded Reload
	ds_bpermute_b32 v60, v41, v45 offset:4
	s_waitcnt lgkmcnt(0)
	v_sub_f32_e32 v59, v59, v60
	v_mul_f32_e32 v59, v4, v59
	s_waitcnt vmcnt(0)
	v_add_f32_e32 v3, v46, v3
	ds_bpermute_b32 v46, v41, v36 offset:4
	v_add_f32_e32 v3, v4, v3
	ds_bpermute_b32 v4, v41, v36 offset:8
	v_add_f32_e32 v3, v5, v3
	v_add_f32_e32 v3, v6, v3
	s_waitcnt lgkmcnt(1)
	v_fmac_f32_e32 v42, v59, v46
	ds_bpermute_b32 v46, v41, v45 offset:8
	v_add_f32_e32 v3, v7, v3
	v_add_f32_e32 v3, v8, v3
	;; [unrolled: 1-line block ×4, first 2 shown]
	s_waitcnt lgkmcnt(0)
	v_sub_f32_e32 v46, v52, v46
	v_mul_f32_e32 v46, v5, v46
	ds_bpermute_b32 v5, v41, v45 offset:12
	v_fmac_f32_e32 v42, v46, v4
	ds_bpermute_b32 v4, v41, v36 offset:12
	v_add_f32_e32 v3, v11, v3
	v_add_f32_e32 v3, v12, v3
	s_waitcnt lgkmcnt(1)
	v_sub_f32_e32 v5, v58, v5
	v_mul_f32_e32 v5, v6, v5
	s_waitcnt lgkmcnt(0)
	v_fmac_f32_e32 v42, v5, v4
	ds_bpermute_b32 v5, v41, v45 offset:16
	ds_bpermute_b32 v4, v41, v36 offset:16
	v_add_f32_e32 v3, v13, v3
	v_add_f32_e32 v3, v14, v3
	;; [unrolled: 1-line block ×3, first 2 shown]
	s_waitcnt lgkmcnt(1)
	v_sub_f32_e32 v5, v51, v5
	v_mul_f32_e32 v5, v7, v5
	s_waitcnt lgkmcnt(0)
	v_fmac_f32_e32 v42, v5, v4
	ds_bpermute_b32 v5, v41, v45 offset:20
	ds_bpermute_b32 v4, v41, v36 offset:20
	v_add_f32_e32 v3, v16, v3
	v_add_f32_e32 v3, v17, v3
	s_waitcnt lgkmcnt(1)
	v_sub_f32_e32 v5, v57, v5
	v_mul_f32_e32 v5, v8, v5
	s_waitcnt lgkmcnt(0)
	v_fmac_f32_e32 v42, v5, v4
	ds_bpermute_b32 v5, v41, v45 offset:24
	ds_bpermute_b32 v4, v41, v36 offset:24
	s_waitcnt lgkmcnt(1)
	v_sub_f32_e32 v5, v50, v5
	v_mul_f32_e32 v5, v9, v5
	s_waitcnt lgkmcnt(0)
	v_fmac_f32_e32 v42, v5, v4
	ds_bpermute_b32 v5, v41, v45 offset:28
	ds_bpermute_b32 v4, v41, v36 offset:28
	;; [unrolled: 7-line block ×6, first 2 shown]
	ds_bpermute_b32 v48, v41, v36 offset:60
	s_waitcnt lgkmcnt(2)
	v_sub_f32_e32 v5, v54, v5
	v_mul_f32_e32 v5, v14, v5
	s_waitcnt lgkmcnt(1)
	v_fmac_f32_e32 v42, v5, v4
	ds_bpermute_b32 v5, v41, v45 offset:48
	ds_bpermute_b32 v4, v41, v36 offset:48
	s_waitcnt lgkmcnt(1)
	v_sub_f32_e32 v5, v44, v5
	v_mul_f32_e32 v5, v15, v5
	s_waitcnt lgkmcnt(0)
	v_fmac_f32_e32 v42, v5, v4
	ds_bpermute_b32 v5, v41, v45 offset:52
	ds_bpermute_b32 v4, v41, v36 offset:52
	s_waitcnt lgkmcnt(1)
	v_sub_f32_e32 v5, v53, v5
	v_mul_f32_e32 v5, v16, v5
	s_waitcnt lgkmcnt(0)
	v_fmac_f32_e32 v42, v5, v4
	ds_bpermute_b32 v5, v41, v45 offset:56
	ds_bpermute_b32 v4, v41, v36 offset:56
	s_waitcnt lgkmcnt(1)
	v_sub_f32_e32 v5, v43, v5
	v_mul_f32_e32 v5, v17, v5
	s_waitcnt lgkmcnt(0)
	v_fmac_f32_e32 v42, v5, v4
	ds_bpermute_b32 v4, v41, v45 offset:60
	v_mov_b32_e32 v36, v42
.LBB105_77:                             ;   in Loop: Header=BB105_3 Depth=1
	s_waitcnt lgkmcnt(0)
	v_sub_f32_e32 v4, v47, v4
	v_add_f32_e32 v5, v3, v18
	buffer_load_dword v3, off, s[36:39], 0  ; 4-byte Folded Reload
	v_mul_f32_e32 v4, v18, v4
	v_fmac_f32_e32 v36, v4, v48
	buffer_load_dword v4, off, s[36:39], 0 offset:4 ; 4-byte Folded Reload
	s_add_u32 s30, s30, s7
	s_addc_u32 s31, s31, 0
	s_add_u32 s28, s28, s7
	s_addc_u32 s29, s29, 0
	s_waitcnt vmcnt(1)
	v_add_co_u32_e32 v3, vcc, s26, v3
	buffer_store_dword v3, off, s[36:39], 0 ; 4-byte Folded Spill
	v_mov_b32_e32 v3, s27
	s_waitcnt vmcnt(1)
	v_addc_co_u32_e32 v4, vcc, v4, v3, vcc
	buffer_store_dword v4, off, s[36:39], 0 offset:4 ; 4-byte Folded Spill
	buffer_load_dword v4, off, s[36:39], 0 offset:8 ; 4-byte Folded Reload
	s_waitcnt vmcnt(0)
	v_add_co_u32_e32 v4, vcc, s26, v4
	buffer_store_dword v4, off, s[36:39], 0 offset:8 ; 4-byte Folded Spill
	buffer_load_dword v4, off, s[36:39], 0 offset:12 ; 4-byte Folded Reload
	s_waitcnt vmcnt(0)
	v_addc_co_u32_e32 v4, vcc, v4, v3, vcc
	buffer_store_dword v4, off, s[36:39], 0 offset:12 ; 4-byte Folded Spill
	buffer_load_dword v4, off, s[36:39], 0 offset:16 ; 4-byte Folded Reload
	s_waitcnt vmcnt(0)
	v_add_co_u32_e32 v4, vcc, s26, v4
	buffer_store_dword v4, off, s[36:39], 0 offset:16 ; 4-byte Folded Spill
	buffer_load_dword v4, off, s[36:39], 0 offset:24 ; 4-byte Folded Reload
	;; [unrolled: 8-line block ×19, first 2 shown]
	s_waitcnt vmcnt(0)
	v_addc_co_u32_e32 v4, vcc, v4, v3, vcc
	buffer_store_dword v4, off, s[36:39], 0 offset:208 ; 4-byte Folded Spill
	buffer_load_dword v4, off, s[36:39], 0 offset:212 ; 4-byte Folded Reload
	s_waitcnt vmcnt(0)
	v_add_co_u32_e32 v4, vcc, s26, v4
	v_addc_co_u32_e32 v62, vcc, v62, v3, vcc
	v_add_co_u32_e32 v63, vcc, s26, v63
	v_addc_co_u32_e32 v19, vcc, v19, v3, vcc
	;; [unrolled: 2-line block ×11, first 2 shown]
	v_add_co_u32_e32 v39, vcc, s26, v39
	buffer_store_dword v4, off, s[36:39], 0 offset:212 ; 4-byte Folded Spill
	v_addc_co_u32_e32 v40, vcc, v40, v3, vcc
	v_mov_b32_e32 v3, s12
	v_mov_b32_e32 v4, s13
	v_cmp_lt_i64_e32 vcc, s[30:31], v[3:4]
	s_cbranch_vccz .LBB105_82
; %bb.78:                               ;   in Loop: Header=BB105_3 Depth=1
	buffer_store_dword v5, off, s[36:39], 0 offset:220 ; 4-byte Folded Spill
	v_mov_b32_e32 v42, v36
	s_branch .LBB105_3
.LBB105_79:                             ;   in Loop: Header=BB105_3 Depth=1
	buffer_load_dword v16, off, s[36:39], 0 offset:80 ; 4-byte Folded Reload
	buffer_load_dword v47, off, s[36:39], 0 offset:96 ; 4-byte Folded Reload
	s_waitcnt vmcnt(1)
	v_add_co_u32_e32 v60, vcc, v16, v0
	buffer_load_dword v16, off, s[36:39], 0 offset:88 ; 4-byte Folded Reload
	s_waitcnt vmcnt(0)
	v_addc_co_u32_e32 v61, vcc, v16, v1, vcc
	global_load_ushort v16, v[60:61], off
	v_add_co_u32_e32 v60, vcc, v47, v0
	buffer_load_dword v47, off, s[36:39], 0 offset:104 ; 4-byte Folded Reload
	s_waitcnt vmcnt(1)
	v_lshlrev_b32_e32 v16, 16, v16
	s_waitcnt vmcnt(0)
	v_addc_co_u32_e32 v61, vcc, v47, v1, vcc
	global_load_ushort v47, v[60:61], off
	s_waitcnt vmcnt(0)
	v_lshlrev_b32_e32 v53, 16, v47
	s_or_b64 exec, exec, s[8:9]
	s_and_saveexec_b64 s[8:9], s[2:3]
	s_cbranch_execz .LBB105_74
.LBB105_80:                             ;   in Loop: Header=BB105_3 Depth=1
	buffer_load_dword v17, off, s[36:39], 0 offset:48 ; 4-byte Folded Reload
	buffer_load_dword v43, off, s[36:39], 0 offset:64 ; 4-byte Folded Reload
	s_waitcnt vmcnt(1)
	v_add_co_u32_e32 v60, vcc, v17, v0
	buffer_load_dword v17, off, s[36:39], 0 offset:56 ; 4-byte Folded Reload
	s_waitcnt vmcnt(0)
	v_addc_co_u32_e32 v61, vcc, v17, v1, vcc
	global_load_ushort v17, v[60:61], off
	v_add_co_u32_e32 v60, vcc, v43, v0
	buffer_load_dword v43, off, s[36:39], 0 offset:72 ; 4-byte Folded Reload
	s_waitcnt vmcnt(1)
	v_lshlrev_b32_e32 v17, 16, v17
	s_waitcnt vmcnt(0)
	v_addc_co_u32_e32 v61, vcc, v43, v1, vcc
	global_load_ushort v43, v[60:61], off
	s_waitcnt vmcnt(0)
	v_lshlrev_b32_e32 v43, 16, v43
	s_or_b64 exec, exec, s[8:9]
	v_mov_b32_e32 v47, 0
	s_and_saveexec_b64 s[8:9], s[2:3]
	s_cbranch_execnz .LBB105_75
	s_branch .LBB105_76
.LBB105_81:
                                        ; implicit-def: $vgpr36
                                        ; implicit-def: $vgpr5
	s_branch .LBB105_84
.LBB105_82:
	buffer_load_dword v15, off, s[36:39], 0 offset:364 ; 4-byte Folded Reload
.LBB105_83:
	s_cbranch_execnz .LBB105_133
.LBB105_84:
	v_mov_b32_e32 v36, 0
	s_and_b64 vcc, exec, s[0:1]
	v_mov_b32_e32 v5, 0
	s_cbranch_vccnz .LBB105_133
; %bb.85:
	buffer_load_dword v5, off, s[36:39], 0 offset:216 ; 4-byte Folded Reload
	s_load_dword s7, s[4:5], 0x44
	s_add_u32 s2, s4, 64
	s_addc_u32 s3, s5, 0
	v_mov_b32_e32 v4, s17
	v_mov_b32_e32 v12, s15
	s_waitcnt lgkmcnt(0)
	s_lshl_b32 s7, s7, 8
	v_mov_b32_e32 v40, 0
	v_mov_b32_e32 v63, 0
	s_waitcnt vmcnt(0)
	v_lshlrev_b32_e32 v0, 4, v5
	v_add_co_u32_e32 v8, vcc, s10, v0
	v_addc_co_u32_e64 v9, s[0:1], 0, 0, vcc
	buffer_store_dword v0, off, s[36:39], 0 offset:424 ; 4-byte Folded Spill
	v_mul_lo_u32 v2, s15, v8
	v_mul_lo_u32 v3, s14, v9
	v_mad_u64_u32 v[0:1], s[0:1], s14, v8, 0
	s_mul_i32 s0, s15, s7
	s_mul_hi_u32 s1, s14, s7
	v_add3_u32 v1, v1, v3, v2
	v_lshlrev_b64 v[2:3], 1, v[0:1]
	s_add_i32 s1, s1, s0
	v_add_co_u32_e32 v6, vcc, s16, v2
	v_addc_co_u32_e32 v4, vcc, v4, v3, vcc
	s_mul_i32 s0, s14, s7
	buffer_store_dword v4, off, s[36:39], 0 offset:4 ; 4-byte Folded Spill
	s_lshl_b64 s[8:9], s[0:1], 1
	v_mov_b32_e32 v4, s19
	v_add_co_u32_e32 v2, vcc, s18, v2
	buffer_store_dword v2, off, s[36:39], 0 offset:8 ; 4-byte Folded Spill
	v_addc_co_u32_e32 v2, vcc, v4, v3, vcc
	s_add_u32 s24, s10, 0xff
	buffer_store_dword v2, off, s[36:39], 0 offset:12 ; 4-byte Folded Spill
	s_addc_u32 s25, 0, 0
	v_lshlrev_b32_e32 v2, 5, v5
	s_lshl_b64 s[0:1], s[10:11], 1
	v_mov_b32_e32 v3, s1
	v_add_co_u32_e32 v10, vcc, s0, v2
	v_addc_co_u32_e32 v11, vcc, 0, v3, vcc
	buffer_store_dword v6, off, s[36:39], 0 ; 4-byte Folded Spill
	v_add_co_u32_e32 v4, vcc, 2, v10
	v_mov_b32_e32 v2, s16
	v_mov_b32_e32 v6, s18
	v_addc_co_u32_e32 v5, vcc, 0, v11, vcc
	v_mov_b32_e32 v3, s17
	v_mov_b32_e32 v7, s19
	v_mad_u64_u32 v[16:17], s[0:1], s14, v4, v[2:3]
	v_mul_lo_u32 v13, s14, v5
	v_mul_lo_u32 v14, s15, v4
	v_mad_u64_u32 v[18:19], s[0:1], s14, v4, v[6:7]
	v_add_co_u32_e32 v4, vcc, s14, v0
	v_addc_co_u32_e32 v5, vcc, v1, v12, vcc
	v_add3_u32 v17, v14, v17, v13
	v_add3_u32 v19, v14, v19, v13
	v_add_co_u32_e32 v0, vcc, 4, v10
	buffer_store_dword v16, off, s[36:39], 0 offset:16 ; 4-byte Folded Spill
	s_nop 0
	buffer_store_dword v17, off, s[36:39], 0 offset:20 ; 4-byte Folded Spill
	buffer_store_dword v18, off, s[36:39], 0 offset:24 ; 4-byte Folded Spill
	s_nop 0
	buffer_store_dword v19, off, s[36:39], 0 offset:28 ; 4-byte Folded Spill
	v_addc_co_u32_e32 v1, vcc, 0, v11, vcc
	v_mul_lo_u32 v1, s14, v1
	v_mul_lo_u32 v12, s15, v0
	v_mad_u64_u32 v[16:17], s[0:1], s14, v0, v[2:3]
	v_mad_u64_u32 v[18:19], s[0:1], s14, v0, v[6:7]
	v_add_co_u32_e32 v0, vcc, 6, v10
	v_addc_co_u32_e32 v13, vcc, 0, v11, vcc
	v_mul_lo_u32 v13, s14, v13
	v_mul_lo_u32 v14, s15, v0
	v_mad_u64_u32 v[20:21], s[0:1], s14, v0, v[2:3]
	v_mad_u64_u32 v[22:23], s[0:1], s14, v0, v[6:7]
	v_add3_u32 v17, v12, v17, v1
	v_add3_u32 v19, v12, v19, v1
	v_add_co_u32_e32 v0, vcc, 8, v10
	buffer_store_dword v16, off, s[36:39], 0 offset:32 ; 4-byte Folded Spill
	s_nop 0
	buffer_store_dword v17, off, s[36:39], 0 offset:36 ; 4-byte Folded Spill
	buffer_store_dword v18, off, s[36:39], 0 offset:40 ; 4-byte Folded Spill
	s_nop 0
	buffer_store_dword v19, off, s[36:39], 0 offset:44 ; 4-byte Folded Spill
	v_addc_co_u32_e32 v1, vcc, 0, v11, vcc
	v_mul_lo_u32 v1, s14, v1
	v_mul_lo_u32 v12, s15, v0
	v_mad_u64_u32 v[16:17], s[0:1], s14, v0, v[2:3]
	v_mad_u64_u32 v[18:19], s[0:1], s14, v0, v[6:7]
	v_add3_u32 v21, v14, v21, v13
	v_add_co_u32_e32 v0, vcc, 10, v10
	buffer_store_dword v20, off, s[36:39], 0 offset:48 ; 4-byte Folded Spill
	s_nop 0
	buffer_store_dword v21, off, s[36:39], 0 offset:52 ; 4-byte Folded Spill
	v_add3_u32 v23, v14, v23, v13
	v_addc_co_u32_e32 v13, vcc, 0, v11, vcc
	buffer_store_dword v22, off, s[36:39], 0 offset:56 ; 4-byte Folded Spill
	s_nop 0
	buffer_store_dword v23, off, s[36:39], 0 offset:60 ; 4-byte Folded Spill
	v_mul_lo_u32 v13, s14, v13
	v_mul_lo_u32 v14, s15, v0
	v_mad_u64_u32 v[20:21], s[0:1], s14, v0, v[2:3]
	v_mad_u64_u32 v[22:23], s[0:1], s14, v0, v[6:7]
	v_add3_u32 v17, v12, v17, v1
	v_add3_u32 v19, v12, v19, v1
	v_add_co_u32_e32 v0, vcc, 12, v10
	buffer_store_dword v16, off, s[36:39], 0 offset:64 ; 4-byte Folded Spill
	s_nop 0
	buffer_store_dword v17, off, s[36:39], 0 offset:68 ; 4-byte Folded Spill
	buffer_store_dword v18, off, s[36:39], 0 offset:72 ; 4-byte Folded Spill
	s_nop 0
	buffer_store_dword v19, off, s[36:39], 0 offset:76 ; 4-byte Folded Spill
	v_addc_co_u32_e32 v1, vcc, 0, v11, vcc
	v_mul_lo_u32 v1, s14, v1
	v_mul_lo_u32 v12, s15, v0
	v_mad_u64_u32 v[16:17], s[0:1], s14, v0, v[2:3]
	v_mad_u64_u32 v[18:19], s[0:1], s14, v0, v[6:7]
	v_add3_u32 v21, v14, v21, v13
	v_add_co_u32_e32 v0, vcc, 14, v10
	buffer_store_dword v20, off, s[36:39], 0 offset:80 ; 4-byte Folded Spill
	s_nop 0
	buffer_store_dword v21, off, s[36:39], 0 offset:84 ; 4-byte Folded Spill
	v_add3_u32 v23, v14, v23, v13
	v_addc_co_u32_e32 v13, vcc, 0, v11, vcc
	v_mul_lo_u32 v13, s14, v13
	v_mul_lo_u32 v14, s15, v0
	v_mad_u64_u32 v[20:21], s[0:1], s14, v0, v[2:3]
	v_mad_u64_u32 v[45:46], s[0:1], s14, v0, v[6:7]
	v_add_co_u32_e32 v0, vcc, 16, v10
	v_add3_u32 v17, v12, v17, v1
	v_add3_u32 v19, v12, v19, v1
	v_addc_co_u32_e32 v1, vcc, 0, v11, vcc
	v_mul_lo_u32 v1, s14, v1
	v_mul_lo_u32 v12, s15, v0
	v_mad_u64_u32 v[47:48], s[0:1], s14, v0, v[2:3]
	v_mad_u64_u32 v[49:50], s[0:1], s14, v0, v[6:7]
	v_add_co_u32_e32 v0, vcc, 18, v10
	v_add3_u32 v21, v14, v21, v13
	v_add3_u32 v46, v14, v46, v13
	v_addc_co_u32_e32 v13, vcc, 0, v11, vcc
	v_mul_lo_u32 v14, s15, v0
	v_mad_u64_u32 v[51:52], s[0:1], s14, v0, v[2:3]
	v_mad_u64_u32 v[53:54], s[0:1], s14, v0, v[6:7]
	v_add_co_u32_e32 v0, vcc, 20, v10
	v_add3_u32 v48, v12, v48, v1
	v_add3_u32 v50, v12, v50, v1
	v_addc_co_u32_e32 v1, vcc, 0, v11, vcc
	v_mul_lo_u32 v1, s14, v1
	v_mul_lo_u32 v12, s15, v0
	v_mad_u64_u32 v[55:56], s[0:1], s14, v0, v[2:3]
	v_mad_u64_u32 v[57:58], s[0:1], s14, v0, v[6:7]
	v_add_co_u32_e32 v0, vcc, 22, v10
	v_add3_u32 v56, v12, v56, v1
	v_add3_u32 v58, v12, v58, v1
	v_addc_co_u32_e32 v1, vcc, 0, v11, vcc
	v_mul_lo_u32 v1, s14, v1
	v_mul_lo_u32 v12, s15, v0
	v_mad_u64_u32 v[59:60], s[0:1], s14, v0, v[2:3]
	v_mad_u64_u32 v[61:62], s[0:1], s14, v0, v[6:7]
	v_mul_lo_u32 v13, s14, v13
	v_add_co_u32_e32 v0, vcc, 24, v10
	buffer_store_dword v22, off, s[36:39], 0 offset:88 ; 4-byte Folded Spill
	s_nop 0
	buffer_store_dword v23, off, s[36:39], 0 offset:92 ; 4-byte Folded Spill
	buffer_store_dword v16, off, s[36:39], 0 offset:96 ; 4-byte Folded Spill
	s_nop 0
	buffer_store_dword v17, off, s[36:39], 0 offset:100 ; 4-byte Folded Spill
	;; [unrolled: 3-line block ×4, first 2 shown]
	v_add3_u32 v60, v12, v60, v1
	v_add3_u32 v62, v12, v62, v1
	v_addc_co_u32_e32 v1, vcc, 0, v11, vcc
	v_add3_u32 v52, v14, v52, v13
	v_add3_u32 v54, v14, v54, v13
	v_mul_lo_u32 v12, s14, v1
	v_mul_lo_u32 v13, s15, v0
	v_mad_u64_u32 v[19:20], s[0:1], s14, v0, v[2:3]
	v_mad_u64_u32 v[0:1], s[0:1], s14, v0, v[6:7]
	v_add3_u32 v20, v13, v20, v12
	v_add3_u32 v1, v13, v1, v12
	v_add_co_u32_e32 v12, vcc, 26, v10
	v_addc_co_u32_e32 v13, vcc, 0, v11, vcc
	v_mul_lo_u32 v13, s14, v13
	v_mul_lo_u32 v14, s15, v12
	v_mad_u64_u32 v[21:22], s[0:1], s14, v12, v[2:3]
	v_mad_u64_u32 v[23:24], s[0:1], s14, v12, v[6:7]
	v_add_co_u32_e32 v12, vcc, 28, v10
	v_add3_u32 v22, v14, v22, v13
	v_add3_u32 v24, v14, v24, v13
	v_addc_co_u32_e32 v13, vcc, 0, v11, vcc
	v_add_co_u32_e32 v10, vcc, 30, v10
	v_addc_co_u32_e32 v11, vcc, 0, v11, vcc
	v_mad_u64_u32 v[25:26], s[0:1], s14, v12, v[2:3]
	v_mad_u64_u32 v[29:30], s[0:1], s14, v10, v[2:3]
	v_mul_lo_u32 v2, s14, v11
	v_mad_u64_u32 v[31:32], s[0:1], s14, v10, v[6:7]
	v_mul_lo_u32 v3, s15, v10
	v_mad_u64_u32 v[27:28], s[0:1], s14, v12, v[6:7]
	v_mul_lo_u32 v13, s14, v13
	v_add3_u32 v30, v3, v30, v2
	v_add3_u32 v32, v3, v32, v2
	v_add_co_u32_e32 v2, vcc, 15, v8
	v_addc_co_u32_e32 v3, vcc, 0, v9, vcc
	v_mul_lo_u32 v6, s14, v3
	v_mul_lo_u32 v7, s15, v2
	v_mad_u64_u32 v[2:3], s[0:1], s14, v2, 0
	v_mul_lo_u32 v14, s15, v12
	v_add3_u32 v3, v3, v6, v7
	v_lshlrev_b64 v[2:3], 1, v[2:3]
	v_mov_b32_e32 v6, s17
	v_add_co_u32_e32 v7, vcc, s16, v2
	v_addc_co_u32_e32 v6, vcc, v6, v3, vcc
	buffer_store_dword v6, off, s[36:39], 0 offset:124 ; 4-byte Folded Spill
	v_mov_b32_e32 v6, s19
	v_add_co_u32_e32 v2, vcc, s18, v2
	buffer_store_dword v2, off, s[36:39], 0 offset:128 ; 4-byte Folded Spill
	v_addc_co_u32_e32 v2, vcc, v6, v3, vcc
	buffer_store_dword v2, off, s[36:39], 0 offset:132 ; 4-byte Folded Spill
	v_add_co_u32_e32 v2, vcc, 14, v8
	v_addc_co_u32_e32 v3, vcc, 0, v9, vcc
	buffer_store_dword v7, off, s[36:39], 0 offset:120 ; 4-byte Folded Spill
	v_mul_lo_u32 v6, s14, v3
	v_mul_lo_u32 v7, s15, v2
	v_mad_u64_u32 v[2:3], s[0:1], s14, v2, 0
	v_add3_u32 v26, v14, v26, v13
	v_add3_u32 v28, v14, v28, v13
	;; [unrolled: 1-line block ×3, first 2 shown]
	v_lshlrev_b64 v[2:3], 1, v[2:3]
	v_mov_b32_e32 v6, s17
	v_add_co_u32_e32 v7, vcc, s16, v2
	v_addc_co_u32_e32 v6, vcc, v6, v3, vcc
	buffer_store_dword v6, off, s[36:39], 0 offset:140 ; 4-byte Folded Spill
	v_mov_b32_e32 v6, s19
	v_add_co_u32_e32 v2, vcc, s18, v2
	buffer_store_dword v2, off, s[36:39], 0 offset:144 ; 4-byte Folded Spill
	v_addc_co_u32_e32 v2, vcc, v6, v3, vcc
	buffer_store_dword v2, off, s[36:39], 0 offset:148 ; 4-byte Folded Spill
	v_add_co_u32_e32 v2, vcc, 13, v8
	v_addc_co_u32_e32 v3, vcc, 0, v9, vcc
	buffer_store_dword v7, off, s[36:39], 0 offset:136 ; 4-byte Folded Spill
	v_mul_lo_u32 v6, s14, v3
	v_mul_lo_u32 v7, s15, v2
	v_mad_u64_u32 v[2:3], s[0:1], s14, v2, 0
	v_add3_u32 v3, v3, v6, v7
	v_lshlrev_b64 v[2:3], 1, v[2:3]
	v_mov_b32_e32 v6, s17
	v_add_co_u32_e32 v7, vcc, s16, v2
	v_addc_co_u32_e32 v6, vcc, v6, v3, vcc
	buffer_store_dword v6, off, s[36:39], 0 offset:156 ; 4-byte Folded Spill
	v_mov_b32_e32 v6, s19
	v_add_co_u32_e32 v2, vcc, s18, v2
	buffer_store_dword v2, off, s[36:39], 0 offset:160 ; 4-byte Folded Spill
	v_addc_co_u32_e32 v2, vcc, v6, v3, vcc
	buffer_store_dword v2, off, s[36:39], 0 offset:164 ; 4-byte Folded Spill
	v_add_co_u32_e32 v2, vcc, 12, v8
	v_addc_co_u32_e32 v3, vcc, 0, v9, vcc
	buffer_store_dword v7, off, s[36:39], 0 offset:152 ; 4-byte Folded Spill
	v_mul_lo_u32 v6, s14, v3
	v_mul_lo_u32 v7, s15, v2
	v_mad_u64_u32 v[2:3], s[0:1], s14, v2, 0
	v_add3_u32 v3, v3, v6, v7
	;; [unrolled: 17-line block ×12, first 2 shown]
	v_lshlrev_b64 v[2:3], 1, v[2:3]
	v_mov_b32_e32 v6, s17
	v_add_co_u32_e32 v7, vcc, s16, v2
	v_addc_co_u32_e32 v6, vcc, v6, v3, vcc
	buffer_store_dword v6, off, s[36:39], 0 offset:336 ; 4-byte Folded Spill
	v_mov_b32_e32 v6, s19
	v_add_co_u32_e32 v2, vcc, s18, v2
	buffer_store_dword v2, off, s[36:39], 0 offset:340 ; 4-byte Folded Spill
	v_addc_co_u32_e32 v2, vcc, v6, v3, vcc
	buffer_store_dword v2, off, s[36:39], 0 offset:344 ; 4-byte Folded Spill
	v_lshlrev_b64 v[2:3], 1, v[4:5]
	v_mov_b32_e32 v4, s17
	v_add_co_u32_e32 v5, vcc, s16, v2
	v_addc_co_u32_e32 v4, vcc, v4, v3, vcc
	buffer_store_dword v4, off, s[36:39], 0 offset:352 ; 4-byte Folded Spill
	v_mov_b32_e32 v4, s19
	v_add_co_u32_e32 v2, vcc, s18, v2
	buffer_store_dword v2, off, s[36:39], 0 offset:356 ; 4-byte Folded Spill
	v_addc_co_u32_e32 v2, vcc, v4, v3, vcc
	buffer_store_dword v7, off, s[36:39], 0 offset:332 ; 4-byte Folded Spill
	buffer_store_dword v5, off, s[36:39], 0 offset:348 ; 4-byte Folded Spill
	;; [unrolled: 1-line block ×4, first 2 shown]
	v_mov_b32_e32 v2, 0
	v_add_u32_e32 v3, s33, v15
	v_mov_b32_e32 v4, v2
	v_lshlrev_b64 v[33:34], 1, v[3:4]
	v_mbcnt_lo_u32_b32 v3, -1, 0
	v_mbcnt_hi_u32_b32 v3, -1, v3
	v_lshlrev_b32_e32 v3, 2, v3
	v_and_b32_e32 v35, 0x100, v3
.LBB105_86:                             ; =>This Inner Loop Header: Depth=1
	v_mov_b32_e32 v3, s12
	v_mov_b32_e32 v4, s13
	v_cmp_ge_i64_e32 vcc, s[24:25], v[3:4]
	buffer_load_dword v4, off, s[36:39], 0 offset:424 ; 4-byte Folded Reload
	v_mov_b32_e32 v3, s25
	s_and_b64 vcc, exec, vcc
                                        ; implicit-def: $vgpr5
                                        ; implicit-def: $vgpr36
	s_waitcnt vmcnt(0)
	v_add_co_u32_e64 v37, s[0:1], s24, v4
	v_addc_co_u32_e64 v38, s[0:1], 0, v3, s[0:1]
	s_mov_b64 s[0:1], -1
	s_cbranch_vccz .LBB105_124
; %bb.87:                               ;   in Loop: Header=BB105_86 Depth=1
	buffer_store_dword v40, off, s[36:39], 0 offset:368 ; 4-byte Folded Spill
	s_load_dword s0, s[2:3], 0xc
	buffer_load_dword v3, off, s[36:39], 0 offset:364 ; 4-byte Folded Reload
	buffer_load_dword v4, off, s[36:39], 0 offset:216 ; 4-byte Folded Reload
	v_mov_b32_e32 v36, 0
	v_mov_b32_e32 v40, 0
	;; [unrolled: 1-line block ×3, first 2 shown]
	s_waitcnt lgkmcnt(0)
	s_and_b32 s0, s0, 0xffff
	s_waitcnt vmcnt(0)
	v_mad_u32_u24 v3, v4, s0, v3
	v_and_b32_e32 v3, 63, v3
	v_cmp_gt_u32_e32 vcc, 16, v3
	s_and_saveexec_b64 s[0:1], vcc
	s_cbranch_execz .LBB105_91
; %bb.88:                               ;   in Loop: Header=BB105_86 Depth=1
	v_add_co_u32_e32 v3, vcc, v37, v3
	v_addc_co_u32_e32 v4, vcc, 0, v38, vcc
	v_add_co_u32_e32 v3, vcc, 0xffffff01, v3
	v_addc_co_u32_e32 v4, vcc, -1, v4, vcc
	v_cmp_gt_i64_e32 vcc, s[12:13], v[3:4]
	v_mov_b32_e32 v39, 0
	v_mov_b32_e32 v40, 0
	s_and_saveexec_b64 s[16:17], vcc
	s_cbranch_execz .LBB105_90
; %bb.89:                               ;   in Loop: Header=BB105_86 Depth=1
	v_lshlrev_b64 v[3:4], 2, v[3:4]
	v_mov_b32_e32 v6, s23
	v_add_co_u32_e32 v5, vcc, s22, v3
	v_addc_co_u32_e32 v6, vcc, v6, v4, vcc
	v_mov_b32_e32 v7, s21
	v_add_co_u32_e32 v3, vcc, s20, v3
	v_addc_co_u32_e32 v4, vcc, v7, v4, vcc
	global_load_dword v39, v[3:4], off
	global_load_dword v40, v[5:6], off
.LBB105_90:                             ;   in Loop: Header=BB105_86 Depth=1
	s_or_b64 exec, exec, s[16:17]
.LBB105_91:                             ;   in Loop: Header=BB105_86 Depth=1
	s_or_b64 exec, exec, s[0:1]
	v_add_co_u32_e32 v3, vcc, 0xffffff01, v37
	v_addc_co_u32_e32 v4, vcc, -1, v38, vcc
	v_cmp_gt_i64_e32 vcc, s[12:13], v[3:4]
	v_mov_b32_e32 v3, v2
	v_mov_b32_e32 v4, v2
	;; [unrolled: 1-line block ×31, first 2 shown]
	s_and_saveexec_b64 s[0:1], vcc
	s_cbranch_execz .LBB105_93
; %bb.92:                               ;   in Loop: Header=BB105_86 Depth=1
	buffer_load_dword v3, off, s[36:39], 0  ; 4-byte Folded Reload
	buffer_load_dword v4, off, s[36:39], 0 offset:4 ; 4-byte Folded Reload
	v_mov_b32_e32 v5, v2
	v_mov_b32_e32 v6, v2
	v_mov_b32_e32 v7, v2
	v_mov_b32_e32 v8, v2
	v_mov_b32_e32 v9, v2
	v_mov_b32_e32 v10, v2
	v_mov_b32_e32 v11, v2
	v_mov_b32_e32 v12, v2
	v_mov_b32_e32 v13, v2
	v_mov_b32_e32 v14, v2
	v_mov_b32_e32 v15, v2
	v_mov_b32_e32 v16, v2
	v_mov_b32_e32 v17, v2
	v_mov_b32_e32 v18, v2
	s_waitcnt vmcnt(1)
	v_add_co_u32_e32 v3, vcc, v3, v33
	s_waitcnt vmcnt(0)
	v_addc_co_u32_e32 v4, vcc, v4, v34, vcc
	global_load_ushort v36, v[3:4], off
	s_nop 0
	buffer_load_dword v3, off, s[36:39], 0 offset:8 ; 4-byte Folded Reload
	buffer_load_dword v4, off, s[36:39], 0 offset:12 ; 4-byte Folded Reload
	s_waitcnt vmcnt(1)
	v_add_co_u32_e32 v3, vcc, v3, v33
	s_waitcnt vmcnt(0)
	v_addc_co_u32_e32 v4, vcc, v4, v34, vcc
	global_load_ushort v41, v[3:4], off
	v_mov_b32_e32 v4, v2
	v_lshlrev_b32_e32 v3, 16, v36
	s_waitcnt vmcnt(0)
	v_lshlrev_b32_e32 v36, 16, v41
.LBB105_93:                             ;   in Loop: Header=BB105_86 Depth=1
	s_or_b64 exec, exec, s[0:1]
	v_add_co_u32_e32 v41, vcc, 0xffffff02, v37
	v_addc_co_u32_e32 v42, vcc, -1, v38, vcc
	v_cmp_gt_i64_e32 vcc, s[12:13], v[41:42]
	v_mov_b32_e32 v41, 0
	buffer_store_dword v41, off, s[36:39], 0 offset:372 ; 4-byte Folded Spill
	v_mov_b32_e32 v41, 0
	buffer_store_dword v41, off, s[36:39], 0 offset:384 ; 4-byte Folded Spill
	s_and_saveexec_b64 s[0:1], vcc
	s_cbranch_execz .LBB105_95
; %bb.94:                               ;   in Loop: Header=BB105_86 Depth=1
	buffer_load_dword v4, off, s[36:39], 0 offset:348 ; 4-byte Folded Reload
	s_waitcnt vmcnt(0)
	v_add_co_u32_e32 v41, vcc, v4, v33
	buffer_load_dword v4, off, s[36:39], 0 offset:352 ; 4-byte Folded Reload
	s_waitcnt vmcnt(0)
	v_addc_co_u32_e32 v42, vcc, v4, v34, vcc
	global_load_ushort v4, v[41:42], off
	s_waitcnt vmcnt(0)
	v_lshlrev_b32_e32 v4, 16, v4
	buffer_load_dword v41, off, s[36:39], 0 offset:356 ; 4-byte Folded Reload
	buffer_load_dword v42, off, s[36:39], 0 offset:360 ; 4-byte Folded Reload
	s_waitcnt vmcnt(1)
	v_add_co_u32_e32 v41, vcc, v41, v33
	s_waitcnt vmcnt(0)
	v_addc_co_u32_e32 v42, vcc, v42, v34, vcc
	global_load_ushort v41, v[41:42], off
	s_waitcnt vmcnt(0)
	v_lshlrev_b32_e32 v41, 16, v41
	buffer_store_dword v41, off, s[36:39], 0 offset:384 ; 4-byte Folded Spill
.LBB105_95:                             ;   in Loop: Header=BB105_86 Depth=1
	s_or_b64 exec, exec, s[0:1]
	v_add_co_u32_e32 v41, vcc, 0xffffff03, v37
	v_addc_co_u32_e32 v42, vcc, -1, v38, vcc
	v_cmp_gt_i64_e32 vcc, s[12:13], v[41:42]
	s_and_saveexec_b64 s[0:1], vcc
	s_cbranch_execz .LBB105_97
; %bb.96:                               ;   in Loop: Header=BB105_86 Depth=1
	buffer_load_dword v5, off, s[36:39], 0 offset:332 ; 4-byte Folded Reload
	s_waitcnt vmcnt(0)
	v_add_co_u32_e32 v41, vcc, v5, v33
	buffer_load_dword v5, off, s[36:39], 0 offset:336 ; 4-byte Folded Reload
	s_waitcnt vmcnt(0)
	v_addc_co_u32_e32 v42, vcc, v5, v34, vcc
	global_load_ushort v5, v[41:42], off
	s_waitcnt vmcnt(0)
	v_lshlrev_b32_e32 v5, 16, v5
	buffer_load_dword v41, off, s[36:39], 0 offset:340 ; 4-byte Folded Reload
	buffer_load_dword v42, off, s[36:39], 0 offset:344 ; 4-byte Folded Reload
	s_waitcnt vmcnt(1)
	v_add_co_u32_e32 v41, vcc, v41, v33
	s_waitcnt vmcnt(0)
	v_addc_co_u32_e32 v42, vcc, v42, v34, vcc
	global_load_ushort v41, v[41:42], off
	s_waitcnt vmcnt(0)
	v_lshlrev_b32_e32 v41, 16, v41
	buffer_store_dword v41, off, s[36:39], 0 offset:372 ; 4-byte Folded Spill
.LBB105_97:                             ;   in Loop: Header=BB105_86 Depth=1
	s_or_b64 exec, exec, s[0:1]
	v_add_co_u32_e32 v41, vcc, 0xffffff04, v37
	v_addc_co_u32_e32 v42, vcc, -1, v38, vcc
	v_cmp_gt_i64_e32 vcc, s[12:13], v[41:42]
	v_mov_b32_e32 v41, 0
	v_mov_b32_e32 v44, 0
	buffer_store_dword v41, off, s[36:39], 0 offset:376 ; 4-byte Folded Spill
	s_and_saveexec_b64 s[0:1], vcc
	s_cbranch_execz .LBB105_99
; %bb.98:                               ;   in Loop: Header=BB105_86 Depth=1
	buffer_load_dword v6, off, s[36:39], 0 offset:316 ; 4-byte Folded Reload
	s_waitcnt vmcnt(0)
	v_add_co_u32_e32 v41, vcc, v6, v33
	buffer_load_dword v6, off, s[36:39], 0 offset:320 ; 4-byte Folded Reload
	s_waitcnt vmcnt(0)
	v_addc_co_u32_e32 v42, vcc, v6, v34, vcc
	global_load_ushort v6, v[41:42], off
	s_waitcnt vmcnt(0)
	v_lshlrev_b32_e32 v6, 16, v6
	buffer_load_dword v41, off, s[36:39], 0 offset:324 ; 4-byte Folded Reload
	buffer_load_dword v42, off, s[36:39], 0 offset:328 ; 4-byte Folded Reload
	s_waitcnt vmcnt(1)
	v_add_co_u32_e32 v41, vcc, v41, v33
	s_waitcnt vmcnt(0)
	v_addc_co_u32_e32 v42, vcc, v42, v34, vcc
	global_load_ushort v41, v[41:42], off
	s_waitcnt vmcnt(0)
	v_lshlrev_b32_e32 v44, 16, v41
.LBB105_99:                             ;   in Loop: Header=BB105_86 Depth=1
	s_or_b64 exec, exec, s[0:1]
	v_add_co_u32_e32 v41, vcc, 0xffffff05, v37
	v_addc_co_u32_e32 v42, vcc, -1, v38, vcc
	v_cmp_gt_i64_e32 vcc, s[12:13], v[41:42]
	s_and_saveexec_b64 s[0:1], vcc
	s_cbranch_execz .LBB105_101
; %bb.100:                              ;   in Loop: Header=BB105_86 Depth=1
	buffer_load_dword v7, off, s[36:39], 0 offset:300 ; 4-byte Folded Reload
	s_waitcnt vmcnt(0)
	v_add_co_u32_e32 v41, vcc, v7, v33
	buffer_load_dword v7, off, s[36:39], 0 offset:304 ; 4-byte Folded Reload
	s_waitcnt vmcnt(0)
	v_addc_co_u32_e32 v42, vcc, v7, v34, vcc
	global_load_ushort v7, v[41:42], off
	s_waitcnt vmcnt(0)
	v_lshlrev_b32_e32 v7, 16, v7
	buffer_load_dword v41, off, s[36:39], 0 offset:308 ; 4-byte Folded Reload
	buffer_load_dword v42, off, s[36:39], 0 offset:312 ; 4-byte Folded Reload
	s_waitcnt vmcnt(1)
	v_add_co_u32_e32 v41, vcc, v41, v33
	s_waitcnt vmcnt(0)
	v_addc_co_u32_e32 v42, vcc, v42, v34, vcc
	global_load_ushort v41, v[41:42], off
	s_waitcnt vmcnt(0)
	v_lshlrev_b32_e32 v41, 16, v41
	buffer_store_dword v41, off, s[36:39], 0 offset:376 ; 4-byte Folded Spill
.LBB105_101:                            ;   in Loop: Header=BB105_86 Depth=1
	s_or_b64 exec, exec, s[0:1]
	v_add_co_u32_e32 v41, vcc, 0xffffff06, v37
	v_addc_co_u32_e32 v42, vcc, -1, v38, vcc
	v_cmp_gt_i64_e32 vcc, s[12:13], v[41:42]
	v_mov_b32_e32 v41, 0
	buffer_store_dword v41, off, s[36:39], 0 offset:380 ; 4-byte Folded Spill
	v_mov_b32_e32 v41, 0
	buffer_store_dword v41, off, s[36:39], 0 offset:396 ; 4-byte Folded Spill
	s_and_saveexec_b64 s[0:1], vcc
	s_cbranch_execz .LBB105_103
; %bb.102:                              ;   in Loop: Header=BB105_86 Depth=1
	buffer_load_dword v8, off, s[36:39], 0 offset:284 ; 4-byte Folded Reload
	s_waitcnt vmcnt(0)
	v_add_co_u32_e32 v41, vcc, v8, v33
	buffer_load_dword v8, off, s[36:39], 0 offset:288 ; 4-byte Folded Reload
	s_waitcnt vmcnt(0)
	v_addc_co_u32_e32 v42, vcc, v8, v34, vcc
	global_load_ushort v8, v[41:42], off
	s_waitcnt vmcnt(0)
	v_lshlrev_b32_e32 v8, 16, v8
	buffer_load_dword v41, off, s[36:39], 0 offset:292 ; 4-byte Folded Reload
	buffer_load_dword v42, off, s[36:39], 0 offset:296 ; 4-byte Folded Reload
	s_waitcnt vmcnt(1)
	v_add_co_u32_e32 v41, vcc, v41, v33
	s_waitcnt vmcnt(0)
	v_addc_co_u32_e32 v42, vcc, v42, v34, vcc
	global_load_ushort v41, v[41:42], off
	s_waitcnt vmcnt(0)
	v_lshlrev_b32_e32 v41, 16, v41
	buffer_store_dword v41, off, s[36:39], 0 offset:396 ; 4-byte Folded Spill
.LBB105_103:                            ;   in Loop: Header=BB105_86 Depth=1
	s_or_b64 exec, exec, s[0:1]
	v_add_co_u32_e32 v41, vcc, 0xffffff07, v37
	v_addc_co_u32_e32 v42, vcc, -1, v38, vcc
	v_cmp_gt_i64_e32 vcc, s[12:13], v[41:42]
	s_and_saveexec_b64 s[0:1], vcc
	s_cbranch_execz .LBB105_105
; %bb.104:                              ;   in Loop: Header=BB105_86 Depth=1
	buffer_load_dword v9, off, s[36:39], 0 offset:268 ; 4-byte Folded Reload
	s_waitcnt vmcnt(0)
	v_add_co_u32_e32 v41, vcc, v9, v33
	buffer_load_dword v9, off, s[36:39], 0 offset:272 ; 4-byte Folded Reload
	s_waitcnt vmcnt(0)
	v_addc_co_u32_e32 v42, vcc, v9, v34, vcc
	global_load_ushort v9, v[41:42], off
	s_waitcnt vmcnt(0)
	v_lshlrev_b32_e32 v9, 16, v9
	buffer_load_dword v41, off, s[36:39], 0 offset:276 ; 4-byte Folded Reload
	buffer_load_dword v42, off, s[36:39], 0 offset:280 ; 4-byte Folded Reload
	s_waitcnt vmcnt(1)
	v_add_co_u32_e32 v41, vcc, v41, v33
	s_waitcnt vmcnt(0)
	v_addc_co_u32_e32 v42, vcc, v42, v34, vcc
	global_load_ushort v41, v[41:42], off
	s_waitcnt vmcnt(0)
	v_lshlrev_b32_e32 v41, 16, v41
	buffer_store_dword v41, off, s[36:39], 0 offset:380 ; 4-byte Folded Spill
.LBB105_105:                            ;   in Loop: Header=BB105_86 Depth=1
	s_or_b64 exec, exec, s[0:1]
	v_add_co_u32_e32 v41, vcc, 0xffffff08, v37
	v_addc_co_u32_e32 v42, vcc, -1, v38, vcc
	v_cmp_gt_i64_e32 vcc, s[12:13], v[41:42]
	v_mov_b32_e32 v41, 0
	buffer_store_dword v41, off, s[36:39], 0 offset:388 ; 4-byte Folded Spill
	v_mov_b32_e32 v41, 0
	buffer_store_dword v41, off, s[36:39], 0 offset:404 ; 4-byte Folded Spill
	s_and_saveexec_b64 s[0:1], vcc
	s_cbranch_execz .LBB105_107
; %bb.106:                              ;   in Loop: Header=BB105_86 Depth=1
	buffer_load_dword v10, off, s[36:39], 0 offset:252 ; 4-byte Folded Reload
	s_waitcnt vmcnt(0)
	v_add_co_u32_e32 v41, vcc, v10, v33
	buffer_load_dword v10, off, s[36:39], 0 offset:256 ; 4-byte Folded Reload
	s_waitcnt vmcnt(0)
	v_addc_co_u32_e32 v42, vcc, v10, v34, vcc
	global_load_ushort v10, v[41:42], off
	s_waitcnt vmcnt(0)
	v_lshlrev_b32_e32 v10, 16, v10
	buffer_load_dword v41, off, s[36:39], 0 offset:260 ; 4-byte Folded Reload
	buffer_load_dword v42, off, s[36:39], 0 offset:264 ; 4-byte Folded Reload
	s_waitcnt vmcnt(1)
	v_add_co_u32_e32 v41, vcc, v41, v33
	s_waitcnt vmcnt(0)
	v_addc_co_u32_e32 v42, vcc, v42, v34, vcc
	global_load_ushort v41, v[41:42], off
	s_waitcnt vmcnt(0)
	v_lshlrev_b32_e32 v41, 16, v41
	buffer_store_dword v41, off, s[36:39], 0 offset:404 ; 4-byte Folded Spill
.LBB105_107:                            ;   in Loop: Header=BB105_86 Depth=1
	;; [unrolled: 58-line block ×5, first 2 shown]
	s_or_b64 exec, exec, s[0:1]
	v_add_co_u32_e32 v41, vcc, 0xffffff0f, v37
	v_addc_co_u32_e32 v42, vcc, -1, v38, vcc
	v_cmp_gt_i64_e32 vcc, s[12:13], v[41:42]
	s_and_saveexec_b64 s[0:1], vcc
	s_cbranch_execz .LBB105_121
; %bb.120:                              ;   in Loop: Header=BB105_86 Depth=1
	buffer_load_dword v17, off, s[36:39], 0 offset:136 ; 4-byte Folded Reload
	s_waitcnt vmcnt(0)
	v_add_co_u32_e32 v41, vcc, v17, v33
	buffer_load_dword v17, off, s[36:39], 0 offset:140 ; 4-byte Folded Reload
	s_waitcnt vmcnt(0)
	v_addc_co_u32_e32 v42, vcc, v17, v34, vcc
	global_load_ushort v17, v[41:42], off
	s_waitcnt vmcnt(0)
	v_lshlrev_b32_e32 v17, 16, v17
	buffer_load_dword v41, off, s[36:39], 0 offset:144 ; 4-byte Folded Reload
	buffer_load_dword v42, off, s[36:39], 0 offset:148 ; 4-byte Folded Reload
	s_waitcnt vmcnt(1)
	v_add_co_u32_e32 v41, vcc, v41, v33
	s_waitcnt vmcnt(0)
	v_addc_co_u32_e32 v42, vcc, v42, v34, vcc
	global_load_ushort v41, v[41:42], off
	s_waitcnt vmcnt(0)
	v_lshlrev_b32_e32 v41, 16, v41
	buffer_store_dword v41, off, s[36:39], 0 offset:408 ; 4-byte Folded Spill
.LBB105_121:                            ;   in Loop: Header=BB105_86 Depth=1
	s_or_b64 exec, exec, s[0:1]
	v_add_co_u32_e32 v41, vcc, 0xffffff10, v37
	v_addc_co_u32_e32 v42, vcc, -1, v38, vcc
	v_cmp_gt_i64_e32 vcc, s[12:13], v[41:42]
	v_mov_b32_e32 v41, 0
	s_and_saveexec_b64 s[0:1], vcc
	s_cbranch_execz .LBB105_123
; %bb.122:                              ;   in Loop: Header=BB105_86 Depth=1
	buffer_load_dword v18, off, s[36:39], 0 offset:120 ; 4-byte Folded Reload
	s_waitcnt vmcnt(0)
	v_add_co_u32_e32 v41, vcc, v18, v33
	buffer_load_dword v18, off, s[36:39], 0 offset:124 ; 4-byte Folded Reload
	s_waitcnt vmcnt(0)
	v_addc_co_u32_e32 v42, vcc, v18, v34, vcc
	global_load_ushort v18, v[41:42], off
	s_waitcnt vmcnt(0)
	v_lshlrev_b32_e32 v18, 16, v18
	buffer_load_dword v41, off, s[36:39], 0 offset:128 ; 4-byte Folded Reload
	buffer_load_dword v42, off, s[36:39], 0 offset:132 ; 4-byte Folded Reload
	s_waitcnt vmcnt(1)
	v_add_co_u32_e32 v41, vcc, v41, v33
	s_waitcnt vmcnt(0)
	v_addc_co_u32_e32 v42, vcc, v42, v34, vcc
	global_load_ushort v41, v[41:42], off
	s_waitcnt vmcnt(0)
	v_lshlrev_b32_e32 v41, 16, v41
.LBB105_123:                            ;   in Loop: Header=BB105_86 Depth=1
	s_or_b64 exec, exec, s[0:1]
	s_waitcnt vmcnt(14)
	ds_bpermute_b32 v42, v35, v39
	buffer_store_dword v41, off, s[36:39], 0 offset:428 ; 4-byte Folded Spill
	s_waitcnt vmcnt(14)
	ds_bpermute_b32 v41, v35, v40
	s_mov_b64 s[0:1], 0
	buffer_load_dword v43, off, s[36:39], 0 offset:384 ; 4-byte Folded Reload
	s_waitcnt lgkmcnt(1)
	v_sub_f32_e32 v36, v36, v42
	v_mul_f32_e32 v36, v3, v36
	s_waitcnt lgkmcnt(0)
	v_fma_f32 v36, v36, v41, v63
	buffer_load_dword v41, off, s[36:39], 0 offset:368 ; 4-byte Folded Reload
	ds_bpermute_b32 v42, v35, v39 offset:4
	s_waitcnt vmcnt(1) lgkmcnt(0)
	v_sub_f32_e32 v42, v43, v42
	v_mul_f32_e32 v42, v4, v42
	s_waitcnt vmcnt(0)
	v_add_f32_e32 v3, v41, v3
	ds_bpermute_b32 v41, v35, v40 offset:4
	v_add_f32_e32 v3, v4, v3
	v_add_f32_e32 v3, v5, v3
	;; [unrolled: 1-line block ×3, first 2 shown]
	ds_bpermute_b32 v4, v35, v40 offset:8
	s_waitcnt lgkmcnt(1)
	v_fmac_f32_e32 v36, v42, v41
	buffer_load_dword v42, off, s[36:39], 0 offset:372 ; 4-byte Folded Reload
	ds_bpermute_b32 v41, v35, v39 offset:8
	v_add_f32_e32 v3, v7, v3
	v_add_f32_e32 v3, v8, v3
	;; [unrolled: 1-line block ×11, first 2 shown]
	s_waitcnt vmcnt(0) lgkmcnt(0)
	v_sub_f32_e32 v41, v42, v41
	v_mul_f32_e32 v41, v5, v41
	ds_bpermute_b32 v5, v35, v39 offset:12
	v_fmac_f32_e32 v36, v41, v4
	ds_bpermute_b32 v4, v35, v40 offset:12
	s_waitcnt lgkmcnt(1)
	v_sub_f32_e32 v5, v44, v5
	v_mul_f32_e32 v5, v6, v5
	buffer_load_dword v6, off, s[36:39], 0 offset:376 ; 4-byte Folded Reload
	s_waitcnt lgkmcnt(0)
	v_fmac_f32_e32 v36, v5, v4
	ds_bpermute_b32 v5, v35, v39 offset:16
	ds_bpermute_b32 v4, v35, v40 offset:16
	s_waitcnt vmcnt(0) lgkmcnt(1)
	v_sub_f32_e32 v5, v6, v5
	buffer_load_dword v6, off, s[36:39], 0 offset:396 ; 4-byte Folded Reload
	v_mul_f32_e32 v5, v7, v5
	s_waitcnt lgkmcnt(0)
	v_fmac_f32_e32 v36, v5, v4
	ds_bpermute_b32 v5, v35, v39 offset:20
	ds_bpermute_b32 v4, v35, v40 offset:20
	s_waitcnt vmcnt(0) lgkmcnt(1)
	v_sub_f32_e32 v5, v6, v5
	buffer_load_dword v6, off, s[36:39], 0 offset:380 ; 4-byte Folded Reload
	v_mul_f32_e32 v5, v8, v5
	s_waitcnt lgkmcnt(0)
	v_fmac_f32_e32 v36, v5, v4
	ds_bpermute_b32 v5, v35, v39 offset:24
	ds_bpermute_b32 v4, v35, v40 offset:24
	s_waitcnt vmcnt(0) lgkmcnt(1)
	v_sub_f32_e32 v5, v6, v5
	buffer_load_dword v6, off, s[36:39], 0 offset:404 ; 4-byte Folded Reload
	v_mul_f32_e32 v5, v9, v5
	s_waitcnt lgkmcnt(0)
	v_fmac_f32_e32 v36, v5, v4
	ds_bpermute_b32 v5, v35, v39 offset:28
	ds_bpermute_b32 v4, v35, v40 offset:28
	s_waitcnt vmcnt(0) lgkmcnt(1)
	v_sub_f32_e32 v5, v6, v5
	buffer_load_dword v6, off, s[36:39], 0 offset:388 ; 4-byte Folded Reload
	v_mul_f32_e32 v5, v10, v5
	s_waitcnt lgkmcnt(0)
	v_fmac_f32_e32 v36, v5, v4
	ds_bpermute_b32 v5, v35, v39 offset:32
	ds_bpermute_b32 v4, v35, v40 offset:32
	s_waitcnt vmcnt(0) lgkmcnt(1)
	v_sub_f32_e32 v5, v6, v5
	buffer_load_dword v6, off, s[36:39], 0 offset:412 ; 4-byte Folded Reload
	v_mul_f32_e32 v5, v11, v5
	s_waitcnt lgkmcnt(0)
	v_fmac_f32_e32 v36, v5, v4
	ds_bpermute_b32 v5, v35, v39 offset:36
	ds_bpermute_b32 v4, v35, v40 offset:36
	s_waitcnt vmcnt(0) lgkmcnt(1)
	v_sub_f32_e32 v5, v6, v5
	buffer_load_dword v6, off, s[36:39], 0 offset:392 ; 4-byte Folded Reload
	v_mul_f32_e32 v5, v12, v5
	s_waitcnt lgkmcnt(0)
	v_fmac_f32_e32 v36, v5, v4
	ds_bpermute_b32 v5, v35, v39 offset:40
	ds_bpermute_b32 v4, v35, v40 offset:40
	s_waitcnt vmcnt(0) lgkmcnt(1)
	v_sub_f32_e32 v5, v6, v5
	buffer_load_dword v6, off, s[36:39], 0 offset:416 ; 4-byte Folded Reload
	v_mul_f32_e32 v5, v13, v5
	s_waitcnt lgkmcnt(0)
	v_fmac_f32_e32 v36, v5, v4
	ds_bpermute_b32 v5, v35, v39 offset:44
	ds_bpermute_b32 v4, v35, v40 offset:44
	s_waitcnt vmcnt(0) lgkmcnt(1)
	v_sub_f32_e32 v5, v6, v5
	buffer_load_dword v6, off, s[36:39], 0 offset:400 ; 4-byte Folded Reload
	v_mul_f32_e32 v5, v14, v5
	s_waitcnt lgkmcnt(0)
	v_fmac_f32_e32 v36, v5, v4
	ds_bpermute_b32 v5, v35, v39 offset:48
	ds_bpermute_b32 v4, v35, v40 offset:48
	s_waitcnt vmcnt(0) lgkmcnt(1)
	v_sub_f32_e32 v5, v6, v5
	buffer_load_dword v6, off, s[36:39], 0 offset:420 ; 4-byte Folded Reload
	v_mul_f32_e32 v5, v15, v5
	s_waitcnt lgkmcnt(0)
	v_fmac_f32_e32 v36, v5, v4
	ds_bpermute_b32 v5, v35, v39 offset:52
	ds_bpermute_b32 v4, v35, v40 offset:52
	s_waitcnt vmcnt(0) lgkmcnt(1)
	v_sub_f32_e32 v5, v6, v5
	buffer_load_dword v6, off, s[36:39], 0 offset:408 ; 4-byte Folded Reload
	v_mul_f32_e32 v5, v16, v5
	s_waitcnt lgkmcnt(0)
	v_fmac_f32_e32 v36, v5, v4
	ds_bpermute_b32 v5, v35, v39 offset:56
	ds_bpermute_b32 v4, v35, v40 offset:56
	s_waitcnt vmcnt(0) lgkmcnt(1)
	v_sub_f32_e32 v5, v6, v5
	v_mul_f32_e32 v5, v17, v5
	s_waitcnt lgkmcnt(0)
	v_fmac_f32_e32 v36, v5, v4
	ds_bpermute_b32 v4, v35, v40 offset:60
	buffer_load_dword v40, off, s[36:39], 0 offset:368 ; 4-byte Folded Reload
	buffer_load_dword v6, off, s[36:39], 0 offset:428 ; 4-byte Folded Reload
	ds_bpermute_b32 v5, v35, v39 offset:60
	s_waitcnt vmcnt(0) lgkmcnt(0)
	v_sub_f32_e32 v5, v6, v5
	v_mul_f32_e32 v5, v18, v5
	v_fmac_f32_e32 v36, v5, v4
	v_add_f32_e32 v5, v18, v3
.LBB105_124:                            ;   in Loop: Header=BB105_86 Depth=1
	s_and_b64 vcc, exec, s[0:1]
	s_cbranch_vccz .LBB105_130
; %bb.125:                              ;   in Loop: Header=BB105_86 Depth=1
	s_load_dword s0, s[2:3], 0x0
	v_mov_b32_e32 v5, 0
	s_waitcnt lgkmcnt(0)
	s_cmp_lt_u32 s6, s0
	s_cselect_b32 s0, 12, 18
	s_add_u32 s0, s2, s0
	s_addc_u32 s1, s3, 0
	global_load_ushort v3, v2, s[0:1]
	buffer_load_dword v4, off, s[36:39], 0 offset:364 ; 4-byte Folded Reload
	buffer_load_dword v6, off, s[36:39], 0 offset:216 ; 4-byte Folded Reload
	s_waitcnt vmcnt(0)
	v_mad_u32_u24 v3, v6, v3, v4
	v_and_b32_e32 v3, 63, v3
	v_cmp_gt_u32_e32 vcc, 16, v3
	v_mov_b32_e32 v6, 0
	s_and_saveexec_b64 s[0:1], vcc
	s_cbranch_execz .LBB105_129
; %bb.126:                              ;   in Loop: Header=BB105_86 Depth=1
	v_add_co_u32_e32 v3, vcc, v37, v3
	v_addc_co_u32_e32 v4, vcc, 0, v38, vcc
	v_add_co_u32_e32 v3, vcc, 0xffffff01, v3
	v_addc_co_u32_e32 v4, vcc, -1, v4, vcc
	v_cmp_gt_i64_e32 vcc, s[12:13], v[3:4]
	v_mov_b32_e32 v6, 0
	v_mov_b32_e32 v5, 0
	s_and_saveexec_b64 s[16:17], vcc
	s_cbranch_execz .LBB105_128
; %bb.127:                              ;   in Loop: Header=BB105_86 Depth=1
	v_lshlrev_b64 v[3:4], 2, v[3:4]
	v_mov_b32_e32 v5, s23
	v_add_co_u32_e32 v7, vcc, s22, v3
	v_addc_co_u32_e32 v8, vcc, v5, v4, vcc
	v_mov_b32_e32 v5, s21
	v_add_co_u32_e32 v3, vcc, s20, v3
	v_addc_co_u32_e32 v4, vcc, v5, v4, vcc
	global_load_dword v6, v[3:4], off
	global_load_dword v5, v[7:8], off
.LBB105_128:                            ;   in Loop: Header=BB105_86 Depth=1
	s_or_b64 exec, exec, s[16:17]
.LBB105_129:                            ;   in Loop: Header=BB105_86 Depth=1
	s_or_b64 exec, exec, s[0:1]
	buffer_load_dword v3, off, s[36:39], 0 offset:8 ; 4-byte Folded Reload
	buffer_load_dword v4, off, s[36:39], 0 offset:12 ; 4-byte Folded Reload
	s_waitcnt vmcnt(1)
	v_add_co_u32_e32 v3, vcc, v3, v33
	s_waitcnt vmcnt(0)
	v_addc_co_u32_e32 v4, vcc, v4, v34, vcc
	global_load_ushort v7, v[3:4], off
	s_nop 0
	buffer_load_dword v3, off, s[36:39], 0  ; 4-byte Folded Reload
	buffer_load_dword v4, off, s[36:39], 0 offset:4 ; 4-byte Folded Reload
	s_waitcnt vmcnt(1)
	v_add_co_u32_e32 v3, vcc, v3, v33
	s_waitcnt vmcnt(0)
	v_addc_co_u32_e32 v4, vcc, v4, v34, vcc
	global_load_ushort v3, v[3:4], off
	v_lshlrev_b32_e32 v4, 16, v7
	ds_bpermute_b32 v7, v35, v6
	s_waitcnt lgkmcnt(0)
	v_sub_f32_e32 v4, v4, v7
	ds_bpermute_b32 v7, v35, v5
	s_waitcnt vmcnt(0)
	v_lshlrev_b32_e32 v3, 16, v3
	v_mul_f32_e32 v4, v4, v3
	s_waitcnt lgkmcnt(0)
	v_fmac_f32_e32 v63, v4, v7
	buffer_load_dword v7, off, s[36:39], 0 offset:24 ; 4-byte Folded Reload
	buffer_load_dword v8, off, s[36:39], 0 offset:28 ; 4-byte Folded Reload
	v_add_f32_e32 v3, v40, v3
	s_waitcnt vmcnt(1)
	v_add_co_u32_e32 v7, vcc, v7, v33
	s_waitcnt vmcnt(0)
	v_addc_co_u32_e32 v8, vcc, v8, v34, vcc
	global_load_ushort v4, v[7:8], off
	s_nop 0
	buffer_load_dword v7, off, s[36:39], 0 offset:16 ; 4-byte Folded Reload
	buffer_load_dword v8, off, s[36:39], 0 offset:20 ; 4-byte Folded Reload
	s_waitcnt vmcnt(1)
	v_add_co_u32_e32 v7, vcc, v7, v33
	s_waitcnt vmcnt(0)
	v_addc_co_u32_e32 v8, vcc, v8, v34, vcc
	global_load_ushort v7, v[7:8], off
	ds_bpermute_b32 v8, v35, v6 offset:4
	v_lshlrev_b32_e32 v4, 16, v4
	s_waitcnt lgkmcnt(0)
	v_sub_f32_e32 v8, v4, v8
	s_waitcnt vmcnt(0)
	v_lshlrev_b32_e32 v4, 16, v7
	v_mul_f32_e32 v7, v8, v4
	ds_bpermute_b32 v8, v35, v5 offset:4
	v_add_f32_e32 v3, v3, v4
	s_waitcnt lgkmcnt(0)
	v_fmac_f32_e32 v63, v7, v8
	buffer_load_dword v7, off, s[36:39], 0 offset:40 ; 4-byte Folded Reload
	buffer_load_dword v8, off, s[36:39], 0 offset:44 ; 4-byte Folded Reload
	s_waitcnt vmcnt(1)
	v_add_co_u32_e32 v7, vcc, v7, v33
	s_waitcnt vmcnt(0)
	v_addc_co_u32_e32 v8, vcc, v8, v34, vcc
	global_load_ushort v9, v[7:8], off
	s_nop 0
	buffer_load_dword v7, off, s[36:39], 0 offset:32 ; 4-byte Folded Reload
	buffer_load_dword v8, off, s[36:39], 0 offset:36 ; 4-byte Folded Reload
	s_waitcnt vmcnt(1)
	v_add_co_u32_e32 v7, vcc, v7, v33
	s_waitcnt vmcnt(0)
	v_addc_co_u32_e32 v8, vcc, v8, v34, vcc
	global_load_ushort v7, v[7:8], off
	v_lshlrev_b32_e32 v8, 16, v9
	ds_bpermute_b32 v9, v35, v6 offset:8
	s_waitcnt lgkmcnt(0)
	v_sub_f32_e32 v8, v8, v9
	ds_bpermute_b32 v9, v35, v5 offset:8
	s_waitcnt vmcnt(0)
	v_lshlrev_b32_e32 v7, 16, v7
	v_mul_f32_e32 v8, v8, v7
	s_waitcnt lgkmcnt(0)
	v_fmac_f32_e32 v63, v8, v9
	buffer_load_dword v8, off, s[36:39], 0 offset:56 ; 4-byte Folded Reload
	buffer_load_dword v9, off, s[36:39], 0 offset:60 ; 4-byte Folded Reload
	v_add_f32_e32 v3, v3, v7
	s_waitcnt vmcnt(1)
	v_add_co_u32_e32 v8, vcc, v8, v33
	s_waitcnt vmcnt(0)
	v_addc_co_u32_e32 v9, vcc, v9, v34, vcc
	global_load_ushort v10, v[8:9], off
	s_nop 0
	buffer_load_dword v8, off, s[36:39], 0 offset:48 ; 4-byte Folded Reload
	buffer_load_dword v9, off, s[36:39], 0 offset:52 ; 4-byte Folded Reload
	s_waitcnt vmcnt(1)
	v_add_co_u32_e32 v8, vcc, v8, v33
	s_waitcnt vmcnt(0)
	v_addc_co_u32_e32 v9, vcc, v9, v34, vcc
	global_load_ushort v8, v[8:9], off
	v_lshlrev_b32_e32 v9, 16, v10
	ds_bpermute_b32 v10, v35, v6 offset:12
	s_waitcnt lgkmcnt(0)
	v_sub_f32_e32 v9, v9, v10
	ds_bpermute_b32 v10, v35, v5 offset:12
	s_waitcnt vmcnt(0)
	v_lshlrev_b32_e32 v8, 16, v8
	v_mul_f32_e32 v9, v9, v8
	s_waitcnt lgkmcnt(0)
	v_fmac_f32_e32 v63, v9, v10
	buffer_load_dword v9, off, s[36:39], 0 offset:72 ; 4-byte Folded Reload
	buffer_load_dword v10, off, s[36:39], 0 offset:76 ; 4-byte Folded Reload
	v_add_f32_e32 v3, v3, v8
	;; [unrolled: 26-line block ×4, first 2 shown]
	s_waitcnt vmcnt(1)
	v_add_co_u32_e32 v11, vcc, v11, v33
	s_waitcnt vmcnt(0)
	v_addc_co_u32_e32 v12, vcc, v12, v34, vcc
	global_load_ushort v13, v[11:12], off
	s_nop 0
	buffer_load_dword v11, off, s[36:39], 0 offset:96 ; 4-byte Folded Reload
	buffer_load_dword v12, off, s[36:39], 0 offset:100 ; 4-byte Folded Reload
	s_waitcnt vmcnt(1)
	v_add_co_u32_e32 v11, vcc, v11, v33
	s_waitcnt vmcnt(0)
	v_addc_co_u32_e32 v12, vcc, v12, v34, vcc
	global_load_ushort v11, v[11:12], off
	v_lshlrev_b32_e32 v12, 16, v13
	ds_bpermute_b32 v13, v35, v6 offset:24
	s_waitcnt lgkmcnt(0)
	v_sub_f32_e32 v12, v12, v13
	ds_bpermute_b32 v13, v35, v5 offset:24
	s_waitcnt vmcnt(0)
	v_lshlrev_b32_e32 v11, 16, v11
	v_mul_f32_e32 v12, v12, v11
	s_waitcnt lgkmcnt(0)
	v_fmac_f32_e32 v63, v12, v13
	v_add_co_u32_e32 v12, vcc, v45, v33
	v_addc_co_u32_e32 v13, vcc, v46, v34, vcc
	global_load_ushort v14, v[12:13], off
	s_nop 0
	buffer_load_dword v12, off, s[36:39], 0 offset:112 ; 4-byte Folded Reload
	buffer_load_dword v13, off, s[36:39], 0 offset:116 ; 4-byte Folded Reload
	v_add_f32_e32 v3, v3, v11
	s_waitcnt vmcnt(1)
	v_add_co_u32_e32 v12, vcc, v12, v33
	s_waitcnt vmcnt(0)
	v_addc_co_u32_e32 v13, vcc, v13, v34, vcc
	global_load_ushort v12, v[12:13], off
	v_lshlrev_b32_e32 v13, 16, v14
	ds_bpermute_b32 v14, v35, v6 offset:28
	s_waitcnt lgkmcnt(0)
	v_sub_f32_e32 v13, v13, v14
	ds_bpermute_b32 v14, v35, v5 offset:28
	s_waitcnt vmcnt(0)
	v_lshlrev_b32_e32 v12, 16, v12
	v_mul_f32_e32 v13, v13, v12
	s_waitcnt lgkmcnt(0)
	v_fmac_f32_e32 v63, v13, v14
	v_add_co_u32_e32 v13, vcc, v49, v33
	v_addc_co_u32_e32 v14, vcc, v50, v34, vcc
	global_load_ushort v15, v[13:14], off
	v_add_co_u32_e32 v13, vcc, v47, v33
	v_addc_co_u32_e32 v14, vcc, v48, v34, vcc
	global_load_ushort v13, v[13:14], off
	v_add_f32_e32 v3, v3, v12
	s_waitcnt vmcnt(1)
	v_lshlrev_b32_e32 v14, 16, v15
	ds_bpermute_b32 v15, v35, v6 offset:32
	s_waitcnt lgkmcnt(0)
	v_sub_f32_e32 v14, v14, v15
	s_waitcnt vmcnt(0)
	v_lshlrev_b32_e32 v15, 16, v13
	v_mul_f32_e32 v13, v14, v15
	ds_bpermute_b32 v14, v35, v5 offset:32
	v_add_f32_e32 v3, v3, v15
	s_waitcnt lgkmcnt(0)
	v_fmac_f32_e32 v63, v13, v14
	v_add_co_u32_e32 v13, vcc, v53, v33
	v_addc_co_u32_e32 v14, vcc, v54, v34, vcc
	global_load_ushort v16, v[13:14], off
	v_add_co_u32_e32 v13, vcc, v51, v33
	v_addc_co_u32_e32 v14, vcc, v52, v34, vcc
	global_load_ushort v13, v[13:14], off
	s_waitcnt vmcnt(1)
	v_lshlrev_b32_e32 v14, 16, v16
	ds_bpermute_b32 v16, v35, v6 offset:36
	s_waitcnt lgkmcnt(0)
	v_sub_f32_e32 v14, v14, v16
	s_waitcnt vmcnt(0)
	v_lshlrev_b32_e32 v16, 16, v13
	v_mul_f32_e32 v13, v14, v16
	ds_bpermute_b32 v14, v35, v5 offset:36
	v_add_f32_e32 v3, v3, v16
	s_waitcnt lgkmcnt(0)
	v_fmac_f32_e32 v63, v13, v14
	v_add_co_u32_e32 v13, vcc, v57, v33
	v_addc_co_u32_e32 v14, vcc, v58, v34, vcc
	global_load_ushort v17, v[13:14], off
	v_add_co_u32_e32 v13, vcc, v55, v33
	v_addc_co_u32_e32 v14, vcc, v56, v34, vcc
	global_load_ushort v13, v[13:14], off
	;; [unrolled: 18-line block ×6, first 2 shown]
	s_waitcnt vmcnt(1)
	v_lshlrev_b32_e32 v14, 16, v38
	ds_bpermute_b32 v38, v35, v6 offset:56
	ds_bpermute_b32 v6, v35, v6 offset:60
	s_waitcnt lgkmcnt(1)
	v_sub_f32_e32 v14, v14, v38
	s_waitcnt vmcnt(0)
	v_lshlrev_b32_e32 v38, 16, v13
	v_mul_f32_e32 v13, v14, v38
	ds_bpermute_b32 v14, v35, v5 offset:56
	ds_bpermute_b32 v5, v35, v5 offset:60
	v_add_f32_e32 v3, v3, v38
	s_waitcnt lgkmcnt(1)
	v_fmac_f32_e32 v63, v13, v14
	v_add_co_u32_e32 v13, vcc, v31, v33
	v_addc_co_u32_e32 v14, vcc, v32, v34, vcc
	global_load_ushort v39, v[13:14], off
	v_add_co_u32_e32 v13, vcc, v29, v33
	v_addc_co_u32_e32 v14, vcc, v30, v34, vcc
	global_load_ushort v13, v[13:14], off
	s_waitcnt vmcnt(1)
	v_lshlrev_b32_e32 v14, 16, v39
	v_sub_f32_e32 v6, v14, v6
	s_waitcnt vmcnt(0)
	v_lshlrev_b32_e32 v13, 16, v13
	v_mul_f32_e32 v6, v6, v13
	s_waitcnt lgkmcnt(0)
	v_fmac_f32_e32 v63, v6, v5
	v_add_f32_e32 v5, v3, v13
	v_mov_b32_e32 v36, v63
.LBB105_130:                            ;   in Loop: Header=BB105_86 Depth=1
	buffer_load_dword v3, off, s[36:39], 0  ; 4-byte Folded Reload
	buffer_load_dword v4, off, s[36:39], 0 offset:4 ; 4-byte Folded Reload
	s_add_u32 s10, s10, s7
	s_addc_u32 s11, s11, 0
	s_add_u32 s24, s24, s7
	s_addc_u32 s25, s25, 0
	s_waitcnt vmcnt(1)
	v_add_co_u32_e32 v3, vcc, s8, v3
	buffer_store_dword v3, off, s[36:39], 0 ; 4-byte Folded Spill
	v_mov_b32_e32 v3, s9
	s_waitcnt vmcnt(1)
	v_addc_co_u32_e32 v4, vcc, v4, v3, vcc
	buffer_store_dword v4, off, s[36:39], 0 offset:4 ; 4-byte Folded Spill
	buffer_load_dword v4, off, s[36:39], 0 offset:8 ; 4-byte Folded Reload
	s_waitcnt vmcnt(0)
	v_add_co_u32_e32 v4, vcc, s8, v4
	buffer_store_dword v4, off, s[36:39], 0 offset:8 ; 4-byte Folded Spill
	buffer_load_dword v4, off, s[36:39], 0 offset:12 ; 4-byte Folded Reload
	s_waitcnt vmcnt(0)
	v_addc_co_u32_e32 v4, vcc, v4, v3, vcc
	buffer_store_dword v4, off, s[36:39], 0 offset:12 ; 4-byte Folded Spill
	buffer_load_dword v6, off, s[36:39], 0 offset:16 ; 4-byte Folded Reload
	buffer_load_dword v7, off, s[36:39], 0 offset:20 ; 4-byte Folded Reload
	s_waitcnt vmcnt(1)
	v_add_co_u32_e32 v6, vcc, s8, v6
	s_waitcnt vmcnt(0)
	v_addc_co_u32_e32 v7, vcc, v7, v3, vcc
	buffer_store_dword v6, off, s[36:39], 0 offset:16 ; 4-byte Folded Spill
	s_nop 0
	buffer_store_dword v7, off, s[36:39], 0 offset:20 ; 4-byte Folded Spill
	buffer_load_dword v6, off, s[36:39], 0 offset:32 ; 4-byte Folded Reload
	s_nop 0
	buffer_load_dword v7, off, s[36:39], 0 offset:36 ; 4-byte Folded Reload
	s_waitcnt vmcnt(1)
	v_add_co_u32_e32 v6, vcc, s8, v6
	s_waitcnt vmcnt(0)
	v_addc_co_u32_e32 v7, vcc, v7, v3, vcc
	buffer_store_dword v6, off, s[36:39], 0 offset:32 ; 4-byte Folded Spill
	s_nop 0
	buffer_store_dword v7, off, s[36:39], 0 offset:36 ; 4-byte Folded Spill
	buffer_load_dword v6, off, s[36:39], 0 offset:48 ; 4-byte Folded Reload
	s_nop 0
	buffer_load_dword v7, off, s[36:39], 0 offset:52 ; 4-byte Folded Reload
	s_waitcnt vmcnt(1)
	v_add_co_u32_e32 v6, vcc, s8, v6
	s_waitcnt vmcnt(0)
	v_addc_co_u32_e32 v7, vcc, v7, v3, vcc
	buffer_store_dword v6, off, s[36:39], 0 offset:48 ; 4-byte Folded Spill
	s_nop 0
	buffer_store_dword v7, off, s[36:39], 0 offset:52 ; 4-byte Folded Spill
	buffer_load_dword v6, off, s[36:39], 0 offset:64 ; 4-byte Folded Reload
	s_nop 0
	buffer_load_dword v7, off, s[36:39], 0 offset:68 ; 4-byte Folded Reload
	s_waitcnt vmcnt(1)
	v_add_co_u32_e32 v6, vcc, s8, v6
	s_waitcnt vmcnt(0)
	v_addc_co_u32_e32 v7, vcc, v7, v3, vcc
	buffer_store_dword v6, off, s[36:39], 0 offset:64 ; 4-byte Folded Spill
	s_nop 0
	buffer_store_dword v7, off, s[36:39], 0 offset:68 ; 4-byte Folded Spill
	buffer_load_dword v6, off, s[36:39], 0 offset:80 ; 4-byte Folded Reload
	s_nop 0
	buffer_load_dword v7, off, s[36:39], 0 offset:84 ; 4-byte Folded Reload
	s_waitcnt vmcnt(1)
	v_add_co_u32_e32 v6, vcc, s8, v6
	s_waitcnt vmcnt(0)
	v_addc_co_u32_e32 v7, vcc, v7, v3, vcc
	buffer_store_dword v6, off, s[36:39], 0 offset:80 ; 4-byte Folded Spill
	s_nop 0
	buffer_store_dword v7, off, s[36:39], 0 offset:84 ; 4-byte Folded Spill
	buffer_load_dword v6, off, s[36:39], 0 offset:96 ; 4-byte Folded Reload
	s_nop 0
	buffer_load_dword v7, off, s[36:39], 0 offset:100 ; 4-byte Folded Reload
	s_waitcnt vmcnt(1)
	v_add_co_u32_e32 v6, vcc, s8, v6
	s_waitcnt vmcnt(0)
	v_addc_co_u32_e32 v7, vcc, v7, v3, vcc
	buffer_store_dword v6, off, s[36:39], 0 offset:96 ; 4-byte Folded Spill
	s_nop 0
	buffer_store_dword v7, off, s[36:39], 0 offset:100 ; 4-byte Folded Spill
	buffer_load_dword v6, off, s[36:39], 0 offset:112 ; 4-byte Folded Reload
	s_nop 0
	buffer_load_dword v7, off, s[36:39], 0 offset:116 ; 4-byte Folded Reload
	s_waitcnt vmcnt(1)
	v_add_co_u32_e32 v6, vcc, s8, v6
	s_waitcnt vmcnt(0)
	v_addc_co_u32_e32 v7, vcc, v7, v3, vcc
	buffer_store_dword v6, off, s[36:39], 0 offset:112 ; 4-byte Folded Spill
	s_nop 0
	buffer_store_dword v7, off, s[36:39], 0 offset:116 ; 4-byte Folded Spill
	buffer_load_dword v6, off, s[36:39], 0 offset:24 ; 4-byte Folded Reload
	s_nop 0
	buffer_load_dword v7, off, s[36:39], 0 offset:28 ; 4-byte Folded Reload
	v_add_co_u32_e32 v47, vcc, s8, v47
	v_addc_co_u32_e32 v48, vcc, v48, v3, vcc
	v_add_co_u32_e32 v51, vcc, s8, v51
	v_addc_co_u32_e32 v52, vcc, v52, v3, vcc
	;; [unrolled: 2-line block ×8, first 2 shown]
	s_waitcnt vmcnt(1)
	v_add_co_u32_e32 v6, vcc, s8, v6
	s_waitcnt vmcnt(0)
	v_addc_co_u32_e32 v7, vcc, v7, v3, vcc
	buffer_store_dword v6, off, s[36:39], 0 offset:24 ; 4-byte Folded Spill
	s_nop 0
	buffer_store_dword v7, off, s[36:39], 0 offset:28 ; 4-byte Folded Spill
	buffer_load_dword v6, off, s[36:39], 0 offset:40 ; 4-byte Folded Reload
	s_nop 0
	buffer_load_dword v7, off, s[36:39], 0 offset:44 ; 4-byte Folded Reload
	s_waitcnt vmcnt(1)
	v_add_co_u32_e32 v6, vcc, s8, v6
	s_waitcnt vmcnt(0)
	v_addc_co_u32_e32 v7, vcc, v7, v3, vcc
	buffer_store_dword v6, off, s[36:39], 0 offset:40 ; 4-byte Folded Spill
	s_nop 0
	buffer_store_dword v7, off, s[36:39], 0 offset:44 ; 4-byte Folded Spill
	buffer_load_dword v6, off, s[36:39], 0 offset:56 ; 4-byte Folded Reload
	s_nop 0
	buffer_load_dword v7, off, s[36:39], 0 offset:60 ; 4-byte Folded Reload
	;; [unrolled: 10-line block ×5, first 2 shown]
	s_waitcnt vmcnt(1)
	v_add_co_u32_e32 v6, vcc, s8, v6
	s_waitcnt vmcnt(0)
	v_addc_co_u32_e32 v7, vcc, v7, v3, vcc
	buffer_store_dword v6, off, s[36:39], 0 offset:104 ; 4-byte Folded Spill
	s_nop 0
	buffer_store_dword v7, off, s[36:39], 0 offset:108 ; 4-byte Folded Spill
	buffer_load_dword v4, off, s[36:39], 0 offset:120 ; 4-byte Folded Reload
	v_add_co_u32_e32 v45, vcc, s8, v45
	v_addc_co_u32_e32 v46, vcc, v46, v3, vcc
	v_add_co_u32_e32 v49, vcc, s8, v49
	v_addc_co_u32_e32 v50, vcc, v50, v3, vcc
	;; [unrolled: 2-line block ×9, first 2 shown]
	s_waitcnt vmcnt(0)
	v_add_co_u32_e32 v4, vcc, s8, v4
	buffer_store_dword v4, off, s[36:39], 0 offset:120 ; 4-byte Folded Spill
	buffer_load_dword v4, off, s[36:39], 0 offset:124 ; 4-byte Folded Reload
	s_waitcnt vmcnt(0)
	v_addc_co_u32_e32 v4, vcc, v4, v3, vcc
	buffer_store_dword v4, off, s[36:39], 0 offset:124 ; 4-byte Folded Spill
	buffer_load_dword v4, off, s[36:39], 0 offset:128 ; 4-byte Folded Reload
	s_waitcnt vmcnt(0)
	v_add_co_u32_e32 v4, vcc, s8, v4
	buffer_store_dword v4, off, s[36:39], 0 offset:128 ; 4-byte Folded Spill
	buffer_load_dword v4, off, s[36:39], 0 offset:132 ; 4-byte Folded Reload
	s_waitcnt vmcnt(0)
	v_addc_co_u32_e32 v4, vcc, v4, v3, vcc
	buffer_store_dword v4, off, s[36:39], 0 offset:132 ; 4-byte Folded Spill
	buffer_load_dword v4, off, s[36:39], 0 offset:136 ; 4-byte Folded Reload
	;; [unrolled: 8-line block ×29, first 2 shown]
	s_waitcnt vmcnt(0)
	v_add_co_u32_e32 v4, vcc, s8, v4
	buffer_store_dword v4, off, s[36:39], 0 offset:356 ; 4-byte Folded Spill
	buffer_load_dword v4, off, s[36:39], 0 offset:360 ; 4-byte Folded Reload
	s_waitcnt vmcnt(0)
	v_addc_co_u32_e32 v4, vcc, v4, v3, vcc
	buffer_store_dword v4, off, s[36:39], 0 offset:360 ; 4-byte Folded Spill
	v_mov_b32_e32 v3, s12
	v_mov_b32_e32 v4, s13
	v_cmp_ge_i64_e32 vcc, s[10:11], v[3:4]
	s_cbranch_vccnz .LBB105_132
; %bb.131:                              ;   in Loop: Header=BB105_86 Depth=1
	v_mov_b32_e32 v40, v5
	v_mov_b32_e32 v63, v36
	s_branch .LBB105_86
.LBB105_132:
	buffer_load_dword v15, off, s[36:39], 0 offset:364 ; 4-byte Folded Reload
.LBB105_133:
	buffer_load_dword v1, off, s[36:39], 0 offset:216 ; 4-byte Folded Reload
	s_movk_i32 s0, 0x41
	s_waitcnt vmcnt(0)
	v_mad_u32_u24 v0, v1, s0, v15
	v_lshl_add_u32 v0, v0, 2, 0
	ds_write_b32 v0, v36
	ds_write_b32 v0, v5 offset:4160
	v_lshrrev_b32_e32 v0, 6, v15
	v_add_u32_e32 v2, v0, v1
	v_cmp_gt_u32_e32 vcc, 64, v2
	s_waitcnt lgkmcnt(0)
	s_barrier
	s_and_saveexec_b64 s[0:1], vcc
	s_cbranch_execz .LBB105_165
; %bb.134:
	s_load_dwordx4 s[8:11], s[4:5], 0x30
	v_and_b32_e32 v0, 63, v15
	v_cmp_gt_u32_e64 s[0:1], 16, v0
	v_mul_u32_u24_e32 v3, 0x41, v0
                                        ; implicit-def: $vgpr0
                                        ; implicit-def: $vgpr1
	s_and_saveexec_b64 s[2:3], s[0:1]
	s_cbranch_execz .LBB105_136
; %bb.135:
	v_add_u32_e32 v0, v2, v3
	v_lshl_add_u32 v0, v0, 2, 0
	ds_read_b32 v1, v0
	ds_read_b32 v0, v0 offset:4160
.LBB105_136:
	s_or_b64 exec, exec, s[2:3]
	v_mbcnt_lo_u32_b32 v4, -1, 0
	v_mbcnt_hi_u32_b32 v7, -1, v4
	v_and_b32_e32 v4, 64, v7
	v_add_u32_e32 v8, 64, v4
	v_xor_b32_e32 v4, 8, v7
	v_cmp_lt_i32_e32 vcc, v4, v8
	v_cndmask_b32_e32 v4, v7, v4, vcc
	v_lshlrev_b32_e32 v4, 2, v4
	s_waitcnt lgkmcnt(0)
	ds_bpermute_b32 v5, v4, v1
	v_xor_b32_e32 v6, 4, v7
	v_cmp_lt_i32_e32 vcc, v6, v8
	ds_bpermute_b32 v9, v4, v0
	s_mov_b32 s7, 0
	s_waitcnt lgkmcnt(1)
	v_add_f32_e32 v1, v1, v5
	v_cndmask_b32_e32 v5, v7, v6, vcc
	v_lshlrev_b32_e32 v5, 2, v5
	ds_bpermute_b32 v6, v5, v1
	s_waitcnt lgkmcnt(1)
	v_add_f32_e32 v0, v0, v9
	ds_bpermute_b32 v9, v5, v0
	s_lshl_b64 s[4:5], s[6:7], 6
	s_cmp_lg_u64 s[8:9], 0
	s_waitcnt lgkmcnt(1)
	v_add_f32_e32 v1, v1, v6
	v_xor_b32_e32 v6, 2, v7
	v_cmp_lt_i32_e32 vcc, v6, v8
	v_cndmask_b32_e32 v6, v7, v6, vcc
	v_lshlrev_b32_e32 v6, 2, v6
	ds_bpermute_b32 v10, v6, v1
	s_waitcnt lgkmcnt(1)
	v_add_f32_e32 v0, v0, v9
	ds_bpermute_b32 v9, v6, v0
	v_cmp_eq_u32_e64 s[2:3], 0, v15
	s_cselect_b64 s[12:13], -1, 0
	s_waitcnt lgkmcnt(1)
	v_add_f32_e32 v1, v1, v10
	v_xor_b32_e32 v10, 1, v7
	v_cmp_lt_i32_e32 vcc, v10, v8
	v_cndmask_b32_e32 v7, v7, v10, vcc
	v_lshlrev_b32_e32 v7, 2, v7
	ds_bpermute_b32 v8, v7, v1
	s_waitcnt lgkmcnt(1)
	v_add_f32_e32 v9, v0, v9
	ds_bpermute_b32 v10, v7, v9
	v_or_b32_e32 v0, s4, v2
	s_cmp_lg_u64 s[10:11], 0
	s_waitcnt lgkmcnt(1)
	v_add_f32_e32 v8, v1, v8
	v_mov_b32_e32 v1, s5
	v_cmp_gt_i64_e32 vcc, s[14:15], v[0:1]
	s_cselect_b64 s[6:7], -1, 0
	s_waitcnt lgkmcnt(0)
	v_add_f32_e32 v9, v9, v10
	s_and_b64 s[18:19], s[2:3], vcc
	s_and_saveexec_b64 s[16:17], s[18:19]
	s_cbranch_execz .LBB105_141
; %bb.137:
	v_lshlrev_b64 v[0:1], 1, v[0:1]
	s_andn2_b64 vcc, exec, s[12:13]
	s_cbranch_vccnz .LBB105_139
; %bb.138:
	v_bfe_u32 v10, v8, 16, 1
	s_movk_i32 s18, 0x7fff
	v_add3_u32 v10, v8, v10, s18
	v_cmp_o_f32_e32 vcc, v8, v8
	v_mov_b32_e32 v11, 0x7fc0
	v_cndmask_b32_sdwa v12, v11, v10, vcc dst_sel:DWORD dst_unused:UNUSED_PAD src0_sel:DWORD src1_sel:WORD_1
	v_mov_b32_e32 v11, s9
	v_add_co_u32_e32 v10, vcc, s8, v0
	v_addc_co_u32_e32 v11, vcc, v11, v1, vcc
	global_store_short v[10:11], v12, off
.LBB105_139:
	s_andn2_b64 vcc, exec, s[6:7]
	s_cbranch_vccnz .LBB105_141
; %bb.140:
	v_bfe_u32 v10, v9, 16, 1
	s_movk_i32 s18, 0x7fff
	v_add3_u32 v10, v9, v10, s18
	v_cmp_o_f32_e32 vcc, v9, v9
	v_mov_b32_e32 v11, 0x7fc0
	v_cndmask_b32_sdwa v10, v11, v10, vcc dst_sel:DWORD dst_unused:UNUSED_PAD src0_sel:DWORD src1_sel:WORD_1
	v_mov_b32_e32 v11, s11
	v_add_co_u32_e32 v0, vcc, s10, v0
	v_addc_co_u32_e32 v1, vcc, v11, v1, vcc
	global_store_short v[0:1], v10, off
.LBB105_141:
	s_or_b64 exec, exec, s[16:17]
	v_cmp_gt_u32_e32 vcc, 48, v2
	s_and_b64 exec, exec, vcc
	s_cbranch_execz .LBB105_165
; %bb.142:
	s_and_saveexec_b64 s[16:17], s[0:1]
	s_cbranch_execz .LBB105_144
; %bb.143:
	v_add_u32_e32 v0, v2, v3
	v_lshl_add_u32 v0, v0, 2, 0
	ds_read_b32 v8, v0 offset:64
	ds_read_b32 v9, v0 offset:4224
.LBB105_144:
	s_or_b64 exec, exec, s[16:17]
	s_waitcnt lgkmcnt(1)
	ds_bpermute_b32 v0, v4, v8
	s_waitcnt lgkmcnt(1)
	ds_bpermute_b32 v1, v4, v9
	v_add_u32_e32 v10, 16, v2
	v_mov_b32_e32 v11, s5
	s_waitcnt lgkmcnt(1)
	v_add_f32_e32 v0, v8, v0
	s_waitcnt lgkmcnt(0)
	v_add_f32_e32 v1, v9, v1
	ds_bpermute_b32 v8, v5, v0
	ds_bpermute_b32 v9, v5, v1
	s_waitcnt lgkmcnt(1)
	v_add_f32_e32 v0, v0, v8
	s_waitcnt lgkmcnt(0)
	v_add_f32_e32 v1, v1, v9
	ds_bpermute_b32 v8, v6, v0
	ds_bpermute_b32 v9, v6, v1
	;; [unrolled: 6-line block ×3, first 2 shown]
	v_add_co_u32_e32 v0, vcc, s4, v10
	v_addc_co_u32_e32 v1, vcc, 0, v11, vcc
	v_cmp_gt_i64_e32 vcc, s[14:15], v[0:1]
	s_waitcnt lgkmcnt(1)
	v_add_f32_e32 v0, v8, v12
	s_waitcnt lgkmcnt(0)
	v_add_f32_e32 v1, v9, v13
	s_and_b64 s[18:19], s[2:3], vcc
	s_and_saveexec_b64 s[16:17], s[18:19]
	s_cbranch_execz .LBB105_149
; %bb.145:
	s_andn2_b64 vcc, exec, s[12:13]
	s_cbranch_vccnz .LBB105_147
; %bb.146:
	v_bfe_u32 v8, v0, 16, 1
	s_movk_i32 s18, 0x7fff
	v_add3_u32 v8, v0, v8, s18
	v_cmp_o_f32_e32 vcc, v0, v0
	v_mov_b32_e32 v9, 0x7fc0
	v_cndmask_b32_sdwa v10, v9, v8, vcc dst_sel:DWORD dst_unused:UNUSED_PAD src0_sel:DWORD src1_sel:WORD_1
	v_mov_b32_e32 v9, s5
	v_add_co_u32_e32 v8, vcc, s4, v2
	v_addc_co_u32_e32 v9, vcc, 0, v9, vcc
	v_lshlrev_b64 v[8:9], 1, v[8:9]
	v_mov_b32_e32 v11, s9
	v_add_co_u32_e32 v8, vcc, s8, v8
	v_addc_co_u32_e32 v9, vcc, v11, v9, vcc
	global_store_short v[8:9], v10, off offset:32
.LBB105_147:
	s_andn2_b64 vcc, exec, s[6:7]
	s_cbranch_vccnz .LBB105_149
; %bb.148:
	v_bfe_u32 v8, v1, 16, 1
	s_movk_i32 s18, 0x7fff
	v_add3_u32 v8, v1, v8, s18
	v_cmp_o_f32_e32 vcc, v1, v1
	v_mov_b32_e32 v9, 0x7fc0
	v_cndmask_b32_sdwa v10, v9, v8, vcc dst_sel:DWORD dst_unused:UNUSED_PAD src0_sel:DWORD src1_sel:WORD_1
	v_mov_b32_e32 v9, s5
	v_add_co_u32_e32 v8, vcc, s4, v2
	v_addc_co_u32_e32 v9, vcc, 0, v9, vcc
	v_lshlrev_b64 v[8:9], 1, v[8:9]
	v_mov_b32_e32 v11, s11
	v_add_co_u32_e32 v8, vcc, s10, v8
	v_addc_co_u32_e32 v9, vcc, v11, v9, vcc
	global_store_short v[8:9], v10, off offset:32
.LBB105_149:
	s_or_b64 exec, exec, s[16:17]
	v_cmp_gt_u32_e32 vcc, 32, v2
	s_and_b64 exec, exec, vcc
	s_cbranch_execz .LBB105_165
; %bb.150:
	s_and_saveexec_b64 s[16:17], s[0:1]
	s_cbranch_execz .LBB105_152
; %bb.151:
	v_add_u32_e32 v0, v2, v3
	v_lshl_add_u32 v1, v0, 2, 0
	ds_read_b32 v0, v1 offset:128
	ds_read_b32 v1, v1 offset:4288
.LBB105_152:
	s_or_b64 exec, exec, s[16:17]
	s_waitcnt lgkmcnt(1)
	ds_bpermute_b32 v8, v4, v0
	s_waitcnt lgkmcnt(1)
	ds_bpermute_b32 v9, v4, v1
	v_add_u32_e32 v10, 32, v2
	s_waitcnt lgkmcnt(1)
	v_add_f32_e32 v0, v0, v8
	s_waitcnt lgkmcnt(0)
	v_add_f32_e32 v1, v1, v9
	ds_bpermute_b32 v8, v5, v0
	ds_bpermute_b32 v9, v5, v1
	s_waitcnt lgkmcnt(1)
	v_add_f32_e32 v0, v0, v8
	s_waitcnt lgkmcnt(0)
	v_add_f32_e32 v1, v1, v9
	ds_bpermute_b32 v8, v6, v0
	ds_bpermute_b32 v9, v6, v1
	;; [unrolled: 6-line block ×3, first 2 shown]
	v_mov_b32_e32 v1, s5
	v_or_b32_e32 v0, s4, v10
	v_cmp_gt_i64_e32 vcc, s[14:15], v[0:1]
	s_waitcnt lgkmcnt(1)
	v_add_f32_e32 v0, v8, v11
	s_waitcnt lgkmcnt(0)
	v_add_f32_e32 v1, v9, v12
	s_and_b64 s[18:19], s[2:3], vcc
	s_and_saveexec_b64 s[16:17], s[18:19]
	s_cbranch_execz .LBB105_157
; %bb.153:
	s_andn2_b64 vcc, exec, s[12:13]
	s_cbranch_vccnz .LBB105_155
; %bb.154:
	v_bfe_u32 v8, v0, 16, 1
	s_movk_i32 s18, 0x7fff
	v_add3_u32 v8, v0, v8, s18
	v_cmp_o_f32_e32 vcc, v0, v0
	v_mov_b32_e32 v9, 0x7fc0
	v_cndmask_b32_sdwa v10, v9, v8, vcc dst_sel:DWORD dst_unused:UNUSED_PAD src0_sel:DWORD src1_sel:WORD_1
	v_mov_b32_e32 v9, s5
	v_add_co_u32_e32 v8, vcc, s4, v2
	v_addc_co_u32_e32 v9, vcc, 0, v9, vcc
	v_lshlrev_b64 v[8:9], 1, v[8:9]
	v_mov_b32_e32 v11, s9
	v_add_co_u32_e32 v8, vcc, s8, v8
	v_addc_co_u32_e32 v9, vcc, v11, v9, vcc
	global_store_short v[8:9], v10, off offset:64
.LBB105_155:
	s_andn2_b64 vcc, exec, s[6:7]
	s_cbranch_vccnz .LBB105_157
; %bb.156:
	v_bfe_u32 v8, v1, 16, 1
	s_movk_i32 s18, 0x7fff
	v_add3_u32 v8, v1, v8, s18
	v_cmp_o_f32_e32 vcc, v1, v1
	v_mov_b32_e32 v9, 0x7fc0
	v_cndmask_b32_sdwa v10, v9, v8, vcc dst_sel:DWORD dst_unused:UNUSED_PAD src0_sel:DWORD src1_sel:WORD_1
	v_mov_b32_e32 v9, s5
	v_add_co_u32_e32 v8, vcc, s4, v2
	v_addc_co_u32_e32 v9, vcc, 0, v9, vcc
	v_lshlrev_b64 v[8:9], 1, v[8:9]
	v_mov_b32_e32 v11, s11
	v_add_co_u32_e32 v8, vcc, s10, v8
	v_addc_co_u32_e32 v9, vcc, v11, v9, vcc
	global_store_short v[8:9], v10, off offset:64
.LBB105_157:
	s_or_b64 exec, exec, s[16:17]
	v_cmp_gt_u32_e32 vcc, 16, v2
	s_and_b64 exec, exec, vcc
	s_cbranch_execz .LBB105_165
; %bb.158:
	s_and_saveexec_b64 s[16:17], s[0:1]
	s_cbranch_execz .LBB105_160
; %bb.159:
	v_add_u32_e32 v0, v2, v3
	v_lshl_add_u32 v1, v0, 2, 0
	ds_read_b32 v0, v1 offset:192
	ds_read_b32 v1, v1 offset:4352
.LBB105_160:
	s_or_b64 exec, exec, s[16:17]
	s_waitcnt lgkmcnt(1)
	ds_bpermute_b32 v3, v4, v0
	s_waitcnt lgkmcnt(1)
	ds_bpermute_b32 v4, v4, v1
	s_waitcnt lgkmcnt(1)
	v_add_f32_e32 v0, v0, v3
	s_waitcnt lgkmcnt(0)
	v_add_f32_e32 v1, v1, v4
	ds_bpermute_b32 v3, v5, v0
	ds_bpermute_b32 v4, v5, v1
	v_add_u32_e32 v5, 48, v2
	v_or_b32_e32 v5, s4, v5
	s_waitcnt lgkmcnt(1)
	v_add_f32_e32 v0, v0, v3
	s_waitcnt lgkmcnt(0)
	v_add_f32_e32 v1, v1, v4
	ds_bpermute_b32 v3, v6, v0
	ds_bpermute_b32 v4, v6, v1
	v_mov_b32_e32 v6, s5
	v_cmp_gt_i64_e32 vcc, s[14:15], v[5:6]
	s_waitcnt lgkmcnt(1)
	v_add_f32_e32 v3, v0, v3
	s_waitcnt lgkmcnt(0)
	v_add_f32_e32 v0, v1, v4
	ds_bpermute_b32 v4, v7, v3
	ds_bpermute_b32 v1, v7, v0
	s_and_b64 s[0:1], s[2:3], vcc
	s_and_b64 exec, exec, s[0:1]
	s_cbranch_execz .LBB105_165
; %bb.161:
	s_andn2_b64 vcc, exec, s[12:13]
	s_cbranch_vccnz .LBB105_163
; %bb.162:
	s_waitcnt lgkmcnt(1)
	v_add_f32_e32 v3, v3, v4
	v_bfe_u32 v4, v3, 16, 1
	s_movk_i32 s0, 0x7fff
	v_add3_u32 v4, v3, v4, s0
	v_cmp_o_f32_e32 vcc, v3, v3
	v_mov_b32_e32 v3, 0x7fc0
	v_cndmask_b32_sdwa v5, v3, v4, vcc dst_sel:DWORD dst_unused:UNUSED_PAD src0_sel:DWORD src1_sel:WORD_1
	v_mov_b32_e32 v4, s5
	v_add_co_u32_e32 v3, vcc, s4, v2
	v_addc_co_u32_e32 v4, vcc, 0, v4, vcc
	v_lshlrev_b64 v[3:4], 1, v[3:4]
	v_mov_b32_e32 v6, s9
	v_add_co_u32_e32 v3, vcc, s8, v3
	v_addc_co_u32_e32 v4, vcc, v6, v4, vcc
	global_store_short v[3:4], v5, off offset:96
.LBB105_163:
	s_andn2_b64 vcc, exec, s[6:7]
	s_cbranch_vccnz .LBB105_165
; %bb.164:
	s_waitcnt lgkmcnt(0)
	v_add_f32_e32 v0, v0, v1
	v_bfe_u32 v1, v0, 16, 1
	s_movk_i32 s0, 0x7fff
	v_add3_u32 v1, v0, v1, s0
	v_cmp_o_f32_e32 vcc, v0, v0
	v_mov_b32_e32 v0, 0x7fc0
	v_cndmask_b32_sdwa v3, v0, v1, vcc dst_sel:DWORD dst_unused:UNUSED_PAD src0_sel:DWORD src1_sel:WORD_1
	v_mov_b32_e32 v1, s5
	v_add_co_u32_e32 v0, vcc, s4, v2
	v_addc_co_u32_e32 v1, vcc, 0, v1, vcc
	v_lshlrev_b64 v[0:1], 1, v[0:1]
	v_mov_b32_e32 v2, s11
	v_add_co_u32_e32 v0, vcc, s10, v0
	v_addc_co_u32_e32 v1, vcc, v2, v1, vcc
	global_store_short v[0:1], v3, off offset:96
.LBB105_165:
	s_endpgm
	.section	.rodata,"a",@progbits
	.p2align	6, 0x0
	.amdhsa_kernel _ZN2at6native12_GLOBAL__N_135GammaBetaBackwardCUDAKernelTemplateIN3c108BFloat16EfLj64ELj16ELj256ELb0ELb0ELb0EEEvllPKT_S7_PKT0_SA_PS5_SB_
		.amdhsa_group_segment_fixed_size 0
		.amdhsa_private_segment_fixed_size 436
		.amdhsa_kernarg_size 320
		.amdhsa_user_sgpr_count 6
		.amdhsa_user_sgpr_private_segment_buffer 1
		.amdhsa_user_sgpr_dispatch_ptr 0
		.amdhsa_user_sgpr_queue_ptr 0
		.amdhsa_user_sgpr_kernarg_segment_ptr 1
		.amdhsa_user_sgpr_dispatch_id 0
		.amdhsa_user_sgpr_flat_scratch_init 0
		.amdhsa_user_sgpr_private_segment_size 0
		.amdhsa_uses_dynamic_stack 0
		.amdhsa_system_sgpr_private_segment_wavefront_offset 1
		.amdhsa_system_sgpr_workgroup_id_x 1
		.amdhsa_system_sgpr_workgroup_id_y 1
		.amdhsa_system_sgpr_workgroup_id_z 0
		.amdhsa_system_sgpr_workgroup_info 0
		.amdhsa_system_vgpr_workitem_id 1
		.amdhsa_next_free_vgpr 64
		.amdhsa_next_free_sgpr 40
		.amdhsa_reserve_vcc 1
		.amdhsa_reserve_flat_scratch 0
		.amdhsa_float_round_mode_32 0
		.amdhsa_float_round_mode_16_64 0
		.amdhsa_float_denorm_mode_32 3
		.amdhsa_float_denorm_mode_16_64 3
		.amdhsa_dx10_clamp 1
		.amdhsa_ieee_mode 1
		.amdhsa_fp16_overflow 0
		.amdhsa_exception_fp_ieee_invalid_op 0
		.amdhsa_exception_fp_denorm_src 0
		.amdhsa_exception_fp_ieee_div_zero 0
		.amdhsa_exception_fp_ieee_overflow 0
		.amdhsa_exception_fp_ieee_underflow 0
		.amdhsa_exception_fp_ieee_inexact 0
		.amdhsa_exception_int_div_zero 0
	.end_amdhsa_kernel
	.section	.text._ZN2at6native12_GLOBAL__N_135GammaBetaBackwardCUDAKernelTemplateIN3c108BFloat16EfLj64ELj16ELj256ELb0ELb0ELb0EEEvllPKT_S7_PKT0_SA_PS5_SB_,"axG",@progbits,_ZN2at6native12_GLOBAL__N_135GammaBetaBackwardCUDAKernelTemplateIN3c108BFloat16EfLj64ELj16ELj256ELb0ELb0ELb0EEEvllPKT_S7_PKT0_SA_PS5_SB_,comdat
.Lfunc_end105:
	.size	_ZN2at6native12_GLOBAL__N_135GammaBetaBackwardCUDAKernelTemplateIN3c108BFloat16EfLj64ELj16ELj256ELb0ELb0ELb0EEEvllPKT_S7_PKT0_SA_PS5_SB_, .Lfunc_end105-_ZN2at6native12_GLOBAL__N_135GammaBetaBackwardCUDAKernelTemplateIN3c108BFloat16EfLj64ELj16ELj256ELb0ELb0ELb0EEEvllPKT_S7_PKT0_SA_PS5_SB_
                                        ; -- End function
	.set _ZN2at6native12_GLOBAL__N_135GammaBetaBackwardCUDAKernelTemplateIN3c108BFloat16EfLj64ELj16ELj256ELb0ELb0ELb0EEEvllPKT_S7_PKT0_SA_PS5_SB_.num_vgpr, 64
	.set _ZN2at6native12_GLOBAL__N_135GammaBetaBackwardCUDAKernelTemplateIN3c108BFloat16EfLj64ELj16ELj256ELb0ELb0ELb0EEEvllPKT_S7_PKT0_SA_PS5_SB_.num_agpr, 0
	.set _ZN2at6native12_GLOBAL__N_135GammaBetaBackwardCUDAKernelTemplateIN3c108BFloat16EfLj64ELj16ELj256ELb0ELb0ELb0EEEvllPKT_S7_PKT0_SA_PS5_SB_.numbered_sgpr, 40
	.set _ZN2at6native12_GLOBAL__N_135GammaBetaBackwardCUDAKernelTemplateIN3c108BFloat16EfLj64ELj16ELj256ELb0ELb0ELb0EEEvllPKT_S7_PKT0_SA_PS5_SB_.num_named_barrier, 0
	.set _ZN2at6native12_GLOBAL__N_135GammaBetaBackwardCUDAKernelTemplateIN3c108BFloat16EfLj64ELj16ELj256ELb0ELb0ELb0EEEvllPKT_S7_PKT0_SA_PS5_SB_.private_seg_size, 436
	.set _ZN2at6native12_GLOBAL__N_135GammaBetaBackwardCUDAKernelTemplateIN3c108BFloat16EfLj64ELj16ELj256ELb0ELb0ELb0EEEvllPKT_S7_PKT0_SA_PS5_SB_.uses_vcc, 1
	.set _ZN2at6native12_GLOBAL__N_135GammaBetaBackwardCUDAKernelTemplateIN3c108BFloat16EfLj64ELj16ELj256ELb0ELb0ELb0EEEvllPKT_S7_PKT0_SA_PS5_SB_.uses_flat_scratch, 0
	.set _ZN2at6native12_GLOBAL__N_135GammaBetaBackwardCUDAKernelTemplateIN3c108BFloat16EfLj64ELj16ELj256ELb0ELb0ELb0EEEvllPKT_S7_PKT0_SA_PS5_SB_.has_dyn_sized_stack, 0
	.set _ZN2at6native12_GLOBAL__N_135GammaBetaBackwardCUDAKernelTemplateIN3c108BFloat16EfLj64ELj16ELj256ELb0ELb0ELb0EEEvllPKT_S7_PKT0_SA_PS5_SB_.has_recursion, 0
	.set _ZN2at6native12_GLOBAL__N_135GammaBetaBackwardCUDAKernelTemplateIN3c108BFloat16EfLj64ELj16ELj256ELb0ELb0ELb0EEEvllPKT_S7_PKT0_SA_PS5_SB_.has_indirect_call, 0
	.section	.AMDGPU.csdata,"",@progbits
; Kernel info:
; codeLenInByte = 20904
; TotalNumSgprs: 44
; NumVgprs: 64
; ScratchSize: 436
; MemoryBound: 0
; FloatMode: 240
; IeeeMode: 1
; LDSByteSize: 0 bytes/workgroup (compile time only)
; SGPRBlocks: 5
; VGPRBlocks: 15
; NumSGPRsForWavesPerEU: 44
; NumVGPRsForWavesPerEU: 64
; Occupancy: 4
; WaveLimiterHint : 0
; COMPUTE_PGM_RSRC2:SCRATCH_EN: 1
; COMPUTE_PGM_RSRC2:USER_SGPR: 6
; COMPUTE_PGM_RSRC2:TRAP_HANDLER: 0
; COMPUTE_PGM_RSRC2:TGID_X_EN: 1
; COMPUTE_PGM_RSRC2:TGID_Y_EN: 1
; COMPUTE_PGM_RSRC2:TGID_Z_EN: 0
; COMPUTE_PGM_RSRC2:TIDIG_COMP_CNT: 1
	.section	.text._ZN2at6native12_GLOBAL__N_135GammaBetaBackwardCUDAKernelTemplateIN3c108BFloat16EfLj32ELj1ELj32ELb1ELb1ELb0EEEvllPKT_S7_PKT0_SA_PS5_SB_,"axG",@progbits,_ZN2at6native12_GLOBAL__N_135GammaBetaBackwardCUDAKernelTemplateIN3c108BFloat16EfLj32ELj1ELj32ELb1ELb1ELb0EEEvllPKT_S7_PKT0_SA_PS5_SB_,comdat
	.globl	_ZN2at6native12_GLOBAL__N_135GammaBetaBackwardCUDAKernelTemplateIN3c108BFloat16EfLj32ELj1ELj32ELb1ELb1ELb0EEEvllPKT_S7_PKT0_SA_PS5_SB_ ; -- Begin function _ZN2at6native12_GLOBAL__N_135GammaBetaBackwardCUDAKernelTemplateIN3c108BFloat16EfLj32ELj1ELj32ELb1ELb1ELb0EEEvllPKT_S7_PKT0_SA_PS5_SB_
	.p2align	8
	.type	_ZN2at6native12_GLOBAL__N_135GammaBetaBackwardCUDAKernelTemplateIN3c108BFloat16EfLj32ELj1ELj32ELb1ELb1ELb0EEEvllPKT_S7_PKT0_SA_PS5_SB_,@function
_ZN2at6native12_GLOBAL__N_135GammaBetaBackwardCUDAKernelTemplateIN3c108BFloat16EfLj32ELj1ELj32ELb1ELb1ELb0EEEvllPKT_S7_PKT0_SA_PS5_SB_: ; @_ZN2at6native12_GLOBAL__N_135GammaBetaBackwardCUDAKernelTemplateIN3c108BFloat16EfLj32ELj1ELj32ELb1ELb1ELb0EEEvllPKT_S7_PKT0_SA_PS5_SB_
; %bb.0:
	s_load_dwordx4 s[16:19], s[4:5], 0x0
	s_lshl_b32 s24, s7, 5
	s_mov_b32 s25, 0
	v_mov_b32_e32 v2, s24
	v_mov_b32_e32 v3, s25
	s_waitcnt lgkmcnt(0)
	v_cmp_gt_i64_e32 vcc, s[16:17], v[2:3]
	s_mov_b32 s2, s7
	s_cbranch_vccnz .LBB106_2
; %bb.1:
	s_add_u32 s26, s4, 64
	s_addc_u32 s27, s5, 0
	s_mov_b64 s[0:1], 0
	s_branch .LBB106_3
.LBB106_2:
	s_mov_b64 s[0:1], -1
                                        ; implicit-def: $sgpr26_sgpr27
.LBB106_3:
	s_load_dwordx4 s[20:23], s[4:5], 0x30
	v_mov_b32_e32 v12, 0
	s_andn2_b64 vcc, exec, s[0:1]
	v_mov_b32_e32 v6, 0
	s_cbranch_vccnz .LBB106_10
; %bb.4:
	s_load_dword s0, s[4:5], 0x4c
	s_load_dword s3, s[4:5], 0x44
	s_load_dwordx8 s[8:15], s[4:5], 0x10
	s_add_u32 s26, s4, 64
	s_addc_u32 s27, s5, 0
	s_waitcnt lgkmcnt(0)
	s_and_b32 s0, s0, 0xffff
	v_mad_u32_u24 v2, v1, s0, v0
	v_and_b32_e32 v12, 63, v2
	v_lshlrev_b32_e32 v2, 5, v1
	v_mbcnt_lo_u32_b32 v3, -1, 0
	v_mbcnt_hi_u32_b32 v3, -1, v3
	v_add_co_u32_e32 v20, vcc, s24, v2
	v_lshlrev_b32_e32 v3, 2, v3
	v_addc_co_u32_e64 v21, s[4:5], 0, 0, vcc
	v_and_b32_e32 v7, 0x100, v3
	v_mul_lo_u32 v4, s19, v20
	v_mul_lo_u32 v15, s18, v21
	v_mad_u64_u32 v[2:3], s[4:5], s18, v20, 0
	v_mov_b32_e32 v6, 0
	v_lshl_or_b32 v5, s6, 5, v0
	v_add3_u32 v3, v3, v15, v4
	v_lshlrev_b64 v[2:3], 1, v[2:3]
	v_lshlrev_b64 v[4:5], 1, v[5:6]
	s_lshl_b32 s28, s3, 5
	v_add_co_u32_e32 v15, vcc, v2, v4
	v_addc_co_u32_e32 v16, vcc, v3, v5, vcc
	v_add_co_u32_e32 v2, vcc, v20, v12
	v_addc_co_u32_e32 v3, vcc, 0, v21, vcc
	s_mul_i32 s3, s19, s28
	s_mul_hi_u32 s4, s18, s28
	s_mov_b32 s29, 0
	s_add_i32 s5, s4, s3
	s_mul_i32 s4, s18, s28
	v_lshlrev_b64 v[4:5], 2, v[2:3]
	v_cmp_gt_u32_e64 s[0:1], 32, v12
	v_or_b32_e32 v8, 4, v7
	v_or_b32_e32 v9, 8, v7
	;; [unrolled: 1-line block ×10, first 2 shown]
	s_lshl_b64 s[30:31], s[28:29], 2
	s_lshl_b64 s[34:35], s[4:5], 1
	;; [unrolled: 1-line block ×3, first 2 shown]
	v_or_b32_e32 v21, 44, v7
	v_or_b32_e32 v22, 48, v7
	;; [unrolled: 1-line block ×21, first 2 shown]
	v_mov_b32_e32 v12, v6
	s_branch .LBB106_7
.LBB106_5:                              ;   in Loop: Header=BB106_7 Depth=1
	s_or_b64 exec, exec, s[38:39]
.LBB106_6:                              ;   in Loop: Header=BB106_7 Depth=1
	s_or_b64 exec, exec, s[4:5]
	v_mov_b32_e32 v44, s11
	v_add_co_u32_e32 v45, vcc, s10, v15
	v_addc_co_u32_e32 v46, vcc, v44, v16, vcc
	global_load_ushort v51, v[45:46], off
	v_mov_b32_e32 v44, s9
	v_add_co_u32_e32 v47, vcc, s8, v15
	v_addc_co_u32_e32 v48, vcc, v44, v16, vcc
	global_load_ushort v52, v[47:48], off
	;; [unrolled: 4-line block ×3, first 2 shown]
	v_add_co_u32_e32 v47, vcc, s36, v47
	v_addc_co_u32_e32 v48, vcc, v48, v44, vcc
	global_load_ushort v54, v[47:48], off
	v_add_co_u32_e32 v49, vcc, s36, v45
	v_addc_co_u32_e32 v50, vcc, v46, v44, vcc
	v_add_co_u32_e32 v45, vcc, s36, v47
	v_addc_co_u32_e32 v46, vcc, v48, v44, vcc
	;; [unrolled: 2-line block ×3, first 2 shown]
	global_load_ushort v55, v[49:50], off
	v_add_co_u32_e32 v49, vcc, s36, v45
	v_addc_co_u32_e32 v50, vcc, v46, v44, vcc
	global_load_ushort v46, v[45:46], off
	s_add_u32 s24, s24, s28
	s_addc_u32 s25, s25, 0
	v_add_co_u32_e64 v15, s[4:5], s34, v15
	s_waitcnt vmcnt(5)
	v_lshlrev_b32_e32 v45, 16, v51
	ds_bpermute_b32 v51, v7, v43
	s_waitcnt lgkmcnt(0)
	v_sub_f32_e32 v45, v45, v51
	s_waitcnt vmcnt(4)
	v_lshlrev_b32_e32 v51, 16, v52
	v_add_f32_e32 v6, v6, v51
	v_mul_f32_e32 v45, v45, v51
	ds_bpermute_b32 v51, v7, v42
	s_waitcnt lgkmcnt(0)
	v_fmac_f32_e32 v12, v45, v51
	ds_bpermute_b32 v45, v8, v43
	v_add_co_u32_e32 v51, vcc, s36, v47
	v_addc_co_u32_e32 v52, vcc, v48, v44, vcc
	global_load_ushort v47, v[47:48], off
	s_waitcnt vmcnt(4)
	v_lshlrev_b32_e32 v48, 16, v53
	ds_bpermute_b32 v53, v8, v42
	s_waitcnt lgkmcnt(1)
	v_sub_f32_e32 v48, v48, v45
	s_waitcnt vmcnt(3)
	v_lshlrev_b32_e32 v45, 16, v54
	v_mul_f32_e32 v48, v48, v45
	v_add_f32_e32 v6, v6, v45
	s_waitcnt lgkmcnt(0)
	v_fmac_f32_e32 v12, v48, v53
	global_load_ushort v48, v[49:50], off
	v_add_co_u32_e32 v53, vcc, s36, v49
	ds_bpermute_b32 v49, v9, v43
	v_addc_co_u32_e32 v54, vcc, v50, v44, vcc
	s_waitcnt vmcnt(3)
	v_lshlrev_b32_e32 v50, 16, v55
	s_waitcnt vmcnt(2)
	v_lshlrev_b32_e32 v46, 16, v46
	s_waitcnt lgkmcnt(0)
	v_sub_f32_e32 v49, v50, v49
	ds_bpermute_b32 v50, v9, v42
	v_mul_f32_e32 v49, v49, v46
	global_load_ushort v55, v[51:52], off
	v_add_f32_e32 v6, v6, v46
	s_waitcnt lgkmcnt(0)
	v_fmac_f32_e32 v12, v49, v50
	v_add_co_u32_e32 v49, vcc, s36, v51
	ds_bpermute_b32 v51, v10, v43
	v_addc_co_u32_e32 v50, vcc, v52, v44, vcc
	ds_bpermute_b32 v52, v10, v42
	s_waitcnt vmcnt(2)
	v_lshlrev_b32_e32 v47, 16, v47
	s_waitcnt lgkmcnt(1)
	v_sub_f32_e32 v51, v47, v51
	s_waitcnt vmcnt(1)
	v_lshlrev_b32_e32 v47, 16, v48
	v_mul_f32_e32 v48, v51, v47
	s_waitcnt lgkmcnt(0)
	v_fmac_f32_e32 v12, v48, v52
	global_load_ushort v48, v[53:54], off
	v_add_co_u32_e32 v51, vcc, s36, v53
	ds_bpermute_b32 v53, v11, v43
	v_addc_co_u32_e32 v52, vcc, v54, v44, vcc
	v_add_f32_e32 v6, v6, v47
	s_waitcnt vmcnt(1)
	v_lshlrev_b32_e32 v54, 16, v55
	s_waitcnt lgkmcnt(0)
	v_sub_f32_e32 v53, v54, v53
	ds_bpermute_b32 v54, v11, v42
	s_waitcnt vmcnt(0)
	v_lshlrev_b32_e32 v48, 16, v48
	v_mul_f32_e32 v53, v53, v48
	s_waitcnt lgkmcnt(0)
	v_fmac_f32_e32 v12, v53, v54
	v_add_co_u32_e32 v53, vcc, s36, v49
	global_load_ushort v49, v[49:50], off
	v_addc_co_u32_e32 v54, vcc, v50, v44, vcc
	global_load_ushort v50, v[51:52], off
	v_add_co_u32_e32 v55, vcc, s36, v51
	ds_bpermute_b32 v51, v13, v43
	v_addc_co_u32_e32 v56, vcc, v52, v44, vcc
	v_add_f32_e32 v6, v6, v48
	s_waitcnt vmcnt(1)
	v_lshlrev_b32_e32 v49, 16, v49
	s_waitcnt lgkmcnt(0)
	v_sub_f32_e32 v51, v49, v51
	s_waitcnt vmcnt(0)
	v_lshlrev_b32_e32 v49, 16, v50
	v_mul_f32_e32 v50, v51, v49
	ds_bpermute_b32 v51, v13, v42
	v_add_f32_e32 v6, v6, v49
	s_waitcnt lgkmcnt(0)
	v_fmac_f32_e32 v12, v50, v51
	v_add_co_u32_e32 v51, vcc, s36, v53
	v_addc_co_u32_e32 v52, vcc, v54, v44, vcc
	global_load_ushort v50, v[53:54], off
	v_add_co_u32_e32 v53, vcc, s36, v55
	global_load_ushort v55, v[55:56], off
	v_addc_co_u32_e32 v54, vcc, v56, v44, vcc
	ds_bpermute_b32 v56, v14, v43
	s_waitcnt vmcnt(1)
	v_lshlrev_b32_e32 v50, 16, v50
	s_waitcnt lgkmcnt(0)
	v_sub_f32_e32 v56, v50, v56
	s_waitcnt vmcnt(0)
	v_lshlrev_b32_e32 v50, 16, v55
	v_mul_f32_e32 v55, v56, v50
	ds_bpermute_b32 v56, v14, v42
	v_add_f32_e32 v6, v6, v50
	s_waitcnt lgkmcnt(0)
	v_fmac_f32_e32 v12, v55, v56
	v_add_co_u32_e32 v55, vcc, s36, v51
	global_load_ushort v51, v[51:52], off
	v_addc_co_u32_e32 v56, vcc, v52, v44, vcc
	global_load_ushort v52, v[53:54], off
	v_add_co_u32_e32 v57, vcc, s36, v53
	ds_bpermute_b32 v53, v17, v43
	v_addc_co_u32_e32 v58, vcc, v54, v44, vcc
	s_waitcnt vmcnt(1)
	v_lshlrev_b32_e32 v51, 16, v51
	s_waitcnt lgkmcnt(0)
	v_sub_f32_e32 v53, v51, v53
	s_waitcnt vmcnt(0)
	v_lshlrev_b32_e32 v51, 16, v52
	v_mul_f32_e32 v52, v53, v51
	ds_bpermute_b32 v53, v17, v42
	v_add_f32_e32 v6, v6, v51
	s_waitcnt lgkmcnt(0)
	v_fmac_f32_e32 v12, v52, v53
	v_add_co_u32_e32 v53, vcc, s36, v55
	v_addc_co_u32_e32 v54, vcc, v56, v44, vcc
	global_load_ushort v52, v[55:56], off
	v_add_co_u32_e32 v55, vcc, s36, v57
	global_load_ushort v57, v[57:58], off
	v_addc_co_u32_e32 v56, vcc, v58, v44, vcc
	ds_bpermute_b32 v58, v18, v43
	s_waitcnt vmcnt(1)
	v_lshlrev_b32_e32 v52, 16, v52
	s_waitcnt lgkmcnt(0)
	v_sub_f32_e32 v58, v52, v58
	s_waitcnt vmcnt(0)
	v_lshlrev_b32_e32 v52, 16, v57
	v_mul_f32_e32 v57, v58, v52
	ds_bpermute_b32 v58, v18, v42
	v_add_f32_e32 v6, v6, v52
	s_waitcnt lgkmcnt(0)
	v_fmac_f32_e32 v12, v57, v58
	v_add_co_u32_e32 v57, vcc, s36, v53
	global_load_ushort v53, v[53:54], off
	v_addc_co_u32_e32 v58, vcc, v54, v44, vcc
	global_load_ushort v54, v[55:56], off
	v_add_co_u32_e32 v59, vcc, s36, v55
	ds_bpermute_b32 v55, v19, v43
	v_addc_co_u32_e32 v60, vcc, v56, v44, vcc
	;; [unrolled: 36-line block ×6, first 2 shown]
	s_waitcnt vmcnt(1)
	v_lshlrev_b32_e32 v61, 16, v61
	s_waitcnt lgkmcnt(0)
	v_sub_f32_e32 v63, v61, v63
	s_waitcnt vmcnt(0)
	v_lshlrev_b32_e32 v61, 16, v62
	v_mul_f32_e32 v62, v63, v61
	ds_bpermute_b32 v63, v27, v42
	v_add_f32_e32 v6, v6, v61
	s_waitcnt lgkmcnt(0)
	v_fmac_f32_e32 v12, v62, v63
	v_add_co_u32_e32 v62, vcc, s36, v65
	v_addc_co_u32_e32 v63, vcc, v66, v44, vcc
	global_load_ushort v66, v[65:66], off
	v_add_co_u32_e32 v64, vcc, s36, v67
	global_load_ushort v67, v[67:68], off
	v_addc_co_u32_e32 v65, vcc, v68, v44, vcc
	ds_bpermute_b32 v68, v28, v43
	global_load_ushort v69, v[62:63], off
	s_waitcnt vmcnt(2)
	v_lshlrev_b32_e32 v66, 16, v66
	s_waitcnt lgkmcnt(0)
	v_sub_f32_e32 v66, v66, v68
	s_waitcnt vmcnt(1)
	v_lshlrev_b32_e32 v68, 16, v67
	ds_bpermute_b32 v67, v28, v42
	v_mul_f32_e32 v66, v66, v68
	v_add_f32_e32 v6, v6, v68
	s_waitcnt lgkmcnt(0)
	v_fmac_f32_e32 v12, v66, v67
	v_add_co_u32_e32 v66, vcc, s36, v62
	v_addc_co_u32_e32 v67, vcc, v63, v44, vcc
	v_add_co_u32_e32 v62, vcc, s36, v64
	global_load_ushort v64, v[64:65], off
	v_addc_co_u32_e32 v63, vcc, v65, v44, vcc
	s_waitcnt vmcnt(1)
	v_lshlrev_b32_e32 v65, 16, v69
	ds_bpermute_b32 v69, v29, v43
	global_load_ushort v70, v[66:67], off
	s_waitcnt lgkmcnt(0)
	v_sub_f32_e32 v65, v65, v69
	s_waitcnt vmcnt(1)
	v_lshlrev_b32_e32 v69, 16, v64
	v_mul_f32_e32 v64, v65, v69
	ds_bpermute_b32 v65, v29, v42
	v_add_f32_e32 v6, v6, v69
	s_waitcnt lgkmcnt(0)
	v_fmac_f32_e32 v12, v64, v65
	v_add_co_u32_e32 v64, vcc, s36, v66
	v_addc_co_u32_e32 v65, vcc, v67, v44, vcc
	v_add_co_u32_e32 v66, vcc, s36, v62
	global_load_ushort v62, v[62:63], off
	v_addc_co_u32_e32 v67, vcc, v63, v44, vcc
	s_waitcnt vmcnt(1)
	v_lshlrev_b32_e32 v63, 16, v70
	ds_bpermute_b32 v70, v30, v43
	global_load_ushort v71, v[64:65], off
	s_waitcnt lgkmcnt(0)
	v_sub_f32_e32 v63, v63, v70
	s_waitcnt vmcnt(1)
	v_lshlrev_b32_e32 v70, 16, v62
	v_mul_f32_e32 v62, v63, v70
	ds_bpermute_b32 v63, v30, v42
	v_add_f32_e32 v6, v6, v70
	s_waitcnt lgkmcnt(0)
	v_fmac_f32_e32 v12, v62, v63
	v_add_co_u32_e32 v62, vcc, s36, v64
	v_addc_co_u32_e32 v63, vcc, v65, v44, vcc
	v_add_co_u32_e32 v64, vcc, s36, v66
	global_load_ushort v66, v[66:67], off
	v_addc_co_u32_e32 v65, vcc, v67, v44, vcc
	s_waitcnt vmcnt(1)
	v_lshlrev_b32_e32 v67, 16, v71
	ds_bpermute_b32 v71, v31, v43
	global_load_ushort v72, v[62:63], off
	s_waitcnt lgkmcnt(0)
	v_sub_f32_e32 v67, v67, v71
	s_waitcnt vmcnt(1)
	v_lshlrev_b32_e32 v71, 16, v66
	v_mul_f32_e32 v66, v67, v71
	ds_bpermute_b32 v67, v31, v42
	v_add_f32_e32 v6, v6, v71
	s_waitcnt lgkmcnt(0)
	v_fmac_f32_e32 v12, v66, v67
	v_add_co_u32_e32 v66, vcc, s36, v62
	v_addc_co_u32_e32 v67, vcc, v63, v44, vcc
	v_add_co_u32_e32 v62, vcc, s36, v64
	global_load_ushort v64, v[64:65], off
	v_addc_co_u32_e32 v63, vcc, v65, v44, vcc
	s_waitcnt vmcnt(1)
	v_lshlrev_b32_e32 v65, 16, v72
	ds_bpermute_b32 v72, v32, v43
	global_load_ushort v73, v[66:67], off
	s_waitcnt lgkmcnt(0)
	v_sub_f32_e32 v65, v65, v72
	s_waitcnt vmcnt(1)
	v_lshlrev_b32_e32 v72, 16, v64
	v_mul_f32_e32 v64, v65, v72
	ds_bpermute_b32 v65, v32, v42
	v_add_f32_e32 v6, v6, v72
	s_waitcnt lgkmcnt(0)
	v_fmac_f32_e32 v12, v64, v65
	v_add_co_u32_e32 v64, vcc, s36, v66
	v_addc_co_u32_e32 v65, vcc, v67, v44, vcc
	v_add_co_u32_e32 v66, vcc, s36, v62
	global_load_ushort v62, v[62:63], off
	v_addc_co_u32_e32 v67, vcc, v63, v44, vcc
	s_waitcnt vmcnt(1)
	v_lshlrev_b32_e32 v63, 16, v73
	ds_bpermute_b32 v73, v33, v43
	global_load_ushort v74, v[64:65], off
	s_waitcnt lgkmcnt(0)
	v_sub_f32_e32 v63, v63, v73
	s_waitcnt vmcnt(1)
	v_lshlrev_b32_e32 v73, 16, v62
	v_mul_f32_e32 v62, v63, v73
	ds_bpermute_b32 v63, v33, v42
	v_add_f32_e32 v6, v6, v73
	s_waitcnt lgkmcnt(0)
	v_fmac_f32_e32 v12, v62, v63
	v_add_co_u32_e32 v62, vcc, s36, v64
	v_addc_co_u32_e32 v63, vcc, v65, v44, vcc
	v_add_co_u32_e32 v64, vcc, s36, v66
	global_load_ushort v66, v[66:67], off
	v_addc_co_u32_e32 v65, vcc, v67, v44, vcc
	s_waitcnt vmcnt(1)
	v_lshlrev_b32_e32 v67, 16, v74
	ds_bpermute_b32 v74, v34, v43
	global_load_ushort v75, v[62:63], off
	s_waitcnt lgkmcnt(0)
	v_sub_f32_e32 v67, v67, v74
	s_waitcnt vmcnt(1)
	v_lshlrev_b32_e32 v74, 16, v66
	v_mul_f32_e32 v66, v67, v74
	ds_bpermute_b32 v67, v34, v42
	v_add_f32_e32 v6, v6, v74
	s_waitcnt lgkmcnt(0)
	v_fmac_f32_e32 v12, v66, v67
	v_add_co_u32_e32 v66, vcc, s36, v62
	v_addc_co_u32_e32 v67, vcc, v63, v44, vcc
	v_add_co_u32_e32 v62, vcc, s36, v64
	global_load_ushort v64, v[64:65], off
	v_addc_co_u32_e32 v63, vcc, v65, v44, vcc
	s_waitcnt vmcnt(1)
	v_lshlrev_b32_e32 v65, 16, v75
	ds_bpermute_b32 v75, v35, v43
	global_load_ushort v76, v[66:67], off
	s_waitcnt lgkmcnt(0)
	v_sub_f32_e32 v65, v65, v75
	s_waitcnt vmcnt(1)
	v_lshlrev_b32_e32 v75, 16, v64
	v_mul_f32_e32 v64, v65, v75
	ds_bpermute_b32 v65, v35, v42
	v_add_f32_e32 v6, v6, v75
	s_waitcnt lgkmcnt(0)
	v_fmac_f32_e32 v12, v64, v65
	v_add_co_u32_e32 v64, vcc, s36, v66
	v_addc_co_u32_e32 v65, vcc, v67, v44, vcc
	v_add_co_u32_e32 v66, vcc, s36, v62
	global_load_ushort v62, v[62:63], off
	v_addc_co_u32_e32 v67, vcc, v63, v44, vcc
	s_waitcnt vmcnt(1)
	v_lshlrev_b32_e32 v63, 16, v76
	ds_bpermute_b32 v76, v36, v43
	global_load_ushort v77, v[64:65], off
	s_waitcnt lgkmcnt(0)
	v_sub_f32_e32 v63, v63, v76
	s_waitcnt vmcnt(1)
	v_lshlrev_b32_e32 v76, 16, v62
	v_mul_f32_e32 v62, v63, v76
	ds_bpermute_b32 v63, v36, v42
	v_add_f32_e32 v6, v6, v76
	s_waitcnt lgkmcnt(0)
	v_fmac_f32_e32 v12, v62, v63
	v_add_co_u32_e32 v62, vcc, s36, v64
	v_addc_co_u32_e32 v63, vcc, v65, v44, vcc
	v_add_co_u32_e32 v64, vcc, s36, v66
	global_load_ushort v66, v[66:67], off
	v_addc_co_u32_e32 v65, vcc, v67, v44, vcc
	s_waitcnt vmcnt(1)
	v_lshlrev_b32_e32 v67, 16, v77
	ds_bpermute_b32 v77, v37, v43
	global_load_ushort v78, v[62:63], off
	s_waitcnt lgkmcnt(0)
	v_sub_f32_e32 v67, v67, v77
	s_waitcnt vmcnt(1)
	v_lshlrev_b32_e32 v77, 16, v66
	v_mul_f32_e32 v66, v67, v77
	ds_bpermute_b32 v67, v37, v42
	v_add_f32_e32 v6, v6, v77
	s_waitcnt lgkmcnt(0)
	v_fmac_f32_e32 v12, v66, v67
	v_add_co_u32_e32 v66, vcc, s36, v62
	v_addc_co_u32_e32 v67, vcc, v63, v44, vcc
	v_add_co_u32_e32 v62, vcc, s36, v64
	global_load_ushort v64, v[64:65], off
	v_addc_co_u32_e32 v63, vcc, v65, v44, vcc
	s_waitcnt vmcnt(1)
	v_lshlrev_b32_e32 v65, 16, v78
	ds_bpermute_b32 v78, v38, v43
	global_load_ushort v79, v[66:67], off
	s_waitcnt lgkmcnt(0)
	v_sub_f32_e32 v65, v65, v78
	s_waitcnt vmcnt(1)
	v_lshlrev_b32_e32 v78, 16, v64
	v_mul_f32_e32 v64, v65, v78
	ds_bpermute_b32 v65, v38, v42
	v_add_f32_e32 v6, v6, v78
	s_waitcnt lgkmcnt(0)
	v_fmac_f32_e32 v12, v64, v65
	v_add_co_u32_e32 v64, vcc, s36, v66
	v_addc_co_u32_e32 v65, vcc, v67, v44, vcc
	v_add_co_u32_e32 v66, vcc, s36, v62
	global_load_ushort v62, v[62:63], off
	v_addc_co_u32_e32 v67, vcc, v63, v44, vcc
	s_waitcnt vmcnt(1)
	v_lshlrev_b32_e32 v63, 16, v79
	ds_bpermute_b32 v79, v39, v43
	global_load_ushort v80, v[64:65], off
	s_waitcnt lgkmcnt(0)
	v_sub_f32_e32 v63, v63, v79
	s_waitcnt vmcnt(1)
	v_lshlrev_b32_e32 v79, 16, v62
	v_mul_f32_e32 v62, v63, v79
	ds_bpermute_b32 v63, v39, v42
	v_add_f32_e32 v6, v6, v79
	s_waitcnt lgkmcnt(0)
	v_fmac_f32_e32 v12, v62, v63
	v_add_co_u32_e32 v62, vcc, s36, v64
	v_addc_co_u32_e32 v63, vcc, v65, v44, vcc
	v_add_co_u32_e32 v64, vcc, s36, v66
	v_addc_co_u32_e32 v65, vcc, v67, v44, vcc
	global_load_ushort v44, v[66:67], off
	ds_bpermute_b32 v67, v40, v43
	s_waitcnt vmcnt(1)
	v_lshlrev_b32_e32 v66, 16, v80
	ds_bpermute_b32 v43, v41, v43
	v_add_co_u32_e32 v4, vcc, s30, v4
	s_waitcnt lgkmcnt(1)
	v_sub_f32_e32 v66, v66, v67
	ds_bpermute_b32 v67, v40, v42
	ds_bpermute_b32 v42, v41, v42
	s_waitcnt vmcnt(0)
	v_lshlrev_b32_e32 v44, 16, v44
	v_mul_f32_e32 v66, v66, v44
	s_waitcnt lgkmcnt(1)
	v_fmac_f32_e32 v12, v66, v67
	global_load_ushort v66, v[64:65], off
	global_load_ushort v67, v[62:63], off
	v_add_f32_e32 v6, v6, v44
	s_waitcnt vmcnt(1)
	v_lshlrev_b32_e32 v44, 16, v66
	s_waitcnt vmcnt(0)
	v_lshlrev_b32_e32 v45, 16, v67
	v_sub_f32_e32 v43, v45, v43
	v_mul_f32_e32 v43, v43, v44
	s_waitcnt lgkmcnt(0)
	v_fmac_f32_e32 v12, v43, v42
	v_mov_b32_e32 v42, s31
	v_addc_co_u32_e32 v5, vcc, v5, v42, vcc
	v_add_co_u32_e32 v2, vcc, s28, v2
	v_mov_b32_e32 v43, s17
	v_addc_co_u32_e32 v3, vcc, 0, v3, vcc
	v_mov_b32_e32 v42, s16
	v_cmp_lt_i64_e32 vcc, s[24:25], v[42:43]
	v_add_f32_e32 v6, v6, v44
	v_mov_b32_e32 v44, s35
	v_addc_co_u32_e64 v16, s[4:5], v16, v44, s[4:5]
	s_cbranch_vccz .LBB106_10
.LBB106_7:                              ; =>This Inner Loop Header: Depth=1
	v_mov_b32_e32 v42, 0
	v_mov_b32_e32 v43, 0
	s_and_saveexec_b64 s[4:5], s[0:1]
	s_cbranch_execz .LBB106_6
; %bb.8:                                ;   in Loop: Header=BB106_7 Depth=1
	v_cmp_gt_i64_e32 vcc, s[16:17], v[2:3]
	v_mov_b32_e32 v43, 0
	v_mov_b32_e32 v42, 0
	s_and_saveexec_b64 s[38:39], vcc
	s_cbranch_execz .LBB106_5
; %bb.9:                                ;   in Loop: Header=BB106_7 Depth=1
	v_mov_b32_e32 v42, s15
	v_add_co_u32_e32 v44, vcc, s14, v4
	v_addc_co_u32_e32 v45, vcc, v42, v5, vcc
	v_mov_b32_e32 v42, s13
	v_add_co_u32_e32 v46, vcc, s12, v4
	v_addc_co_u32_e32 v47, vcc, v42, v5, vcc
	global_load_dword v43, v[46:47], off
	global_load_dword v42, v[44:45], off
	s_branch .LBB106_5
.LBB106_10:
	s_load_dword s0, s[26:27], 0xc
	v_mov_b32_e32 v2, 0
	v_mov_b32_e32 v3, s2
	s_mov_b32 s7, 0
	s_waitcnt lgkmcnt(0)
	s_lshr_b32 s0, s0, 16
	v_mad_u64_u32 v[2:3], s[0:1], s0, v3, v[1:2]
	s_lshl_b64 s[0:1], s[6:7], 5
	v_or_b32_e32 v0, s0, v0
	v_mul_lo_u32 v3, v3, s18
	v_mul_lo_u32 v4, v2, s19
	v_mov_b32_e32 v1, s1
	v_lshlrev_b64 v[0:1], 1, v[0:1]
	s_cmp_eq_u64 s[20:21], 0
	s_cbranch_scc1 .LBB106_12
; %bb.11:
	v_bfe_u32 v5, v12, 16, 1
	s_movk_i32 s0, 0x7fff
	v_add3_u32 v5, v12, v5, s0
	v_mad_u64_u32 v[7:8], s[0:1], v2, s18, 0
	v_cmp_o_f32_e32 vcc, v12, v12
	v_mov_b32_e32 v9, 0x7fc0
	v_add3_u32 v8, v8, v4, v3
	v_lshlrev_b64 v[7:8], 1, v[7:8]
	v_cndmask_b32_sdwa v5, v9, v5, vcc dst_sel:DWORD dst_unused:UNUSED_PAD src0_sel:DWORD src1_sel:WORD_1
	v_mov_b32_e32 v9, s21
	v_add_co_u32_e32 v7, vcc, s20, v7
	v_addc_co_u32_e32 v8, vcc, v9, v8, vcc
	v_add_co_u32_e32 v7, vcc, v7, v0
	v_addc_co_u32_e32 v8, vcc, v8, v1, vcc
	global_store_short v[7:8], v5, off
.LBB106_12:
	s_cmp_eq_u64 s[22:23], 0
	s_cbranch_scc1 .LBB106_14
; %bb.13:
	v_bfe_u32 v5, v6, 16, 1
	s_movk_i32 s0, 0x7fff
	v_add3_u32 v7, v6, v5, s0
	v_cmp_o_f32_e32 vcc, v6, v6
	v_mad_u64_u32 v[5:6], s[0:1], v2, s18, 0
	v_mov_b32_e32 v2, 0x7fc0
	v_cndmask_b32_sdwa v7, v2, v7, vcc dst_sel:DWORD dst_unused:UNUSED_PAD src0_sel:DWORD src1_sel:WORD_1
	v_add3_u32 v6, v6, v4, v3
	v_lshlrev_b64 v[2:3], 1, v[5:6]
	v_mov_b32_e32 v4, s23
	v_add_co_u32_e32 v2, vcc, s22, v2
	v_addc_co_u32_e32 v3, vcc, v4, v3, vcc
	v_add_co_u32_e32 v0, vcc, v2, v0
	v_addc_co_u32_e32 v1, vcc, v3, v1, vcc
	global_store_short v[0:1], v7, off
.LBB106_14:
	s_endpgm
	.section	.rodata,"a",@progbits
	.p2align	6, 0x0
	.amdhsa_kernel _ZN2at6native12_GLOBAL__N_135GammaBetaBackwardCUDAKernelTemplateIN3c108BFloat16EfLj32ELj1ELj32ELb1ELb1ELb0EEEvllPKT_S7_PKT0_SA_PS5_SB_
		.amdhsa_group_segment_fixed_size 0
		.amdhsa_private_segment_fixed_size 0
		.amdhsa_kernarg_size 320
		.amdhsa_user_sgpr_count 6
		.amdhsa_user_sgpr_private_segment_buffer 1
		.amdhsa_user_sgpr_dispatch_ptr 0
		.amdhsa_user_sgpr_queue_ptr 0
		.amdhsa_user_sgpr_kernarg_segment_ptr 1
		.amdhsa_user_sgpr_dispatch_id 0
		.amdhsa_user_sgpr_flat_scratch_init 0
		.amdhsa_user_sgpr_private_segment_size 0
		.amdhsa_uses_dynamic_stack 0
		.amdhsa_system_sgpr_private_segment_wavefront_offset 0
		.amdhsa_system_sgpr_workgroup_id_x 1
		.amdhsa_system_sgpr_workgroup_id_y 1
		.amdhsa_system_sgpr_workgroup_id_z 0
		.amdhsa_system_sgpr_workgroup_info 0
		.amdhsa_system_vgpr_workitem_id 1
		.amdhsa_next_free_vgpr 81
		.amdhsa_next_free_sgpr 40
		.amdhsa_reserve_vcc 1
		.amdhsa_reserve_flat_scratch 0
		.amdhsa_float_round_mode_32 0
		.amdhsa_float_round_mode_16_64 0
		.amdhsa_float_denorm_mode_32 3
		.amdhsa_float_denorm_mode_16_64 3
		.amdhsa_dx10_clamp 1
		.amdhsa_ieee_mode 1
		.amdhsa_fp16_overflow 0
		.amdhsa_exception_fp_ieee_invalid_op 0
		.amdhsa_exception_fp_denorm_src 0
		.amdhsa_exception_fp_ieee_div_zero 0
		.amdhsa_exception_fp_ieee_overflow 0
		.amdhsa_exception_fp_ieee_underflow 0
		.amdhsa_exception_fp_ieee_inexact 0
		.amdhsa_exception_int_div_zero 0
	.end_amdhsa_kernel
	.section	.text._ZN2at6native12_GLOBAL__N_135GammaBetaBackwardCUDAKernelTemplateIN3c108BFloat16EfLj32ELj1ELj32ELb1ELb1ELb0EEEvllPKT_S7_PKT0_SA_PS5_SB_,"axG",@progbits,_ZN2at6native12_GLOBAL__N_135GammaBetaBackwardCUDAKernelTemplateIN3c108BFloat16EfLj32ELj1ELj32ELb1ELb1ELb0EEEvllPKT_S7_PKT0_SA_PS5_SB_,comdat
.Lfunc_end106:
	.size	_ZN2at6native12_GLOBAL__N_135GammaBetaBackwardCUDAKernelTemplateIN3c108BFloat16EfLj32ELj1ELj32ELb1ELb1ELb0EEEvllPKT_S7_PKT0_SA_PS5_SB_, .Lfunc_end106-_ZN2at6native12_GLOBAL__N_135GammaBetaBackwardCUDAKernelTemplateIN3c108BFloat16EfLj32ELj1ELj32ELb1ELb1ELb0EEEvllPKT_S7_PKT0_SA_PS5_SB_
                                        ; -- End function
	.set _ZN2at6native12_GLOBAL__N_135GammaBetaBackwardCUDAKernelTemplateIN3c108BFloat16EfLj32ELj1ELj32ELb1ELb1ELb0EEEvllPKT_S7_PKT0_SA_PS5_SB_.num_vgpr, 81
	.set _ZN2at6native12_GLOBAL__N_135GammaBetaBackwardCUDAKernelTemplateIN3c108BFloat16EfLj32ELj1ELj32ELb1ELb1ELb0EEEvllPKT_S7_PKT0_SA_PS5_SB_.num_agpr, 0
	.set _ZN2at6native12_GLOBAL__N_135GammaBetaBackwardCUDAKernelTemplateIN3c108BFloat16EfLj32ELj1ELj32ELb1ELb1ELb0EEEvllPKT_S7_PKT0_SA_PS5_SB_.numbered_sgpr, 40
	.set _ZN2at6native12_GLOBAL__N_135GammaBetaBackwardCUDAKernelTemplateIN3c108BFloat16EfLj32ELj1ELj32ELb1ELb1ELb0EEEvllPKT_S7_PKT0_SA_PS5_SB_.num_named_barrier, 0
	.set _ZN2at6native12_GLOBAL__N_135GammaBetaBackwardCUDAKernelTemplateIN3c108BFloat16EfLj32ELj1ELj32ELb1ELb1ELb0EEEvllPKT_S7_PKT0_SA_PS5_SB_.private_seg_size, 0
	.set _ZN2at6native12_GLOBAL__N_135GammaBetaBackwardCUDAKernelTemplateIN3c108BFloat16EfLj32ELj1ELj32ELb1ELb1ELb0EEEvllPKT_S7_PKT0_SA_PS5_SB_.uses_vcc, 1
	.set _ZN2at6native12_GLOBAL__N_135GammaBetaBackwardCUDAKernelTemplateIN3c108BFloat16EfLj32ELj1ELj32ELb1ELb1ELb0EEEvllPKT_S7_PKT0_SA_PS5_SB_.uses_flat_scratch, 0
	.set _ZN2at6native12_GLOBAL__N_135GammaBetaBackwardCUDAKernelTemplateIN3c108BFloat16EfLj32ELj1ELj32ELb1ELb1ELb0EEEvllPKT_S7_PKT0_SA_PS5_SB_.has_dyn_sized_stack, 0
	.set _ZN2at6native12_GLOBAL__N_135GammaBetaBackwardCUDAKernelTemplateIN3c108BFloat16EfLj32ELj1ELj32ELb1ELb1ELb0EEEvllPKT_S7_PKT0_SA_PS5_SB_.has_recursion, 0
	.set _ZN2at6native12_GLOBAL__N_135GammaBetaBackwardCUDAKernelTemplateIN3c108BFloat16EfLj32ELj1ELj32ELb1ELb1ELb0EEEvllPKT_S7_PKT0_SA_PS5_SB_.has_indirect_call, 0
	.section	.AMDGPU.csdata,"",@progbits
; Kernel info:
; codeLenInByte = 3756
; TotalNumSgprs: 44
; NumVgprs: 81
; ScratchSize: 0
; MemoryBound: 0
; FloatMode: 240
; IeeeMode: 1
; LDSByteSize: 0 bytes/workgroup (compile time only)
; SGPRBlocks: 5
; VGPRBlocks: 20
; NumSGPRsForWavesPerEU: 44
; NumVGPRsForWavesPerEU: 81
; Occupancy: 3
; WaveLimiterHint : 0
; COMPUTE_PGM_RSRC2:SCRATCH_EN: 0
; COMPUTE_PGM_RSRC2:USER_SGPR: 6
; COMPUTE_PGM_RSRC2:TRAP_HANDLER: 0
; COMPUTE_PGM_RSRC2:TGID_X_EN: 1
; COMPUTE_PGM_RSRC2:TGID_Y_EN: 1
; COMPUTE_PGM_RSRC2:TGID_Z_EN: 0
; COMPUTE_PGM_RSRC2:TIDIG_COMP_CNT: 1
	.section	.text._ZN2at6native12_GLOBAL__N_135GammaBetaBackwardCUDAKernelTemplateIN3c108BFloat16EfLj32ELj1ELj32ELb1ELb0ELb0EEEvllPKT_S7_PKT0_SA_PS5_SB_,"axG",@progbits,_ZN2at6native12_GLOBAL__N_135GammaBetaBackwardCUDAKernelTemplateIN3c108BFloat16EfLj32ELj1ELj32ELb1ELb0ELb0EEEvllPKT_S7_PKT0_SA_PS5_SB_,comdat
	.globl	_ZN2at6native12_GLOBAL__N_135GammaBetaBackwardCUDAKernelTemplateIN3c108BFloat16EfLj32ELj1ELj32ELb1ELb0ELb0EEEvllPKT_S7_PKT0_SA_PS5_SB_ ; -- Begin function _ZN2at6native12_GLOBAL__N_135GammaBetaBackwardCUDAKernelTemplateIN3c108BFloat16EfLj32ELj1ELj32ELb1ELb0ELb0EEEvllPKT_S7_PKT0_SA_PS5_SB_
	.p2align	8
	.type	_ZN2at6native12_GLOBAL__N_135GammaBetaBackwardCUDAKernelTemplateIN3c108BFloat16EfLj32ELj1ELj32ELb1ELb0ELb0EEEvllPKT_S7_PKT0_SA_PS5_SB_,@function
_ZN2at6native12_GLOBAL__N_135GammaBetaBackwardCUDAKernelTemplateIN3c108BFloat16EfLj32ELj1ELj32ELb1ELb0ELb0EEEvllPKT_S7_PKT0_SA_PS5_SB_: ; @_ZN2at6native12_GLOBAL__N_135GammaBetaBackwardCUDAKernelTemplateIN3c108BFloat16EfLj32ELj1ELj32ELb1ELb0ELb0EEEvllPKT_S7_PKT0_SA_PS5_SB_
; %bb.0:
	s_mov_b64 s[42:43], s[2:3]
	s_mov_b64 s[40:41], s[0:1]
	s_add_u32 s40, s40, s8
	s_mov_b32 s8, s7
	s_load_dwordx8 s[12:19], s[4:5], 0x0
	s_load_dwordx4 s[20:23], s[4:5], 0x20
	s_addc_u32 s41, s41, 0
	s_lshl_b32 s24, s8, 5
	s_lshl_b32 s7, s6, 5
	s_mov_b32 s25, 0
	v_mov_b32_e32 v2, s24
	s_or_b32 s0, s7, 31
	v_mov_b32_e32 v3, s25
	v_mov_b32_e32 v129, s0
	;; [unrolled: 1-line block ×3, first 2 shown]
	s_waitcnt lgkmcnt(0)
	v_cmp_gt_i64_e64 s[0:1], s[12:13], v[2:3]
	v_cmp_le_i64_e32 vcc, s[14:15], v[129:130]
	v_cndmask_b32_e64 v2, 0, 1, s[0:1]
	v_cmp_ne_u32_e64 s[0:1], 1, v2
	s_cbranch_vccz .LBB107_145
; %bb.1:
	s_and_b64 vcc, exec, s[0:1]
	v_mov_b32_e32 v133, 0
	s_cbranch_vccnz .LBB107_146
; %bb.2:
	v_lshlrev_b32_e32 v210, 5, v1
	v_add_co_u32_e32 v8, vcc, s24, v210
	v_addc_co_u32_e64 v9, s[2:3], 0, 0, vcc
	v_mul_lo_u32 v10, s15, v8
	v_mul_lo_u32 v11, s14, v9
	v_mad_u64_u32 v[6:7], s[2:3], s14, v8, 0
	s_load_dword s9, s[4:5], 0x44
	v_add_u32_e32 v2, s7, v0
	v_add3_u32 v7, v7, v11, v10
	v_lshlrev_b64 v[11:12], 1, v[6:7]
	v_mov_b32_e32 v3, 0
	s_add_u32 s26, s4, 64
	v_cmp_gt_i64_e64 s[2:3], s[14:15], v[2:3]
	v_lshlrev_b64 v[4:5], 1, v[2:3]
	v_mov_b32_e32 v10, s17
	v_add_co_u32_e32 v2, vcc, s16, v11
	s_addc_u32 s27, s5, 0
	s_waitcnt lgkmcnt(0)
	s_lshl_b32 s9, s9, 5
	v_addc_co_u32_e32 v10, vcc, v10, v12, vcc
	s_mul_i32 s10, s15, s9
	s_mul_hi_u32 s11, s14, s9
	v_add_co_u32_e32 v13, vcc, 31, v8
	s_add_i32 s11, s11, s10
	s_mul_i32 s10, s14, s9
	v_addc_co_u32_e32 v14, vcc, 0, v9, vcc
	s_lshl_b64 s[28:29], s[10:11], 1
	v_mul_lo_u32 v16, s15, v13
	v_mul_lo_u32 v17, s14, v14
	v_mad_u64_u32 v[13:14], s[10:11], s14, v13, 0
	v_mov_b32_e32 v15, s19
	v_add_co_u32_e32 v11, vcc, s18, v11
	v_add3_u32 v14, v14, v17, v16
	v_addc_co_u32_e32 v12, vcc, v15, v12, vcc
	v_lshlrev_b64 v[15:16], 1, v[13:14]
	v_mov_b32_e32 v14, s17
	v_add_co_u32_e32 v13, vcc, s16, v15
	v_addc_co_u32_e32 v14, vcc, v14, v16, vcc
	v_add_co_u32_e32 v17, vcc, 30, v8
	v_addc_co_u32_e32 v18, vcc, 0, v9, vcc
	v_mul_lo_u32 v20, s15, v17
	v_mul_lo_u32 v21, s14, v18
	v_mad_u64_u32 v[17:18], s[10:11], s14, v17, 0
	v_mov_b32_e32 v19, s19
	v_add_co_u32_e32 v15, vcc, s18, v15
	v_add3_u32 v18, v18, v21, v20
	v_addc_co_u32_e32 v16, vcc, v19, v16, vcc
	v_lshlrev_b64 v[19:20], 1, v[17:18]
	v_mov_b32_e32 v18, s17
	v_add_co_u32_e32 v17, vcc, s16, v19
	v_addc_co_u32_e32 v18, vcc, v18, v20, vcc
	v_add_co_u32_e32 v21, vcc, 29, v8
	v_addc_co_u32_e32 v22, vcc, 0, v9, vcc
	;; [unrolled: 13-line block ×29, first 2 shown]
	v_mul_lo_u32 v130, s15, v8
	v_mul_lo_u32 v131, s14, v9
	v_mad_u64_u32 v[8:9], s[10:11], s14, v8, 0
	v_mov_b32_e32 v129, s19
	v_add_co_u32_e32 v127, vcc, s18, v127
	v_add3_u32 v9, v9, v131, v130
	v_lshlrev_b64 v[8:9], 1, v[8:9]
	v_addc_co_u32_e32 v128, vcc, v129, v128, vcc
	v_mov_b32_e32 v130, s17
	v_add_co_u32_e32 v129, vcc, s16, v8
	v_addc_co_u32_e32 v131, vcc, v130, v9, vcc
	v_mov_b32_e32 v130, s19
	v_add_co_u32_e32 v132, vcc, s18, v8
	;; [unrolled: 3-line block ×3, first 2 shown]
	v_addc_co_u32_e32 v7, vcc, v7, v8, vcc
	v_lshlrev_b64 v[6:7], 1, v[6:7]
	v_mov_b32_e32 v8, s17
	v_add_co_u32_e32 v135, vcc, s16, v6
	v_addc_co_u32_e32 v136, vcc, v8, v7, vcc
	v_add_co_u32_e32 v137, vcc, s18, v6
	v_mbcnt_lo_u32_b32 v6, -1, 0
	v_mbcnt_hi_u32_b32 v6, -1, v6
	v_mov_b32_e32 v8, s19
	v_lshlrev_b32_e32 v6, 2, v6
	v_mov_b32_e32 v209, v3
	s_mov_b64 s[30:31], 31
	v_addc_co_u32_e32 v138, vcc, v8, v7, vcc
	v_and_b32_e32 v139, 0x100, v6
	v_mov_b32_e32 v133, 0
	v_mov_b32_e32 v140, 0
	s_mov_b64 s[34:35], s[24:25]
.LBB107_3:                              ; =>This Inner Loop Header: Depth=1
	s_add_u32 s10, s24, s30
	v_mov_b32_e32 v6, s12
	s_addc_u32 s11, 0, s31
	v_mov_b32_e32 v7, s13
	v_cmp_ge_i64_e32 vcc, s[10:11], v[6:7]
	v_add_co_u32_e64 v6, s[10:11], s24, v210
	v_addc_co_u32_e64 v7, s[10:11], 0, v209, s[10:11]
	s_mov_b64 s[10:11], -1
	s_and_b64 vcc, exec, vcc
                                        ; implicit-def: $vgpr169
                                        ; implicit-def: $vgpr165
                                        ; implicit-def: $vgpr8
                                        ; implicit-def: $vgpr9
                                        ; implicit-def: $vgpr130
                                        ; implicit-def: $vgpr141
	s_cbranch_vccz .LBB107_73
; %bb.4:                                ;   in Loop: Header=BB107_3 Depth=1
	s_load_dword s10, s[26:27], 0xc
	v_mov_b32_e32 v130, 0
	v_mov_b32_e32 v141, 0
	;; [unrolled: 1-line block ×3, first 2 shown]
	s_waitcnt lgkmcnt(0)
	s_and_b32 s10, s10, 0xffff
	v_mad_u32_u24 v8, v1, s10, v0
	v_and_b32_e32 v8, 63, v8
	v_cmp_gt_u32_e32 vcc, 32, v8
	s_and_saveexec_b64 s[10:11], vcc
	s_cbranch_execz .LBB107_8
; %bb.5:                                ;   in Loop: Header=BB107_3 Depth=1
	v_add_co_u32_e32 v8, vcc, v6, v8
	v_addc_co_u32_e32 v9, vcc, 0, v7, vcc
	v_cmp_gt_i64_e32 vcc, s[12:13], v[8:9]
	v_mov_b32_e32 v142, 0
	v_mov_b32_e32 v141, 0
	s_and_saveexec_b64 s[36:37], vcc
	s_cbranch_execz .LBB107_7
; %bb.6:                                ;   in Loop: Header=BB107_3 Depth=1
	v_lshlrev_b64 v[8:9], 2, v[8:9]
	v_mov_b32_e32 v141, s23
	v_add_co_u32_e32 v143, vcc, s22, v8
	v_addc_co_u32_e32 v144, vcc, v141, v9, vcc
	v_mov_b32_e32 v141, s21
	v_add_co_u32_e32 v8, vcc, s20, v8
	v_addc_co_u32_e32 v9, vcc, v141, v9, vcc
	global_load_dword v142, v[8:9], off
	global_load_dword v141, v[143:144], off
.LBB107_7:                              ;   in Loop: Header=BB107_3 Depth=1
	s_or_b64 exec, exec, s[36:37]
.LBB107_8:                              ;   in Loop: Header=BB107_3 Depth=1
	s_or_b64 exec, exec, s[10:11]
	v_cmp_gt_i64_e32 vcc, s[12:13], v[6:7]
	v_mov_b32_e32 v8, 0
	s_and_b64 s[36:37], s[2:3], vcc
	s_and_saveexec_b64 s[10:11], s[36:37]
	s_cbranch_execz .LBB107_10
; %bb.9:                                ;   in Loop: Header=BB107_3 Depth=1
	v_add_co_u32_e32 v8, vcc, v2, v4
	v_addc_co_u32_e32 v9, vcc, v10, v5, vcc
	v_add_co_u32_e32 v143, vcc, v11, v4
	v_addc_co_u32_e32 v144, vcc, v12, v5, vcc
	global_load_ushort v130, v[143:144], off
	s_nop 0
	global_load_ushort v8, v[8:9], off
	s_waitcnt vmcnt(1)
	v_lshlrev_b32_e32 v130, 16, v130
	s_waitcnt vmcnt(0)
	v_lshlrev_b32_e32 v8, 16, v8
.LBB107_10:                             ;   in Loop: Header=BB107_3 Depth=1
	s_or_b64 exec, exec, s[10:11]
	v_add_co_u32_e32 v143, vcc, 1, v6
	v_addc_co_u32_e32 v144, vcc, 0, v7, vcc
	v_cmp_gt_i64_e32 vcc, s[12:13], v[143:144]
	v_mov_b32_e32 v9, 0
	s_and_b64 s[36:37], s[2:3], vcc
	v_mov_b32_e32 v144, 0
	v_mov_b32_e32 v143, 0
	s_and_saveexec_b64 s[10:11], s[36:37]
	s_cbranch_execz .LBB107_12
; %bb.11:                               ;   in Loop: Header=BB107_3 Depth=1
	v_add_co_u32_e32 v143, vcc, v135, v4
	v_addc_co_u32_e32 v144, vcc, v136, v5, vcc
	v_add_co_u32_e32 v145, vcc, v137, v4
	v_addc_co_u32_e32 v146, vcc, v138, v5, vcc
	global_load_ushort v145, v[145:146], off
	s_nop 0
	global_load_ushort v143, v[143:144], off
	s_waitcnt vmcnt(1)
	v_lshlrev_b32_e32 v144, 16, v145
	s_waitcnt vmcnt(0)
	v_lshlrev_b32_e32 v143, 16, v143
.LBB107_12:                             ;   in Loop: Header=BB107_3 Depth=1
	s_or_b64 exec, exec, s[10:11]
	v_add_co_u32_e32 v145, vcc, 2, v6
	v_addc_co_u32_e32 v146, vcc, 0, v7, vcc
	v_cmp_gt_i64_e32 vcc, s[12:13], v[145:146]
	v_mov_b32_e32 v145, 0
	s_and_b64 s[36:37], s[2:3], vcc
	s_and_saveexec_b64 s[10:11], s[36:37]
	s_cbranch_execz .LBB107_14
; %bb.13:                               ;   in Loop: Header=BB107_3 Depth=1
	v_add_co_u32_e32 v145, vcc, v129, v4
	v_addc_co_u32_e32 v146, vcc, v131, v5, vcc
	v_add_co_u32_e32 v147, vcc, v132, v4
	v_addc_co_u32_e32 v148, vcc, v134, v5, vcc
	global_load_ushort v9, v[147:148], off
	s_nop 0
	global_load_ushort v145, v[145:146], off
	s_waitcnt vmcnt(1)
	v_lshlrev_b32_e32 v9, 16, v9
	s_waitcnt vmcnt(0)
	v_lshlrev_b32_e32 v145, 16, v145
.LBB107_14:                             ;   in Loop: Header=BB107_3 Depth=1
	s_or_b64 exec, exec, s[10:11]
	v_add_co_u32_e32 v146, vcc, 3, v6
	v_addc_co_u32_e32 v147, vcc, 0, v7, vcc
	v_cmp_gt_i64_e32 vcc, s[12:13], v[146:147]
	v_mov_b32_e32 v146, 0
	s_and_b64 s[36:37], s[2:3], vcc
	v_mov_b32_e32 v148, 0
	v_mov_b32_e32 v147, 0
	s_and_saveexec_b64 s[10:11], s[36:37]
	s_cbranch_execz .LBB107_16
; %bb.15:                               ;   in Loop: Header=BB107_3 Depth=1
	v_add_co_u32_e32 v147, vcc, v125, v4
	v_addc_co_u32_e32 v148, vcc, v126, v5, vcc
	v_add_co_u32_e32 v149, vcc, v127, v4
	v_addc_co_u32_e32 v150, vcc, v128, v5, vcc
	global_load_ushort v149, v[149:150], off
	s_nop 0
	global_load_ushort v147, v[147:148], off
	s_waitcnt vmcnt(1)
	v_lshlrev_b32_e32 v148, 16, v149
	s_waitcnt vmcnt(0)
	v_lshlrev_b32_e32 v147, 16, v147
.LBB107_16:                             ;   in Loop: Header=BB107_3 Depth=1
	s_or_b64 exec, exec, s[10:11]
	v_add_co_u32_e32 v149, vcc, 4, v6
	v_addc_co_u32_e32 v150, vcc, 0, v7, vcc
	v_cmp_gt_i64_e32 vcc, s[12:13], v[149:150]
	v_mov_b32_e32 v149, 0
	s_and_b64 s[36:37], s[2:3], vcc
	s_and_saveexec_b64 s[10:11], s[36:37]
	s_cbranch_execz .LBB107_18
; %bb.17:                               ;   in Loop: Header=BB107_3 Depth=1
	v_add_co_u32_e32 v149, vcc, v121, v4
	v_addc_co_u32_e32 v150, vcc, v122, v5, vcc
	v_add_co_u32_e32 v151, vcc, v123, v4
	v_addc_co_u32_e32 v152, vcc, v124, v5, vcc
	global_load_ushort v146, v[151:152], off
	s_nop 0
	global_load_ushort v149, v[149:150], off
	s_waitcnt vmcnt(1)
	v_lshlrev_b32_e32 v146, 16, v146
	s_waitcnt vmcnt(0)
	v_lshlrev_b32_e32 v149, 16, v149
.LBB107_18:                             ;   in Loop: Header=BB107_3 Depth=1
	;; [unrolled: 44-line block ×6, first 2 shown]
	s_or_b64 exec, exec, s[10:11]
	v_add_co_u32_e32 v167, vcc, 13, v6
	v_addc_co_u32_e32 v168, vcc, 0, v7, vcc
	v_cmp_gt_i64_e32 vcc, s[12:13], v[167:168]
	v_mov_b32_e32 v167, 0
	s_and_b64 s[36:37], s[2:3], vcc
	v_mov_b32_e32 v170, 0
	v_mov_b32_e32 v168, 0
	s_and_saveexec_b64 s[10:11], s[36:37]
	s_cbranch_execz .LBB107_36
; %bb.35:                               ;   in Loop: Header=BB107_3 Depth=1
	v_add_co_u32_e32 v168, vcc, v85, v4
	v_addc_co_u32_e32 v169, vcc, v86, v5, vcc
	v_add_co_u32_e32 v170, vcc, v87, v4
	v_addc_co_u32_e32 v171, vcc, v88, v5, vcc
	global_load_ushort v165, v[170:171], off
	s_nop 0
	global_load_ushort v168, v[168:169], off
	s_waitcnt vmcnt(1)
	v_lshlrev_b32_e32 v170, 16, v165
	s_waitcnt vmcnt(0)
	v_lshlrev_b32_e32 v168, 16, v168
.LBB107_36:                             ;   in Loop: Header=BB107_3 Depth=1
	s_or_b64 exec, exec, s[10:11]
	v_add_co_u32_e32 v171, vcc, 14, v6
	v_addc_co_u32_e32 v172, vcc, 0, v7, vcc
	v_cmp_gt_i64_e32 vcc, s[12:13], v[171:172]
	v_mov_b32_e32 v171, 0
	s_and_b64 s[36:37], s[2:3], vcc
	s_and_saveexec_b64 s[10:11], s[36:37]
	s_cbranch_execz .LBB107_38
; %bb.37:                               ;   in Loop: Header=BB107_3 Depth=1
	v_add_co_u32_e32 v171, vcc, v81, v4
	v_addc_co_u32_e32 v172, vcc, v82, v5, vcc
	v_add_co_u32_e32 v173, vcc, v83, v4
	v_addc_co_u32_e32 v174, vcc, v84, v5, vcc
	global_load_ushort v165, v[173:174], off
	global_load_ushort v169, v[171:172], off
	s_waitcnt vmcnt(1)
	v_lshlrev_b32_e32 v167, 16, v165
	s_waitcnt vmcnt(0)
	v_lshlrev_b32_e32 v171, 16, v169
.LBB107_38:                             ;   in Loop: Header=BB107_3 Depth=1
	s_or_b64 exec, exec, s[10:11]
	v_add_co_u32_e32 v172, vcc, 15, v6
	v_addc_co_u32_e32 v173, vcc, 0, v7, vcc
	v_cmp_gt_i64_e32 vcc, s[12:13], v[172:173]
	v_mov_b32_e32 v172, 0
	s_and_b64 s[36:37], s[2:3], vcc
	v_mov_b32_e32 v174, 0
	v_mov_b32_e32 v173, 0
	s_and_saveexec_b64 s[10:11], s[36:37]
	s_cbranch_execz .LBB107_40
; %bb.39:                               ;   in Loop: Header=BB107_3 Depth=1
	v_add_co_u32_e32 v173, vcc, v77, v4
	v_addc_co_u32_e32 v174, vcc, v78, v5, vcc
	v_add_co_u32_e32 v175, vcc, v79, v4
	v_addc_co_u32_e32 v176, vcc, v80, v5, vcc
	global_load_ushort v165, v[175:176], off
	global_load_ushort v169, v[173:174], off
	s_waitcnt vmcnt(1)
	v_lshlrev_b32_e32 v174, 16, v165
	s_waitcnt vmcnt(0)
	v_lshlrev_b32_e32 v173, 16, v169
.LBB107_40:                             ;   in Loop: Header=BB107_3 Depth=1
	s_or_b64 exec, exec, s[10:11]
	v_add_co_u32_e32 v175, vcc, 16, v6
	v_addc_co_u32_e32 v176, vcc, 0, v7, vcc
	v_cmp_gt_i64_e32 vcc, s[12:13], v[175:176]
	v_mov_b32_e32 v175, 0
	s_and_b64 s[36:37], s[2:3], vcc
	s_and_saveexec_b64 s[10:11], s[36:37]
	s_cbranch_execz .LBB107_42
; %bb.41:                               ;   in Loop: Header=BB107_3 Depth=1
	v_add_co_u32_e32 v175, vcc, v73, v4
	v_addc_co_u32_e32 v176, vcc, v74, v5, vcc
	v_add_co_u32_e32 v177, vcc, v75, v4
	v_addc_co_u32_e32 v178, vcc, v76, v5, vcc
	global_load_ushort v165, v[177:178], off
	global_load_ushort v169, v[175:176], off
	s_waitcnt vmcnt(1)
	v_lshlrev_b32_e32 v172, 16, v165
	s_waitcnt vmcnt(0)
	v_lshlrev_b32_e32 v175, 16, v169
.LBB107_42:                             ;   in Loop: Header=BB107_3 Depth=1
	s_or_b64 exec, exec, s[10:11]
	v_add_co_u32_e32 v176, vcc, 17, v6
	v_addc_co_u32_e32 v177, vcc, 0, v7, vcc
	v_cmp_gt_i64_e32 vcc, s[12:13], v[176:177]
	v_mov_b32_e32 v176, 0
	s_and_b64 s[36:37], s[2:3], vcc
	v_mov_b32_e32 v178, 0
	v_mov_b32_e32 v177, 0
	s_and_saveexec_b64 s[10:11], s[36:37]
	s_cbranch_execz .LBB107_44
; %bb.43:                               ;   in Loop: Header=BB107_3 Depth=1
	v_add_co_u32_e32 v177, vcc, v69, v4
	v_addc_co_u32_e32 v178, vcc, v70, v5, vcc
	v_add_co_u32_e32 v179, vcc, v71, v4
	v_addc_co_u32_e32 v180, vcc, v72, v5, vcc
	global_load_ushort v165, v[179:180], off
	global_load_ushort v169, v[177:178], off
	s_waitcnt vmcnt(1)
	v_lshlrev_b32_e32 v178, 16, v165
	s_waitcnt vmcnt(0)
	v_lshlrev_b32_e32 v177, 16, v169
.LBB107_44:                             ;   in Loop: Header=BB107_3 Depth=1
	;; [unrolled: 42-line block ×8, first 2 shown]
	s_or_b64 exec, exec, s[10:11]
	v_add_co_u32_e32 v203, vcc, 30, v6
	v_addc_co_u32_e32 v204, vcc, 0, v7, vcc
	v_cmp_gt_i64_e32 vcc, s[12:13], v[203:204]
	v_mov_b32_e32 v203, 0
	s_and_b64 s[36:37], s[2:3], vcc
	s_and_saveexec_b64 s[10:11], s[36:37]
	s_cbranch_execz .LBB107_70
; %bb.69:                               ;   in Loop: Header=BB107_3 Depth=1
	v_add_co_u32_e32 v203, vcc, v17, v4
	v_addc_co_u32_e32 v204, vcc, v18, v5, vcc
	v_add_co_u32_e32 v205, vcc, v19, v4
	v_addc_co_u32_e32 v206, vcc, v20, v5, vcc
	global_load_ushort v165, v[205:206], off
	global_load_ushort v169, v[203:204], off
	s_waitcnt vmcnt(1)
	v_lshlrev_b32_e32 v200, 16, v165
	s_waitcnt vmcnt(0)
	v_lshlrev_b32_e32 v203, 16, v169
.LBB107_70:                             ;   in Loop: Header=BB107_3 Depth=1
	s_or_b64 exec, exec, s[10:11]
	v_add_co_u32_e32 v204, vcc, 31, v6
	v_addc_co_u32_e32 v205, vcc, 0, v7, vcc
	v_cmp_gt_i64_e32 vcc, s[12:13], v[204:205]
	v_mov_b32_e32 v165, 0
	s_and_b64 s[36:37], s[2:3], vcc
	v_mov_b32_e32 v169, 0
	s_and_saveexec_b64 s[10:11], s[36:37]
	s_cbranch_execz .LBB107_72
; %bb.71:                               ;   in Loop: Header=BB107_3 Depth=1
	v_add_co_u32_e32 v204, vcc, v13, v4
	v_addc_co_u32_e32 v205, vcc, v14, v5, vcc
	v_add_co_u32_e32 v206, vcc, v15, v4
	v_addc_co_u32_e32 v207, vcc, v16, v5, vcc
	global_load_ushort v165, v[206:207], off
	global_load_ushort v169, v[204:205], off
	s_waitcnt vmcnt(1)
	v_lshlrev_b32_e32 v165, 16, v165
	s_waitcnt vmcnt(0)
	v_lshlrev_b32_e32 v169, 16, v169
.LBB107_72:                             ;   in Loop: Header=BB107_3 Depth=1
	s_or_b64 exec, exec, s[10:11]
	s_waitcnt vmcnt(1)
	ds_bpermute_b32 v204, v139, v142
	s_waitcnt vmcnt(0)
	ds_bpermute_b32 v205, v139, v141
	ds_bpermute_b32 v207, v139, v142 offset:4
	ds_bpermute_b32 v208, v139, v141 offset:4
	v_add_f32_e32 v206, v133, v8
	s_waitcnt lgkmcnt(3)
	v_sub_f32_e32 v130, v130, v204
	v_mul_f32_e32 v8, v8, v130
	s_waitcnt lgkmcnt(2)
	v_fma_f32 v130, v8, v205, v140
	s_waitcnt lgkmcnt(1)
	v_sub_f32_e32 v8, v144, v207
	ds_bpermute_b32 v144, v139, v142 offset:8
	v_mul_f32_e32 v8, v143, v8
	s_waitcnt lgkmcnt(1)
	v_fmac_f32_e32 v130, v8, v208
	ds_bpermute_b32 v8, v139, v141 offset:8
	v_add_f32_e32 v143, v206, v143
	s_waitcnt lgkmcnt(1)
	v_sub_f32_e32 v9, v9, v144
	ds_bpermute_b32 v144, v139, v142 offset:12
	v_mul_f32_e32 v9, v145, v9
	s_waitcnt lgkmcnt(1)
	v_fmac_f32_e32 v130, v9, v8
	ds_bpermute_b32 v8, v139, v141 offset:12
	v_add_f32_e32 v9, v143, v145
	;; [unrolled: 8-line block ×28, first 2 shown]
	s_waitcnt lgkmcnt(1)
	v_sub_f32_e32 v143, v202, v144
	ds_bpermute_b32 v144, v139, v142 offset:120
	v_mul_f32_e32 v143, v201, v143
	ds_bpermute_b32 v145, v139, v141 offset:120
	s_waitcnt lgkmcnt(2)
	v_fmac_f32_e32 v130, v143, v8
	v_add_f32_e32 v143, v9, v201
	ds_bpermute_b32 v8, v139, v141 offset:124
	ds_bpermute_b32 v9, v139, v142 offset:124
	s_waitcnt lgkmcnt(3)
	v_sub_f32_e32 v144, v200, v144
	v_mul_f32_e32 v141, v203, v144
	s_waitcnt lgkmcnt(2)
	v_fmac_f32_e32 v130, v141, v145
	v_add_f32_e32 v141, v143, v203
	s_mov_b64 s[10:11], 0
.LBB107_73:                             ;   in Loop: Header=BB107_3 Depth=1
	s_and_b64 vcc, exec, s[10:11]
	s_cbranch_vccz .LBB107_143
; %bb.74:                               ;   in Loop: Header=BB107_3 Depth=1
	s_load_dword s10, s[26:27], 0x0
	v_mov_b32_e32 v130, 0
	s_waitcnt lgkmcnt(0)
	v_mov_b32_e32 v8, 0
	s_cmp_lt_u32 s6, s10
	s_cselect_b32 s10, 12, 18
	s_add_u32 s10, s26, s10
	s_addc_u32 s11, s27, 0
	global_load_ushort v9, v3, s[10:11]
	s_waitcnt vmcnt(0)
	v_mad_u32_u24 v9, v1, v9, v0
	v_and_b32_e32 v141, 63, v9
	v_cmp_gt_u32_e32 vcc, 32, v141
	v_mov_b32_e32 v9, 0
	s_and_saveexec_b64 s[10:11], vcc
	s_cbranch_execz .LBB107_78
; %bb.75:                               ;   in Loop: Header=BB107_3 Depth=1
	v_add_co_u32_e32 v6, vcc, v6, v141
	v_addc_co_u32_e32 v7, vcc, 0, v7, vcc
	v_cmp_gt_i64_e32 vcc, s[12:13], v[6:7]
	v_mov_b32_e32 v9, 0
	v_mov_b32_e32 v8, 0
	s_and_saveexec_b64 s[36:37], vcc
	s_cbranch_execz .LBB107_77
; %bb.76:                               ;   in Loop: Header=BB107_3 Depth=1
	v_lshlrev_b64 v[6:7], 2, v[6:7]
	v_mov_b32_e32 v8, s23
	v_add_co_u32_e32 v141, vcc, s22, v6
	v_addc_co_u32_e32 v142, vcc, v8, v7, vcc
	v_mov_b32_e32 v8, s21
	v_add_co_u32_e32 v6, vcc, s20, v6
	v_addc_co_u32_e32 v7, vcc, v8, v7, vcc
	global_load_dword v9, v[6:7], off
	global_load_dword v8, v[141:142], off
.LBB107_77:                             ;   in Loop: Header=BB107_3 Depth=1
	s_or_b64 exec, exec, s[36:37]
.LBB107_78:                             ;   in Loop: Header=BB107_3 Depth=1
	s_or_b64 exec, exec, s[10:11]
	v_mov_b32_e32 v6, 0
	v_mov_b32_e32 v7, 0
	s_and_saveexec_b64 s[10:11], s[2:3]
	s_cbranch_execz .LBB107_80
; %bb.79:                               ;   in Loop: Header=BB107_3 Depth=1
	v_add_co_u32_e32 v6, vcc, v2, v4
	v_addc_co_u32_e32 v7, vcc, v10, v5, vcc
	v_add_co_u32_e32 v141, vcc, v11, v4
	v_addc_co_u32_e32 v142, vcc, v12, v5, vcc
	global_load_ushort v141, v[141:142], off
	s_nop 0
	global_load_ushort v7, v[6:7], off
	s_waitcnt vmcnt(1)
	v_lshlrev_b32_e32 v6, 16, v141
	s_waitcnt vmcnt(0)
	v_lshlrev_b32_e32 v7, 16, v7
.LBB107_80:                             ;   in Loop: Header=BB107_3 Depth=1
	s_or_b64 exec, exec, s[10:11]
	v_mov_b32_e32 v141, 0
	s_and_saveexec_b64 s[10:11], s[2:3]
	s_cbranch_execz .LBB107_82
; %bb.81:                               ;   in Loop: Header=BB107_3 Depth=1
	v_add_co_u32_e32 v141, vcc, v135, v4
	v_addc_co_u32_e32 v142, vcc, v136, v5, vcc
	v_add_co_u32_e32 v143, vcc, v137, v4
	v_addc_co_u32_e32 v144, vcc, v138, v5, vcc
	global_load_ushort v130, v[143:144], off
	s_nop 0
	global_load_ushort v141, v[141:142], off
	s_waitcnt vmcnt(1)
	v_lshlrev_b32_e32 v130, 16, v130
	s_waitcnt vmcnt(0)
	v_lshlrev_b32_e32 v141, 16, v141
.LBB107_82:                             ;   in Loop: Header=BB107_3 Depth=1
	s_or_b64 exec, exec, s[10:11]
	v_mov_b32_e32 v142, 0
	v_mov_b32_e32 v144, 0
	v_mov_b32_e32 v143, 0
	s_and_saveexec_b64 s[10:11], s[2:3]
	s_cbranch_execz .LBB107_84
; %bb.83:                               ;   in Loop: Header=BB107_3 Depth=1
	v_add_co_u32_e32 v143, vcc, v129, v4
	v_addc_co_u32_e32 v144, vcc, v131, v5, vcc
	v_add_co_u32_e32 v145, vcc, v132, v4
	v_addc_co_u32_e32 v146, vcc, v134, v5, vcc
	global_load_ushort v145, v[145:146], off
	s_nop 0
	global_load_ushort v143, v[143:144], off
	s_waitcnt vmcnt(1)
	v_lshlrev_b32_e32 v144, 16, v145
	s_waitcnt vmcnt(0)
	v_lshlrev_b32_e32 v143, 16, v143
.LBB107_84:                             ;   in Loop: Header=BB107_3 Depth=1
	s_or_b64 exec, exec, s[10:11]
	v_mov_b32_e32 v145, 0
	s_and_saveexec_b64 s[10:11], s[2:3]
	s_cbranch_execz .LBB107_86
; %bb.85:                               ;   in Loop: Header=BB107_3 Depth=1
	v_add_co_u32_e32 v145, vcc, v125, v4
	v_addc_co_u32_e32 v146, vcc, v126, v5, vcc
	v_add_co_u32_e32 v147, vcc, v127, v4
	v_addc_co_u32_e32 v148, vcc, v128, v5, vcc
	global_load_ushort v142, v[147:148], off
	s_nop 0
	global_load_ushort v145, v[145:146], off
	s_waitcnt vmcnt(1)
	v_lshlrev_b32_e32 v142, 16, v142
	s_waitcnt vmcnt(0)
	v_lshlrev_b32_e32 v145, 16, v145
.LBB107_86:                             ;   in Loop: Header=BB107_3 Depth=1
	s_or_b64 exec, exec, s[10:11]
	v_mov_b32_e32 v146, 0
	;; [unrolled: 36-line block ×5, first 2 shown]
	v_mov_b32_e32 v160, 0
	v_mov_b32_e32 v159, 0
	s_and_saveexec_b64 s[10:11], s[2:3]
	s_cbranch_execz .LBB107_100
; %bb.99:                               ;   in Loop: Header=BB107_3 Depth=1
	v_add_co_u32_e32 v159, vcc, v97, v4
	v_addc_co_u32_e32 v160, vcc, v98, v5, vcc
	v_add_co_u32_e32 v161, vcc, v99, v4
	v_addc_co_u32_e32 v162, vcc, v100, v5, vcc
	global_load_ushort v161, v[161:162], off
	s_nop 0
	global_load_ushort v159, v[159:160], off
	s_waitcnt vmcnt(1)
	v_lshlrev_b32_e32 v160, 16, v161
	s_waitcnt vmcnt(0)
	v_lshlrev_b32_e32 v159, 16, v159
.LBB107_100:                            ;   in Loop: Header=BB107_3 Depth=1
	s_or_b64 exec, exec, s[10:11]
	v_mov_b32_e32 v161, 0
	s_and_saveexec_b64 s[10:11], s[2:3]
	s_cbranch_execz .LBB107_102
; %bb.101:                              ;   in Loop: Header=BB107_3 Depth=1
	v_add_co_u32_e32 v161, vcc, v93, v4
	v_addc_co_u32_e32 v162, vcc, v94, v5, vcc
	v_add_co_u32_e32 v163, vcc, v95, v4
	v_addc_co_u32_e32 v164, vcc, v96, v5, vcc
	global_load_ushort v158, v[163:164], off
	s_nop 0
	global_load_ushort v161, v[161:162], off
	s_waitcnt vmcnt(1)
	v_lshlrev_b32_e32 v158, 16, v158
	s_waitcnt vmcnt(0)
	v_lshlrev_b32_e32 v161, 16, v161
.LBB107_102:                            ;   in Loop: Header=BB107_3 Depth=1
	s_or_b64 exec, exec, s[10:11]
	v_mov_b32_e32 v162, 0
	v_mov_b32_e32 v164, 0
	;; [unrolled: 1-line block ×3, first 2 shown]
	s_and_saveexec_b64 s[10:11], s[2:3]
	s_cbranch_execz .LBB107_104
; %bb.103:                              ;   in Loop: Header=BB107_3 Depth=1
	v_add_co_u32_e32 v163, vcc, v89, v4
	v_addc_co_u32_e32 v164, vcc, v90, v5, vcc
	v_add_co_u32_e32 v165, vcc, v91, v4
	v_addc_co_u32_e32 v166, vcc, v92, v5, vcc
	global_load_ushort v165, v[165:166], off
	s_nop 0
	global_load_ushort v163, v[163:164], off
	s_waitcnt vmcnt(1)
	v_lshlrev_b32_e32 v164, 16, v165
	s_waitcnt vmcnt(0)
	v_lshlrev_b32_e32 v163, 16, v163
.LBB107_104:                            ;   in Loop: Header=BB107_3 Depth=1
	s_or_b64 exec, exec, s[10:11]
	v_mov_b32_e32 v166, 0
	s_and_saveexec_b64 s[10:11], s[2:3]
	s_cbranch_execz .LBB107_106
; %bb.105:                              ;   in Loop: Header=BB107_3 Depth=1
	v_add_co_u32_e32 v165, vcc, v85, v4
	v_addc_co_u32_e32 v166, vcc, v86, v5, vcc
	v_add_co_u32_e32 v167, vcc, v87, v4
	v_addc_co_u32_e32 v168, vcc, v88, v5, vcc
	global_load_ushort v162, v[167:168], off
	s_nop 0
	global_load_ushort v165, v[165:166], off
	s_waitcnt vmcnt(1)
	v_lshlrev_b32_e32 v162, 16, v162
	s_waitcnt vmcnt(0)
	v_lshlrev_b32_e32 v166, 16, v165
.LBB107_106:                            ;   in Loop: Header=BB107_3 Depth=1
	s_or_b64 exec, exec, s[10:11]
	v_mov_b32_e32 v167, 0
	v_mov_b32_e32 v170, 0
	;; [unrolled: 1-line block ×3, first 2 shown]
	s_and_saveexec_b64 s[10:11], s[2:3]
	s_cbranch_execz .LBB107_108
; %bb.107:                              ;   in Loop: Header=BB107_3 Depth=1
	v_add_co_u32_e32 v168, vcc, v81, v4
	v_addc_co_u32_e32 v169, vcc, v82, v5, vcc
	v_add_co_u32_e32 v170, vcc, v83, v4
	v_addc_co_u32_e32 v171, vcc, v84, v5, vcc
	global_load_ushort v165, v[170:171], off
	s_nop 0
	global_load_ushort v168, v[168:169], off
	s_waitcnt vmcnt(1)
	v_lshlrev_b32_e32 v170, 16, v165
	s_waitcnt vmcnt(0)
	v_lshlrev_b32_e32 v168, 16, v168
.LBB107_108:                            ;   in Loop: Header=BB107_3 Depth=1
	s_or_b64 exec, exec, s[10:11]
	v_mov_b32_e32 v171, 0
	s_and_saveexec_b64 s[10:11], s[2:3]
	s_cbranch_execz .LBB107_110
; %bb.109:                              ;   in Loop: Header=BB107_3 Depth=1
	v_add_co_u32_e32 v171, vcc, v77, v4
	v_addc_co_u32_e32 v172, vcc, v78, v5, vcc
	v_add_co_u32_e32 v173, vcc, v79, v4
	v_addc_co_u32_e32 v174, vcc, v80, v5, vcc
	global_load_ushort v165, v[173:174], off
	global_load_ushort v169, v[171:172], off
	s_waitcnt vmcnt(1)
	v_lshlrev_b32_e32 v167, 16, v165
	s_waitcnt vmcnt(0)
	v_lshlrev_b32_e32 v171, 16, v169
.LBB107_110:                            ;   in Loop: Header=BB107_3 Depth=1
	s_or_b64 exec, exec, s[10:11]
	v_mov_b32_e32 v172, 0
	v_mov_b32_e32 v174, 0
	v_mov_b32_e32 v173, 0
	s_and_saveexec_b64 s[10:11], s[2:3]
	s_cbranch_execz .LBB107_112
; %bb.111:                              ;   in Loop: Header=BB107_3 Depth=1
	v_add_co_u32_e32 v173, vcc, v73, v4
	v_addc_co_u32_e32 v174, vcc, v74, v5, vcc
	v_add_co_u32_e32 v175, vcc, v75, v4
	v_addc_co_u32_e32 v176, vcc, v76, v5, vcc
	global_load_ushort v165, v[175:176], off
	global_load_ushort v169, v[173:174], off
	s_waitcnt vmcnt(1)
	v_lshlrev_b32_e32 v174, 16, v165
	s_waitcnt vmcnt(0)
	v_lshlrev_b32_e32 v173, 16, v169
.LBB107_112:                            ;   in Loop: Header=BB107_3 Depth=1
	s_or_b64 exec, exec, s[10:11]
	v_mov_b32_e32 v175, 0
	s_and_saveexec_b64 s[10:11], s[2:3]
	s_cbranch_execz .LBB107_114
; %bb.113:                              ;   in Loop: Header=BB107_3 Depth=1
	v_add_co_u32_e32 v175, vcc, v69, v4
	v_addc_co_u32_e32 v176, vcc, v70, v5, vcc
	v_add_co_u32_e32 v177, vcc, v71, v4
	v_addc_co_u32_e32 v178, vcc, v72, v5, vcc
	global_load_ushort v165, v[177:178], off
	global_load_ushort v169, v[175:176], off
	s_waitcnt vmcnt(1)
	v_lshlrev_b32_e32 v172, 16, v165
	s_waitcnt vmcnt(0)
	v_lshlrev_b32_e32 v175, 16, v169
.LBB107_114:                            ;   in Loop: Header=BB107_3 Depth=1
	s_or_b64 exec, exec, s[10:11]
	v_mov_b32_e32 v176, 0
	v_mov_b32_e32 v178, 0
	v_mov_b32_e32 v177, 0
	s_and_saveexec_b64 s[10:11], s[2:3]
	s_cbranch_execz .LBB107_116
; %bb.115:                              ;   in Loop: Header=BB107_3 Depth=1
	v_add_co_u32_e32 v177, vcc, v65, v4
	v_addc_co_u32_e32 v178, vcc, v66, v5, vcc
	v_add_co_u32_e32 v179, vcc, v67, v4
	v_addc_co_u32_e32 v180, vcc, v68, v5, vcc
	global_load_ushort v165, v[179:180], off
	global_load_ushort v169, v[177:178], off
	s_waitcnt vmcnt(1)
	v_lshlrev_b32_e32 v178, 16, v165
	s_waitcnt vmcnt(0)
	v_lshlrev_b32_e32 v177, 16, v169
.LBB107_116:                            ;   in Loop: Header=BB107_3 Depth=1
	;; [unrolled: 34-line block ×7, first 2 shown]
	s_or_b64 exec, exec, s[10:11]
	v_mov_b32_e32 v199, 0
	s_and_saveexec_b64 s[10:11], s[2:3]
	s_cbranch_execz .LBB107_138
; %bb.137:                              ;   in Loop: Header=BB107_3 Depth=1
	v_add_co_u32_e32 v199, vcc, v21, v4
	v_addc_co_u32_e32 v200, vcc, v22, v5, vcc
	v_add_co_u32_e32 v201, vcc, v23, v4
	v_addc_co_u32_e32 v202, vcc, v24, v5, vcc
	global_load_ushort v165, v[201:202], off
	global_load_ushort v169, v[199:200], off
	s_waitcnt vmcnt(1)
	v_lshlrev_b32_e32 v196, 16, v165
	s_waitcnt vmcnt(0)
	v_lshlrev_b32_e32 v199, 16, v169
.LBB107_138:                            ;   in Loop: Header=BB107_3 Depth=1
	s_or_b64 exec, exec, s[10:11]
	v_mov_b32_e32 v165, 0
	v_mov_b32_e32 v201, 0
	;; [unrolled: 1-line block ×3, first 2 shown]
	s_and_saveexec_b64 s[10:11], s[2:3]
	s_cbranch_execz .LBB107_140
; %bb.139:                              ;   in Loop: Header=BB107_3 Depth=1
	v_add_co_u32_e32 v200, vcc, v17, v4
	v_addc_co_u32_e32 v201, vcc, v18, v5, vcc
	v_add_co_u32_e32 v202, vcc, v19, v4
	v_addc_co_u32_e32 v203, vcc, v20, v5, vcc
	global_load_ushort v169, v[202:203], off
	s_nop 0
	global_load_ushort v200, v[200:201], off
	s_waitcnt vmcnt(1)
	v_lshlrev_b32_e32 v201, 16, v169
	s_waitcnt vmcnt(0)
	v_lshlrev_b32_e32 v200, 16, v200
.LBB107_140:                            ;   in Loop: Header=BB107_3 Depth=1
	s_or_b64 exec, exec, s[10:11]
	v_mov_b32_e32 v169, 0
	s_and_saveexec_b64 s[10:11], s[2:3]
	s_cbranch_execz .LBB107_142
; %bb.141:                              ;   in Loop: Header=BB107_3 Depth=1
	v_add_co_u32_e32 v202, vcc, v13, v4
	v_addc_co_u32_e32 v203, vcc, v14, v5, vcc
	v_add_co_u32_e32 v204, vcc, v15, v4
	v_addc_co_u32_e32 v205, vcc, v16, v5, vcc
	global_load_ushort v165, v[204:205], off
	global_load_ushort v169, v[202:203], off
	s_waitcnt vmcnt(1)
	v_lshlrev_b32_e32 v165, 16, v165
	s_waitcnt vmcnt(0)
	v_lshlrev_b32_e32 v169, 16, v169
.LBB107_142:                            ;   in Loop: Header=BB107_3 Depth=1
	s_or_b64 exec, exec, s[10:11]
	s_waitcnt vmcnt(1)
	ds_bpermute_b32 v202, v139, v9
	s_waitcnt vmcnt(0)
	ds_bpermute_b32 v203, v139, v8
	ds_bpermute_b32 v204, v139, v9 offset:4
	ds_bpermute_b32 v205, v139, v8 offset:4
	v_add_f32_e32 v133, v133, v7
	s_waitcnt lgkmcnt(3)
	v_sub_f32_e32 v6, v6, v202
	v_mul_f32_e32 v6, v7, v6
	s_waitcnt lgkmcnt(2)
	v_fmac_f32_e32 v140, v6, v203
	s_waitcnt lgkmcnt(1)
	v_sub_f32_e32 v6, v130, v204
	ds_bpermute_b32 v7, v139, v9 offset:8
	v_mul_f32_e32 v6, v141, v6
	s_waitcnt lgkmcnt(1)
	v_fmac_f32_e32 v140, v6, v205
	ds_bpermute_b32 v6, v139, v8 offset:8
	v_add_f32_e32 v130, v133, v141
	s_waitcnt lgkmcnt(1)
	v_sub_f32_e32 v7, v144, v7
	ds_bpermute_b32 v133, v139, v9 offset:12
	v_mul_f32_e32 v7, v143, v7
	s_waitcnt lgkmcnt(1)
	v_fmac_f32_e32 v140, v7, v6
	ds_bpermute_b32 v6, v139, v8 offset:12
	v_add_f32_e32 v7, v130, v143
	;; [unrolled: 8-line block ×28, first 2 shown]
	s_waitcnt lgkmcnt(1)
	v_sub_f32_e32 v130, v196, v133
	ds_bpermute_b32 v133, v139, v9 offset:120
	v_mul_f32_e32 v130, v199, v130
	s_waitcnt lgkmcnt(1)
	v_fmac_f32_e32 v140, v130, v6
	v_add_f32_e32 v6, v7, v199
	ds_bpermute_b32 v7, v139, v8 offset:120
	ds_bpermute_b32 v8, v139, v8 offset:124
	;; [unrolled: 1-line block ×3, first 2 shown]
	s_waitcnt lgkmcnt(3)
	v_sub_f32_e32 v130, v201, v133
	v_mul_f32_e32 v130, v200, v130
	s_waitcnt lgkmcnt(2)
	v_fmac_f32_e32 v140, v130, v7
	v_add_f32_e32 v141, v6, v200
	v_mov_b32_e32 v130, v140
.LBB107_143:                            ;   in Loop: Header=BB107_3 Depth=1
	s_waitcnt lgkmcnt(0)
	v_sub_f32_e32 v6, v165, v9
	v_mul_f32_e32 v6, v169, v6
	v_fmac_f32_e32 v130, v6, v8
	v_mov_b32_e32 v6, s29
	v_add_co_u32_e32 v2, vcc, s28, v2
	v_addc_co_u32_e32 v10, vcc, v10, v6, vcc
	v_add_co_u32_e32 v11, vcc, s28, v11
	v_addc_co_u32_e32 v12, vcc, v12, v6, vcc
	;; [unrolled: 2-line block ×64, first 2 shown]
	s_add_u32 s34, s34, s9
	v_add_co_u32_e32 v210, vcc, s9, v210
	v_mov_b32_e32 v6, s12
	s_addc_u32 s35, s35, 0
	v_addc_co_u32_e32 v209, vcc, 0, v209, vcc
	v_mov_b32_e32 v7, s13
	v_cmp_lt_i64_e32 vcc, s[34:35], v[6:7]
	s_add_u32 s30, s30, s9
	v_add_f32_e32 v133, v141, v169
	s_addc_u32 s31, 0, s31
	s_cbranch_vccz .LBB107_146
; %bb.144:                              ;   in Loop: Header=BB107_3 Depth=1
	v_mov_b32_e32 v140, v130
	s_branch .LBB107_3
.LBB107_145:
                                        ; implicit-def: $vgpr130
                                        ; implicit-def: $vgpr133
	s_branch .LBB107_147
.LBB107_146:
	s_cbranch_execnz .LBB107_228
.LBB107_147:
	v_mov_b32_e32 v130, 0
	s_and_b64 vcc, exec, s[0:1]
	v_mov_b32_e32 v133, 0
	s_cbranch_vccnz .LBB107_228
; %bb.148:
	v_mov_b32_e32 v4, 0
	v_mov_b32_e32 v2, v4
	buffer_store_dword v0, off, s[40:43], 0 offset:300 ; 4-byte Folded Spill
	v_lshlrev_b32_e32 v135, 5, v1
	s_load_dword s0, s[4:5], 0x44
	buffer_store_dword v1, off, s[40:43], 0 offset:304 ; 4-byte Folded Spill
	s_nop 0
	buffer_store_dword v2, off, s[40:43], 0 offset:308 ; 4-byte Folded Spill
	v_add_u32_e32 v3, s7, v0
	s_add_u32 s2, s4, 64
	v_add_co_u32_e32 v0, vcc, s24, v135
	s_addc_u32 s3, s5, 0
	s_waitcnt lgkmcnt(0)
	s_lshl_b32 s7, s0, 5
	v_addc_co_u32_e64 v166, s[0:1], 0, 0, vcc
	v_mov_b32_e32 v136, v4
	v_lshlrev_b64 v[4:5], 1, v[3:4]
	v_mul_lo_u32 v2, s15, v0
	v_mul_lo_u32 v3, s14, v166
	v_mad_u64_u32 v[130:131], s[0:1], s14, v0, 0
	s_mul_i32 s0, s15, s7
	s_mul_hi_u32 s1, s14, s7
	v_add3_u32 v131, v131, v3, v2
	v_lshlrev_b64 v[2:3], 1, v[130:131]
	s_add_i32 s1, s1, s0
	v_add_co_u32_e32 v6, vcc, s16, v2
	buffer_store_dword v6, off, s[40:43], 0 ; 4-byte Folded Spill
	v_mov_b32_e32 v6, s17
	v_addc_co_u32_e32 v6, vcc, v6, v3, vcc
	v_add_co_u32_e32 v2, vcc, s18, v2
	buffer_store_dword v2, off, s[40:43], 0 offset:8 ; 4-byte Folded Spill
	v_mov_b32_e32 v2, s19
	v_addc_co_u32_e32 v2, vcc, v2, v3, vcc
	buffer_store_dword v2, off, s[40:43], 0 offset:12 ; 4-byte Folded Spill
	buffer_store_dword v6, off, s[40:43], 0 offset:4 ; 4-byte Folded Spill
	s_mul_i32 s0, s14, s7
	s_lshl_b64 s[10:11], s[0:1], 1
	s_lshl_b64 s[0:1], s[24:25], 1
	s_mov_b64 s[26:27], 31
	v_mov_b32_e32 v208, 0
	v_mov_b32_e32 v2, v1
	buffer_store_dword v2, off, s[40:43], 0 offset:292 ; 4-byte Folded Spill
	s_nop 0
	buffer_store_dword v3, off, s[40:43], 0 offset:296 ; 4-byte Folded Spill
	v_lshlrev_b32_e32 v2, 6, v1
	v_add_co_u32_e32 v66, vcc, s0, v2
	v_mov_b32_e32 v2, s1
	v_addc_co_u32_e32 v67, vcc, 0, v2, vcc
	v_add_co_u32_e32 v68, vcc, 2, v66
	v_addc_co_u32_e32 v8, vcc, 0, v67, vcc
	v_add_co_u32_e32 v72, vcc, 4, v66
	;; [unrolled: 2-line block ×30, first 2 shown]
	v_mov_b32_e32 v2, s16
	v_addc_co_u32_e32 v69, vcc, 0, v67, vcc
	v_mov_b32_e32 v3, s17
	v_add_co_u32_e32 v163, vcc, 62, v66
	v_mad_u64_u32 v[6:7], s[0:1], s14, v68, v[2:3]
	v_mul_lo_u32 v70, s14, v8
	v_mad_u64_u32 v[8:9], s[0:1], s14, v72, v[2:3]
	v_mul_lo_u32 v73, s14, v10
	;; [unrolled: 2-line block ×30, first 2 shown]
	v_addc_co_u32_e32 v69, vcc, 0, v67, vcc
	v_mad_u64_u32 v[66:67], s[0:1], s14, v163, v[2:3]
	v_mov_b32_e32 v2, s18
	v_mov_b32_e32 v3, s19
	v_mul_lo_u32 v71, s15, v68
	v_mul_lo_u32 v164, s14, v69
	v_mad_u64_u32 v[68:69], s[0:1], s14, v68, v[2:3]
	v_add3_u32 v7, v71, v7, v70
	v_mul_lo_u32 v74, s15, v72
	v_add3_u32 v69, v71, v69, v70
	v_mad_u64_u32 v[70:71], s[0:1], s14, v72, v[2:3]
	v_add3_u32 v9, v74, v9, v73
	v_mul_lo_u32 v77, s15, v75
	v_add3_u32 v71, v74, v71, v73
	v_mad_u64_u32 v[72:73], s[0:1], s14, v75, v[2:3]
	v_mul_lo_u32 v80, s15, v78
	v_mad_u64_u32 v[74:75], s[0:1], s14, v78, v[2:3]
	v_add3_u32 v11, v77, v11, v76
	v_mul_lo_u32 v83, s15, v81
	v_add3_u32 v73, v77, v73, v76
	v_mad_u64_u32 v[76:77], s[0:1], s14, v81, v[2:3]
	v_add3_u32 v13, v80, v13, v79
	v_mul_lo_u32 v86, s15, v84
	v_add3_u32 v75, v80, v75, v79
	v_mad_u64_u32 v[78:79], s[0:1], s14, v84, v[2:3]
	v_add3_u32 v15, v83, v15, v82
	v_mul_lo_u32 v89, s15, v87
	v_mul_lo_u32 v92, s15, v90
	v_add3_u32 v77, v83, v77, v82
	v_mad_u64_u32 v[80:81], s[0:1], s14, v87, v[2:3]
	v_mad_u64_u32 v[82:83], s[0:1], s14, v90, v[2:3]
	v_add3_u32 v17, v86, v17, v85
	v_mul_lo_u32 v95, s15, v93
	v_add3_u32 v79, v86, v79, v85
	v_mad_u64_u32 v[84:85], s[0:1], s14, v93, v[2:3]
	v_add3_u32 v19, v89, v19, v88
	v_add3_u32 v21, v92, v21, v91
	v_mul_lo_u32 v98, s15, v96
	v_mul_lo_u32 v101, s15, v99
	;; [unrolled: 1-line block ×4, first 2 shown]
	v_add3_u32 v81, v89, v81, v88
	v_add3_u32 v83, v92, v83, v91
	v_mad_u64_u32 v[86:87], s[0:1], s14, v96, v[2:3]
	v_mad_u64_u32 v[88:89], s[0:1], s14, v99, v[2:3]
	;; [unrolled: 1-line block ×4, first 2 shown]
	v_add3_u32 v23, v95, v23, v94
	v_mul_lo_u32 v110, s15, v108
	v_add3_u32 v85, v95, v85, v94
	v_mad_u64_u32 v[94:95], s[0:1], s14, v108, v[2:3]
	v_add3_u32 v25, v98, v25, v97
	v_add3_u32 v27, v101, v27, v100
	;; [unrolled: 1-line block ×4, first 2 shown]
	v_mul_lo_u32 v113, s15, v111
	v_mul_lo_u32 v116, s15, v114
	;; [unrolled: 1-line block ×6, first 2 shown]
	v_add3_u32 v87, v98, v87, v97
	v_add3_u32 v89, v101, v89, v100
	;; [unrolled: 1-line block ×4, first 2 shown]
	v_mad_u64_u32 v[96:97], s[0:1], s14, v111, v[2:3]
	v_mad_u64_u32 v[98:99], s[0:1], s14, v114, v[2:3]
	;; [unrolled: 1-line block ×6, first 2 shown]
	v_add3_u32 v33, v110, v33, v109
	v_mul_lo_u32 v133, s15, v129
	v_add3_u32 v95, v110, v95, v109
	v_mad_u64_u32 v[108:109], s[0:1], s14, v129, v[2:3]
	v_add3_u32 v35, v113, v35, v112
	v_add3_u32 v37, v116, v37, v115
	;; [unrolled: 1-line block ×12, first 2 shown]
	v_mad_u64_u32 v[110:111], s[0:1], s14, v134, v[2:3]
	v_mad_u64_u32 v[112:113], s[0:1], s14, v139, v[2:3]
	;; [unrolled: 1-line block ×10, first 2 shown]
	v_add_co_u32_e32 v2, vcc, 31, v0
	v_addc_co_u32_e32 v3, vcc, 0, v166, vcc
	v_add3_u32 v47, v133, v47, v132
	v_add3_u32 v109, v133, v109, v132
	v_mul_lo_u32 v132, s15, v2
	v_mul_lo_u32 v133, s14, v3
	v_mad_u64_u32 v[2:3], s[0:1], s14, v2, 0
	v_mul_lo_u32 v141, s15, v139
	v_mul_lo_u32 v144, s15, v142
	v_add3_u32 v3, v3, v133, v132
	v_lshlrev_b64 v[2:3], 1, v[2:3]
	v_mov_b32_e32 v132, s17
	v_add_co_u32_e32 v1, vcc, s16, v2
	buffer_store_dword v1, off, s[40:43], 0 offset:16 ; 4-byte Folded Spill
	v_addc_co_u32_e32 v1, vcc, v132, v3, vcc
	buffer_store_dword v1, off, s[40:43], 0 offset:20 ; 4-byte Folded Spill
	v_add_co_u32_e32 v1, vcc, s18, v2
	v_mov_b32_e32 v2, s19
	buffer_store_dword v1, off, s[40:43], 0 offset:24 ; 4-byte Folded Spill
	v_addc_co_u32_e32 v1, vcc, v2, v3, vcc
	v_add_co_u32_e32 v2, vcc, 30, v0
	v_addc_co_u32_e32 v3, vcc, 0, v166, vcc
	v_mul_lo_u32 v132, s15, v2
	v_mul_lo_u32 v133, s14, v3
	v_mad_u64_u32 v[2:3], s[0:1], s14, v2, 0
	buffer_store_dword v1, off, s[40:43], 0 offset:28 ; 4-byte Folded Spill
	v_add3_u32 v51, v141, v51, v140
	v_add3_u32 v3, v3, v133, v132
	v_lshlrev_b64 v[2:3], 1, v[2:3]
	v_mov_b32_e32 v132, s17
	v_add_co_u32_e32 v1, vcc, s16, v2
	buffer_store_dword v1, off, s[40:43], 0 offset:32 ; 4-byte Folded Spill
	v_addc_co_u32_e32 v1, vcc, v132, v3, vcc
	buffer_store_dword v1, off, s[40:43], 0 offset:36 ; 4-byte Folded Spill
	v_add_co_u32_e32 v1, vcc, s18, v2
	v_mov_b32_e32 v2, s19
	buffer_store_dword v1, off, s[40:43], 0 offset:40 ; 4-byte Folded Spill
	v_addc_co_u32_e32 v1, vcc, v2, v3, vcc
	v_add_co_u32_e32 v2, vcc, 29, v0
	v_addc_co_u32_e32 v3, vcc, 0, v166, vcc
	v_mul_lo_u32 v132, s15, v2
	v_mul_lo_u32 v133, s14, v3
	v_mad_u64_u32 v[2:3], s[0:1], s14, v2, 0
	buffer_store_dword v1, off, s[40:43], 0 offset:44 ; 4-byte Folded Spill
	v_add3_u32 v113, v141, v113, v140
	v_add3_u32 v3, v3, v133, v132
	v_lshlrev_b64 v[2:3], 1, v[2:3]
	v_mov_b32_e32 v132, s17
	v_add_co_u32_e32 v1, vcc, s16, v2
	buffer_store_dword v1, off, s[40:43], 0 offset:48 ; 4-byte Folded Spill
	v_addc_co_u32_e32 v1, vcc, v132, v3, vcc
	buffer_store_dword v1, off, s[40:43], 0 offset:52 ; 4-byte Folded Spill
	v_add_co_u32_e32 v1, vcc, s18, v2
	v_mov_b32_e32 v2, s19
	buffer_store_dword v1, off, s[40:43], 0 offset:56 ; 4-byte Folded Spill
	v_addc_co_u32_e32 v1, vcc, v2, v3, vcc
	v_add_co_u32_e32 v2, vcc, 28, v0
	v_addc_co_u32_e32 v3, vcc, 0, v166, vcc
	v_mul_lo_u32 v132, s15, v2
	v_mul_lo_u32 v133, s14, v3
	v_mad_u64_u32 v[2:3], s[0:1], s14, v2, 0
	buffer_store_dword v1, off, s[40:43], 0 offset:60 ; 4-byte Folded Spill
	v_mul_lo_u32 v138, s15, v134
	v_add3_u32 v3, v3, v133, v132
	v_lshlrev_b64 v[2:3], 1, v[2:3]
	v_mov_b32_e32 v132, s17
	v_add_co_u32_e32 v1, vcc, s16, v2
	buffer_store_dword v1, off, s[40:43], 0 offset:64 ; 4-byte Folded Spill
	v_addc_co_u32_e32 v1, vcc, v132, v3, vcc
	buffer_store_dword v1, off, s[40:43], 0 offset:68 ; 4-byte Folded Spill
	v_add_co_u32_e32 v1, vcc, s18, v2
	v_mov_b32_e32 v2, s19
	buffer_store_dword v1, off, s[40:43], 0 offset:72 ; 4-byte Folded Spill
	v_addc_co_u32_e32 v1, vcc, v2, v3, vcc
	v_add_co_u32_e32 v2, vcc, 27, v0
	v_addc_co_u32_e32 v3, vcc, 0, v166, vcc
	v_mul_lo_u32 v132, s15, v2
	v_mul_lo_u32 v133, s14, v3
	v_mad_u64_u32 v[2:3], s[0:1], s14, v2, 0
	buffer_store_dword v1, off, s[40:43], 0 offset:76 ; 4-byte Folded Spill
	v_add3_u32 v53, v144, v53, v143
	v_add3_u32 v3, v3, v133, v132
	v_lshlrev_b64 v[2:3], 1, v[2:3]
	v_mov_b32_e32 v132, s17
	v_add_co_u32_e32 v1, vcc, s16, v2
	buffer_store_dword v1, off, s[40:43], 0 offset:80 ; 4-byte Folded Spill
	v_addc_co_u32_e32 v1, vcc, v132, v3, vcc
	buffer_store_dword v1, off, s[40:43], 0 offset:84 ; 4-byte Folded Spill
	v_add_co_u32_e32 v1, vcc, s18, v2
	v_mov_b32_e32 v2, s19
	buffer_store_dword v1, off, s[40:43], 0 offset:88 ; 4-byte Folded Spill
	v_addc_co_u32_e32 v1, vcc, v2, v3, vcc
	v_add_co_u32_e32 v2, vcc, 26, v0
	v_addc_co_u32_e32 v3, vcc, 0, v166, vcc
	v_mul_lo_u32 v132, s15, v2
	v_mul_lo_u32 v133, s14, v3
	v_mad_u64_u32 v[2:3], s[0:1], s14, v2, 0
	buffer_store_dword v1, off, s[40:43], 0 offset:92 ; 4-byte Folded Spill
	v_mul_lo_u32 v147, s15, v145
	v_add3_u32 v3, v3, v133, v132
	v_lshlrev_b64 v[2:3], 1, v[2:3]
	v_mov_b32_e32 v132, s17
	v_add_co_u32_e32 v1, vcc, s16, v2
	buffer_store_dword v1, off, s[40:43], 0 offset:96 ; 4-byte Folded Spill
	v_addc_co_u32_e32 v1, vcc, v132, v3, vcc
	buffer_store_dword v1, off, s[40:43], 0 offset:100 ; 4-byte Folded Spill
	v_add_co_u32_e32 v1, vcc, s18, v2
	v_mov_b32_e32 v2, s19
	buffer_store_dword v1, off, s[40:43], 0 offset:104 ; 4-byte Folded Spill
	v_addc_co_u32_e32 v1, vcc, v2, v3, vcc
	v_add_co_u32_e32 v2, vcc, 25, v0
	v_addc_co_u32_e32 v3, vcc, 0, v166, vcc
	v_mul_lo_u32 v132, s15, v2
	v_mul_lo_u32 v133, s14, v3
	v_mad_u64_u32 v[2:3], s[0:1], s14, v2, 0
	buffer_store_dword v1, off, s[40:43], 0 offset:108 ; 4-byte Folded Spill
	v_mul_lo_u32 v150, s15, v148
	;; [unrolled: 18-line block ×7, first 2 shown]
	v_add3_u32 v3, v3, v133, v132
	v_lshlrev_b64 v[2:3], 1, v[2:3]
	v_mov_b32_e32 v132, s17
	v_add_co_u32_e32 v1, vcc, s16, v2
	buffer_store_dword v1, off, s[40:43], 0 offset:192 ; 4-byte Folded Spill
	v_addc_co_u32_e32 v1, vcc, v132, v3, vcc
	buffer_store_dword v1, off, s[40:43], 0 offset:196 ; 4-byte Folded Spill
	v_add_co_u32_e32 v1, vcc, s18, v2
	v_mov_b32_e32 v2, s19
	buffer_store_dword v1, off, s[40:43], 0 offset:200 ; 4-byte Folded Spill
	v_addc_co_u32_e32 v1, vcc, v2, v3, vcc
	v_add_co_u32_e32 v2, vcc, 19, v0
	v_addc_co_u32_e32 v3, vcc, 0, v166, vcc
	v_mul_lo_u32 v132, s15, v2
	v_mul_lo_u32 v133, s14, v3
	v_mad_u64_u32 v[2:3], s[0:1], s14, v2, 0
	buffer_store_dword v1, off, s[40:43], 0 offset:204 ; 4-byte Folded Spill
	v_add3_u32 v115, v144, v115, v143
	v_add3_u32 v3, v3, v133, v132
	v_lshlrev_b64 v[2:3], 1, v[2:3]
	v_mov_b32_e32 v132, s17
	v_add_co_u32_e32 v1, vcc, s16, v2
	buffer_store_dword v1, off, s[40:43], 0 offset:208 ; 4-byte Folded Spill
	v_addc_co_u32_e32 v1, vcc, v132, v3, vcc
	buffer_store_dword v1, off, s[40:43], 0 offset:212 ; 4-byte Folded Spill
	v_add_co_u32_e32 v1, vcc, s18, v2
	v_mov_b32_e32 v2, s19
	buffer_store_dword v1, off, s[40:43], 0 offset:216 ; 4-byte Folded Spill
	v_addc_co_u32_e32 v1, vcc, v2, v3, vcc
	v_add_co_u32_e32 v2, vcc, 18, v0
	v_addc_co_u32_e32 v3, vcc, 0, v166, vcc
	v_mul_lo_u32 v132, s15, v2
	v_mul_lo_u32 v133, s14, v3
	v_mad_u64_u32 v[2:3], s[0:1], s14, v2, 0
	buffer_store_dword v1, off, s[40:43], 0 offset:220 ; 4-byte Folded Spill
	v_add3_u32 v49, v138, v49, v137
	v_add3_u32 v3, v3, v133, v132
	v_lshlrev_b64 v[2:3], 1, v[2:3]
	v_mov_b32_e32 v132, s17
	v_add_co_u32_e32 v1, vcc, s16, v2
	buffer_store_dword v1, off, s[40:43], 0 offset:224 ; 4-byte Folded Spill
	v_addc_co_u32_e32 v1, vcc, v132, v3, vcc
	buffer_store_dword v1, off, s[40:43], 0 offset:228 ; 4-byte Folded Spill
	v_add_co_u32_e32 v1, vcc, s18, v2
	v_mov_b32_e32 v2, s19
	buffer_store_dword v1, off, s[40:43], 0 offset:232 ; 4-byte Folded Spill
	v_addc_co_u32_e32 v1, vcc, v2, v3, vcc
	v_add_co_u32_e32 v2, vcc, 17, v0
	v_addc_co_u32_e32 v3, vcc, 0, v166, vcc
	v_mul_lo_u32 v132, s15, v2
	v_mul_lo_u32 v133, s14, v3
	v_mad_u64_u32 v[2:3], s[0:1], s14, v2, 0
	buffer_store_dword v1, off, s[40:43], 0 offset:236 ; 4-byte Folded Spill
	v_add3_u32 v55, v147, v55, v146
	v_add3_u32 v3, v3, v133, v132
	v_lshlrev_b64 v[2:3], 1, v[2:3]
	v_mov_b32_e32 v132, s17
	v_add_co_u32_e32 v1, vcc, s16, v2
	buffer_store_dword v1, off, s[40:43], 0 offset:240 ; 4-byte Folded Spill
	v_addc_co_u32_e32 v1, vcc, v132, v3, vcc
	buffer_store_dword v1, off, s[40:43], 0 offset:244 ; 4-byte Folded Spill
	v_add_co_u32_e32 v1, vcc, s18, v2
	v_mov_b32_e32 v2, s19
	buffer_store_dword v1, off, s[40:43], 0 offset:248 ; 4-byte Folded Spill
	v_addc_co_u32_e32 v1, vcc, v2, v3, vcc
	v_add_co_u32_e32 v2, vcc, 16, v0
	v_addc_co_u32_e32 v3, vcc, 0, v166, vcc
	v_mul_lo_u32 v132, s15, v2
	v_mul_lo_u32 v133, s14, v3
	v_mad_u64_u32 v[2:3], s[0:1], s14, v2, 0
	buffer_store_dword v1, off, s[40:43], 0 offset:252 ; 4-byte Folded Spill
	v_add3_u32 v57, v150, v57, v149
	v_add3_u32 v3, v3, v133, v132
	v_lshlrev_b64 v[2:3], 1, v[2:3]
	v_mov_b32_e32 v132, s17
	v_add_co_u32_e32 v1, vcc, s16, v2
	buffer_store_dword v1, off, s[40:43], 0 offset:256 ; 4-byte Folded Spill
	v_addc_co_u32_e32 v1, vcc, v132, v3, vcc
	buffer_store_dword v1, off, s[40:43], 0 offset:260 ; 4-byte Folded Spill
	v_add_co_u32_e32 v1, vcc, s18, v2
	v_mov_b32_e32 v2, s19
	buffer_store_dword v1, off, s[40:43], 0 offset:264 ; 4-byte Folded Spill
	v_addc_co_u32_e32 v1, vcc, v2, v3, vcc
	v_add_co_u32_e32 v2, vcc, 15, v0
	v_addc_co_u32_e32 v3, vcc, 0, v166, vcc
	v_mul_lo_u32 v132, s15, v2
	v_mul_lo_u32 v133, s14, v3
	v_mad_u64_u32 v[2:3], s[0:1], s14, v2, 0
	buffer_store_dword v1, off, s[40:43], 0 offset:268 ; 4-byte Folded Spill
	v_add3_u32 v59, v153, v59, v152
	v_add3_u32 v3, v3, v133, v132
	v_lshlrev_b64 v[2:3], 1, v[2:3]
	v_mov_b32_e32 v132, s17
	v_add_co_u32_e32 v1, vcc, s16, v2
	buffer_store_dword v1, off, s[40:43], 0 offset:272 ; 4-byte Folded Spill
	v_addc_co_u32_e32 v1, vcc, v132, v3, vcc
	buffer_store_dword v1, off, s[40:43], 0 offset:276 ; 4-byte Folded Spill
	v_add_co_u32_e32 v1, vcc, s18, v2
	v_mov_b32_e32 v2, s19
	buffer_store_dword v1, off, s[40:43], 0 offset:280 ; 4-byte Folded Spill
	v_addc_co_u32_e32 v1, vcc, v2, v3, vcc
	v_add_co_u32_e32 v2, vcc, 14, v0
	v_addc_co_u32_e32 v3, vcc, 0, v166, vcc
	v_mul_lo_u32 v132, s15, v2
	v_mul_lo_u32 v133, s14, v3
	v_mad_u64_u32 v[2:3], s[0:1], s14, v2, 0
	buffer_store_dword v1, off, s[40:43], 0 offset:284 ; 4-byte Folded Spill
	v_add3_u32 v61, v156, v61, v155
	v_add3_u32 v3, v3, v133, v132
	v_lshlrev_b64 v[2:3], 1, v[2:3]
	v_mov_b32_e32 v132, s17
	v_add_co_u32_e32 v1, vcc, s16, v2
	v_addc_co_u32_e32 v209, vcc, v132, v3, vcc
	v_add_co_u32_e32 v210, vcc, s18, v2
	v_mov_b32_e32 v2, s19
	v_addc_co_u32_e32 v211, vcc, v2, v3, vcc
	v_add_co_u32_e32 v2, vcc, 13, v0
	v_addc_co_u32_e32 v3, vcc, 0, v166, vcc
	v_mul_lo_u32 v132, s15, v2
	v_mul_lo_u32 v133, s14, v3
	v_mad_u64_u32 v[2:3], s[0:1], s14, v2, 0
	buffer_store_dword v1, off, s[40:43], 0 offset:288 ; 4-byte Folded Spill
	v_add3_u32 v63, v159, v63, v158
	v_add3_u32 v3, v3, v133, v132
	v_lshlrev_b64 v[2:3], 1, v[2:3]
	v_mov_b32_e32 v132, s17
	v_add_co_u32_e32 v212, vcc, s16, v2
	v_addc_co_u32_e32 v213, vcc, v132, v3, vcc
	v_add_co_u32_e32 v214, vcc, s18, v2
	v_mov_b32_e32 v2, s19
	v_addc_co_u32_e32 v215, vcc, v2, v3, vcc
	v_add_co_u32_e32 v2, vcc, 12, v0
	v_addc_co_u32_e32 v3, vcc, 0, v166, vcc
	v_mul_lo_u32 v132, s15, v2
	v_mul_lo_u32 v133, s14, v3
	v_mad_u64_u32 v[2:3], s[0:1], s14, v2, 0
	v_add3_u32 v65, v162, v65, v161
	v_add3_u32 v67, v165, v67, v164
	v_add3_u32 v3, v3, v133, v132
	v_lshlrev_b64 v[2:3], 1, v[2:3]
	v_mov_b32_e32 v132, s17
	v_add_co_u32_e32 v216, vcc, s16, v2
	v_addc_co_u32_e32 v217, vcc, v132, v3, vcc
	v_add_co_u32_e32 v218, vcc, s18, v2
	v_mov_b32_e32 v2, s19
	v_addc_co_u32_e32 v219, vcc, v2, v3, vcc
	v_add_co_u32_e32 v2, vcc, 11, v0
	v_addc_co_u32_e32 v3, vcc, 0, v166, vcc
	v_mul_lo_u32 v132, s15, v2
	v_mul_lo_u32 v133, s14, v3
	v_mad_u64_u32 v[2:3], s[0:1], s14, v2, 0
	v_add3_u32 v111, v138, v111, v137
	;; [unrolled: 15-line block ×5, first 2 shown]
	v_add3_u32 v129, v165, v129, v164
	v_add3_u32 v3, v3, v133, v132
	v_lshlrev_b64 v[2:3], 1, v[2:3]
	v_mov_b32_e32 v132, s17
	v_add_co_u32_e32 v232, vcc, s16, v2
	v_addc_co_u32_e32 v233, vcc, v132, v3, vcc
	v_add_co_u32_e32 v234, vcc, s18, v2
	v_mov_b32_e32 v2, s19
	v_addc_co_u32_e32 v235, vcc, v2, v3, vcc
	v_add_co_u32_e32 v2, vcc, 7, v0
	v_addc_co_u32_e32 v3, vcc, 0, v166, vcc
	v_mul_lo_u32 v132, s15, v2
	v_mul_lo_u32 v133, s14, v3
	v_mad_u64_u32 v[2:3], s[0:1], s14, v2, 0
	v_mov_b32_e32 v146, 0
	v_add3_u32 v3, v3, v133, v132
	v_lshlrev_b64 v[2:3], 1, v[2:3]
	v_mov_b32_e32 v132, s17
	v_add_co_u32_e32 v236, vcc, s16, v2
	v_addc_co_u32_e32 v237, vcc, v132, v3, vcc
	v_add_co_u32_e32 v238, vcc, s18, v2
	v_mov_b32_e32 v2, s19
	v_addc_co_u32_e32 v239, vcc, v2, v3, vcc
	v_add_co_u32_e32 v2, vcc, 6, v0
	v_addc_co_u32_e32 v3, vcc, 0, v166, vcc
	v_mul_lo_u32 v132, s15, v2
	v_mul_lo_u32 v133, s14, v3
	v_mad_u64_u32 v[2:3], s[0:1], s14, v2, 0
	v_add3_u32 v3, v3, v133, v132
	v_lshlrev_b64 v[2:3], 1, v[2:3]
	v_mov_b32_e32 v132, s17
	v_add_co_u32_e32 v240, vcc, s16, v2
	v_addc_co_u32_e32 v241, vcc, v132, v3, vcc
	v_add_co_u32_e32 v242, vcc, s18, v2
	v_mov_b32_e32 v2, s19
	v_addc_co_u32_e32 v243, vcc, v2, v3, vcc
	v_add_co_u32_e32 v2, vcc, 5, v0
	v_addc_co_u32_e32 v3, vcc, 0, v166, vcc
	v_mul_lo_u32 v132, s15, v2
	v_mul_lo_u32 v133, s14, v3
	v_mad_u64_u32 v[2:3], s[0:1], s14, v2, 0
	;; [unrolled: 13-line block ×5, first 2 shown]
	v_add3_u32 v1, v1, v3, v2
	v_lshlrev_b64 v[0:1], 1, v[0:1]
	v_mov_b32_e32 v2, s17
	v_add_co_u32_e32 v3, vcc, s16, v0
	v_addc_co_u32_e32 v140, vcc, v2, v1, vcc
	v_add_co_u32_e32 v0, vcc, s18, v0
	v_mov_b32_e32 v2, s19
	v_addc_co_u32_e32 v1, vcc, v2, v1, vcc
	v_add_co_u32_e32 v130, vcc, s14, v130
	v_mov_b32_e32 v2, s15
	v_addc_co_u32_e32 v131, vcc, v131, v2, vcc
	v_lshlrev_b64 v[130:131], 1, v[130:131]
	v_mov_b32_e32 v2, s17
	v_add_co_u32_e32 v141, vcc, s16, v130
	v_addc_co_u32_e32 v142, vcc, v2, v131, vcc
	v_add_co_u32_e32 v143, vcc, s18, v130
	v_mov_b32_e32 v2, s19
	v_addc_co_u32_e32 v144, vcc, v2, v131, vcc
	v_mbcnt_lo_u32_b32 v2, -1, 0
	v_mbcnt_hi_u32_b32 v2, -1, v2
	v_lshlrev_b32_e32 v2, 2, v2
	v_and_b32_e32 v145, 0x100, v2
	s_mov_b64 s[16:17], s[24:25]
.LBB107_149:                            ; =>This Inner Loop Header: Depth=1
	s_add_u32 s0, s24, s26
	v_mov_b32_e32 v131, s13
	s_addc_u32 s1, 0, s27
	v_mov_b32_e32 v130, s12
	v_cmp_ge_i64_e32 vcc, s[0:1], v[130:131]
	v_add_co_u32_e64 v131, s[0:1], s24, v135
	v_addc_co_u32_e64 v132, s[0:1], 0, v136, s[0:1]
	s_mov_b64 s[0:1], -1
                                        ; implicit-def: $vgpr133
                                        ; implicit-def: $vgpr130
	s_cbranch_vccz .LBB107_219
; %bb.150:                              ;   in Loop: Header=BB107_149 Depth=1
	s_load_dword s0, s[2:3], 0xc
	buffer_load_dword v133, off, s[40:43], 0 offset:292 ; 4-byte Folded Reload
	buffer_load_dword v134, off, s[40:43], 0 offset:296 ; 4-byte Folded Reload
	;; [unrolled: 1-line block ×3, first 2 shown]
	v_mov_b32_e32 v130, 0
	v_mov_b32_e32 v148, 0
	v_mov_b32_e32 v147, 0
	s_waitcnt lgkmcnt(0)
	s_and_b32 s0, s0, 0xffff
	s_waitcnt vmcnt(0)
	v_mad_u32_u24 v2, v133, s0, v2
	v_and_b32_e32 v2, 63, v2
	v_cmp_gt_u32_e32 vcc, 32, v2
	s_and_saveexec_b64 s[0:1], vcc
	s_cbranch_execz .LBB107_154
; %bb.151:                              ;   in Loop: Header=BB107_149 Depth=1
	v_add_co_u32_e32 v133, vcc, v131, v2
	v_addc_co_u32_e32 v134, vcc, 0, v132, vcc
	v_cmp_gt_i64_e32 vcc, s[12:13], v[133:134]
	v_mov_b32_e32 v147, 0
	v_mov_b32_e32 v148, 0
	s_and_saveexec_b64 s[18:19], vcc
	s_cbranch_execz .LBB107_153
; %bb.152:                              ;   in Loop: Header=BB107_149 Depth=1
	v_lshlrev_b64 v[133:134], 2, v[133:134]
	v_mov_b32_e32 v2, s23
	v_add_co_u32_e32 v137, vcc, s22, v133
	v_addc_co_u32_e32 v138, vcc, v2, v134, vcc
	v_mov_b32_e32 v2, s21
	v_add_co_u32_e32 v133, vcc, s20, v133
	v_addc_co_u32_e32 v134, vcc, v2, v134, vcc
	global_load_dword v147, v[133:134], off
	global_load_dword v148, v[137:138], off
.LBB107_153:                            ;   in Loop: Header=BB107_149 Depth=1
	s_or_b64 exec, exec, s[18:19]
.LBB107_154:                            ;   in Loop: Header=BB107_149 Depth=1
	s_or_b64 exec, exec, s[0:1]
	v_cmp_gt_i64_e32 vcc, s[12:13], v[131:132]
	v_mov_b32_e32 v154, 0
	s_and_saveexec_b64 s[0:1], vcc
	s_cbranch_execz .LBB107_156
; %bb.155:                              ;   in Loop: Header=BB107_149 Depth=1
	buffer_load_dword v2, off, s[40:43], 0  ; 4-byte Folded Reload
	s_waitcnt vmcnt(0)
	v_add_co_u32_e32 v133, vcc, v2, v4
	buffer_load_dword v2, off, s[40:43], 0 offset:4 ; 4-byte Folded Reload
	s_waitcnt vmcnt(0)
	v_addc_co_u32_e32 v134, vcc, v2, v5, vcc
	buffer_load_dword v2, off, s[40:43], 0 offset:8 ; 4-byte Folded Reload
	s_waitcnt vmcnt(0)
	v_add_co_u32_e32 v137, vcc, v2, v4
	buffer_load_dword v2, off, s[40:43], 0 offset:12 ; 4-byte Folded Reload
	s_waitcnt vmcnt(0)
	v_addc_co_u32_e32 v138, vcc, v2, v5, vcc
	global_load_ushort v2, v[137:138], off
	s_nop 0
	global_load_ushort v133, v[133:134], off
	s_waitcnt vmcnt(1)
	v_lshlrev_b32_e32 v130, 16, v2
	s_waitcnt vmcnt(0)
	v_lshlrev_b32_e32 v154, 16, v133
.LBB107_156:                            ;   in Loop: Header=BB107_149 Depth=1
	s_or_b64 exec, exec, s[0:1]
	v_add_co_u32_e32 v133, vcc, 1, v131
	v_addc_co_u32_e32 v134, vcc, 0, v132, vcc
	v_cmp_gt_i64_e32 vcc, s[12:13], v[133:134]
	v_mov_b32_e32 v133, 0
	v_mov_b32_e32 v160, 0
	;; [unrolled: 1-line block ×3, first 2 shown]
	s_and_saveexec_b64 s[0:1], vcc
	s_cbranch_execz .LBB107_158
; %bb.157:                              ;   in Loop: Header=BB107_149 Depth=1
	v_add_co_u32_e32 v137, vcc, v141, v4
	v_addc_co_u32_e32 v138, vcc, v142, v5, vcc
	v_add_co_u32_e32 v149, vcc, v143, v4
	v_addc_co_u32_e32 v150, vcc, v144, v5, vcc
	global_load_ushort v2, v[149:150], off
	global_load_ushort v134, v[137:138], off
	s_waitcnt vmcnt(1)
	v_lshlrev_b32_e32 v160, 16, v2
	s_waitcnt vmcnt(0)
	v_lshlrev_b32_e32 v159, 16, v134
.LBB107_158:                            ;   in Loop: Header=BB107_149 Depth=1
	s_or_b64 exec, exec, s[0:1]
	v_add_co_u32_e32 v137, vcc, 2, v131
	v_addc_co_u32_e32 v138, vcc, 0, v132, vcc
	v_cmp_gt_i64_e32 vcc, s[12:13], v[137:138]
	v_mov_b32_e32 v161, 0
	s_and_saveexec_b64 s[0:1], vcc
	s_cbranch_execz .LBB107_160
; %bb.159:                              ;   in Loop: Header=BB107_149 Depth=1
	v_add_co_u32_e32 v133, vcc, v3, v4
	v_addc_co_u32_e32 v134, vcc, v140, v5, vcc
	v_add_co_u32_e32 v137, vcc, v0, v4
	v_addc_co_u32_e32 v138, vcc, v1, v5, vcc
	global_load_ushort v2, v[137:138], off
	s_nop 0
	global_load_ushort v134, v[133:134], off
	s_waitcnt vmcnt(1)
	v_lshlrev_b32_e32 v133, 16, v2
	s_waitcnt vmcnt(0)
	v_lshlrev_b32_e32 v161, 16, v134
.LBB107_160:                            ;   in Loop: Header=BB107_149 Depth=1
	s_or_b64 exec, exec, s[0:1]
	v_add_co_u32_e32 v137, vcc, 3, v131
	v_addc_co_u32_e32 v138, vcc, 0, v132, vcc
	v_cmp_gt_i64_e32 vcc, s[12:13], v[137:138]
	v_mov_b32_e32 v134, 0
	v_mov_b32_e32 v164, 0
	v_mov_b32_e32 v163, 0
	s_and_saveexec_b64 s[0:1], vcc
	s_cbranch_execz .LBB107_162
; %bb.161:                              ;   in Loop: Header=BB107_149 Depth=1
	v_add_co_u32_e32 v137, vcc, v252, v4
	v_addc_co_u32_e32 v138, vcc, v253, v5, vcc
	v_add_co_u32_e32 v149, vcc, v254, v4
	v_addc_co_u32_e32 v150, vcc, v255, v5, vcc
	global_load_ushort v2, v[149:150], off
	s_nop 0
	global_load_ushort v137, v[137:138], off
	s_waitcnt vmcnt(1)
	v_lshlrev_b32_e32 v164, 16, v2
	s_waitcnt vmcnt(0)
	v_lshlrev_b32_e32 v163, 16, v137
.LBB107_162:                            ;   in Loop: Header=BB107_149 Depth=1
	s_or_b64 exec, exec, s[0:1]
	v_add_co_u32_e32 v137, vcc, 4, v131
	v_addc_co_u32_e32 v138, vcc, 0, v132, vcc
	v_cmp_gt_i64_e32 vcc, s[12:13], v[137:138]
	v_mov_b32_e32 v165, 0
	s_and_saveexec_b64 s[0:1], vcc
	s_cbranch_execz .LBB107_164
; %bb.163:                              ;   in Loop: Header=BB107_149 Depth=1
	v_add_co_u32_e32 v137, vcc, v248, v4
	v_addc_co_u32_e32 v138, vcc, v249, v5, vcc
	v_add_co_u32_e32 v149, vcc, v250, v4
	v_addc_co_u32_e32 v150, vcc, v251, v5, vcc
	global_load_ushort v2, v[149:150], off
	s_nop 0
	global_load_ushort v137, v[137:138], off
	s_waitcnt vmcnt(1)
	v_lshlrev_b32_e32 v134, 16, v2
	s_waitcnt vmcnt(0)
	v_lshlrev_b32_e32 v165, 16, v137
.LBB107_164:                            ;   in Loop: Header=BB107_149 Depth=1
	s_or_b64 exec, exec, s[0:1]
	v_add_co_u32_e32 v137, vcc, 5, v131
	v_addc_co_u32_e32 v138, vcc, 0, v132, vcc
	v_cmp_gt_i64_e32 vcc, s[12:13], v[137:138]
	v_mov_b32_e32 v149, 0
	v_mov_b32_e32 v2, 0
	v_mov_b32_e32 v167, 0
	s_and_saveexec_b64 s[0:1], vcc
	s_cbranch_execz .LBB107_166
; %bb.165:                              ;   in Loop: Header=BB107_149 Depth=1
	v_add_co_u32_e32 v137, vcc, v244, v4
	v_addc_co_u32_e32 v138, vcc, v245, v5, vcc
	v_add_co_u32_e32 v150, vcc, v246, v4
	v_addc_co_u32_e32 v151, vcc, v247, v5, vcc
	global_load_ushort v2, v[150:151], off
	s_nop 0
	global_load_ushort v137, v[137:138], off
	s_waitcnt vmcnt(1)
	v_lshlrev_b32_e32 v2, 16, v2
	s_waitcnt vmcnt(0)
	v_lshlrev_b32_e32 v167, 16, v137
.LBB107_166:                            ;   in Loop: Header=BB107_149 Depth=1
	;; [unrolled: 42-line block ×6, first 2 shown]
	s_or_b64 exec, exec, s[0:1]
	v_add_co_u32_e32 v137, vcc, 14, v131
	v_addc_co_u32_e32 v138, vcc, 0, v132, vcc
	v_cmp_gt_i64_e32 vcc, s[12:13], v[137:138]
	v_mov_b32_e32 v179, 0
	s_and_saveexec_b64 s[0:1], vcc
	s_cbranch_execz .LBB107_184
; %bb.183:                              ;   in Loop: Header=BB107_149 Depth=1
	buffer_load_dword v137, off, s[40:43], 0 offset:288 ; 4-byte Folded Reload
	s_waitcnt vmcnt(0)
	v_add_co_u32_e32 v137, vcc, v137, v4
	v_addc_co_u32_e32 v138, vcc, v209, v5, vcc
	v_add_co_u32_e32 v155, vcc, v210, v4
	v_addc_co_u32_e32 v156, vcc, v211, v5, vcc
	global_load_ushort v153, v[155:156], off
	s_nop 0
	global_load_ushort v137, v[137:138], off
	s_waitcnt vmcnt(1)
	v_lshlrev_b32_e32 v153, 16, v153
	s_waitcnt vmcnt(0)
	v_lshlrev_b32_e32 v179, 16, v137
.LBB107_184:                            ;   in Loop: Header=BB107_149 Depth=1
	s_or_b64 exec, exec, s[0:1]
	v_add_co_u32_e32 v137, vcc, 15, v131
	v_addc_co_u32_e32 v138, vcc, 0, v132, vcc
	v_cmp_gt_i64_e32 vcc, s[12:13], v[137:138]
	v_mov_b32_e32 v155, 0
	v_mov_b32_e32 v181, 0
	;; [unrolled: 1-line block ×3, first 2 shown]
	s_and_saveexec_b64 s[0:1], vcc
	s_cbranch_execz .LBB107_186
; %bb.185:                              ;   in Loop: Header=BB107_149 Depth=1
	buffer_load_dword v137, off, s[40:43], 0 offset:272 ; 4-byte Folded Reload
	buffer_load_dword v138, off, s[40:43], 0 offset:276 ; 4-byte Folded Reload
	buffer_load_dword v156, off, s[40:43], 0 offset:280 ; 4-byte Folded Reload
	buffer_load_dword v157, off, s[40:43], 0 offset:284 ; 4-byte Folded Reload
	s_waitcnt vmcnt(3)
	v_add_co_u32_e32 v137, vcc, v137, v4
	s_waitcnt vmcnt(2)
	v_addc_co_u32_e32 v138, vcc, v138, v5, vcc
	s_waitcnt vmcnt(1)
	v_add_co_u32_e32 v156, vcc, v156, v4
	s_waitcnt vmcnt(0)
	v_addc_co_u32_e32 v157, vcc, v157, v5, vcc
	global_load_ushort v156, v[156:157], off
	s_nop 0
	global_load_ushort v137, v[137:138], off
	s_waitcnt vmcnt(1)
	v_lshlrev_b32_e32 v181, 16, v156
	s_waitcnt vmcnt(0)
	v_lshlrev_b32_e32 v180, 16, v137
.LBB107_186:                            ;   in Loop: Header=BB107_149 Depth=1
	s_or_b64 exec, exec, s[0:1]
	v_add_co_u32_e32 v137, vcc, 16, v131
	v_addc_co_u32_e32 v138, vcc, 0, v132, vcc
	v_cmp_gt_i64_e32 vcc, s[12:13], v[137:138]
	v_mov_b32_e32 v182, 0
	s_and_saveexec_b64 s[0:1], vcc
	s_cbranch_execz .LBB107_188
; %bb.187:                              ;   in Loop: Header=BB107_149 Depth=1
	buffer_load_dword v137, off, s[40:43], 0 offset:256 ; 4-byte Folded Reload
	buffer_load_dword v138, off, s[40:43], 0 offset:260 ; 4-byte Folded Reload
	;; [unrolled: 1-line block ×4, first 2 shown]
	s_waitcnt vmcnt(3)
	v_add_co_u32_e32 v137, vcc, v137, v4
	s_waitcnt vmcnt(2)
	v_addc_co_u32_e32 v138, vcc, v138, v5, vcc
	s_waitcnt vmcnt(1)
	v_add_co_u32_e32 v155, vcc, v155, v4
	s_waitcnt vmcnt(0)
	v_addc_co_u32_e32 v156, vcc, v156, v5, vcc
	global_load_ushort v155, v[155:156], off
	s_nop 0
	global_load_ushort v137, v[137:138], off
	s_waitcnt vmcnt(1)
	v_lshlrev_b32_e32 v155, 16, v155
	s_waitcnt vmcnt(0)
	v_lshlrev_b32_e32 v182, 16, v137
.LBB107_188:                            ;   in Loop: Header=BB107_149 Depth=1
	s_or_b64 exec, exec, s[0:1]
	v_add_co_u32_e32 v137, vcc, 17, v131
	v_addc_co_u32_e32 v138, vcc, 0, v132, vcc
	v_cmp_gt_i64_e32 vcc, s[12:13], v[137:138]
	v_mov_b32_e32 v156, 0
	v_mov_b32_e32 v184, 0
	v_mov_b32_e32 v183, 0
	s_and_saveexec_b64 s[0:1], vcc
	s_cbranch_execz .LBB107_190
; %bb.189:                              ;   in Loop: Header=BB107_149 Depth=1
	buffer_load_dword v137, off, s[40:43], 0 offset:240 ; 4-byte Folded Reload
	buffer_load_dword v138, off, s[40:43], 0 offset:244 ; 4-byte Folded Reload
	;; [unrolled: 1-line block ×4, first 2 shown]
	s_waitcnt vmcnt(3)
	v_add_co_u32_e32 v137, vcc, v137, v4
	s_waitcnt vmcnt(2)
	v_addc_co_u32_e32 v138, vcc, v138, v5, vcc
	s_waitcnt vmcnt(1)
	v_add_co_u32_e32 v157, vcc, v157, v4
	s_waitcnt vmcnt(0)
	v_addc_co_u32_e32 v158, vcc, v158, v5, vcc
	global_load_ushort v157, v[157:158], off
	s_nop 0
	global_load_ushort v137, v[137:138], off
	s_waitcnt vmcnt(1)
	v_lshlrev_b32_e32 v184, 16, v157
	s_waitcnt vmcnt(0)
	v_lshlrev_b32_e32 v183, 16, v137
.LBB107_190:                            ;   in Loop: Header=BB107_149 Depth=1
	s_or_b64 exec, exec, s[0:1]
	v_add_co_u32_e32 v137, vcc, 18, v131
	v_addc_co_u32_e32 v138, vcc, 0, v132, vcc
	v_cmp_gt_i64_e32 vcc, s[12:13], v[137:138]
	v_mov_b32_e32 v185, 0
	s_and_saveexec_b64 s[0:1], vcc
	s_cbranch_execz .LBB107_192
; %bb.191:                              ;   in Loop: Header=BB107_149 Depth=1
	buffer_load_dword v137, off, s[40:43], 0 offset:224 ; 4-byte Folded Reload
	buffer_load_dword v138, off, s[40:43], 0 offset:228 ; 4-byte Folded Reload
	;; [unrolled: 1-line block ×4, first 2 shown]
	s_waitcnt vmcnt(3)
	v_add_co_u32_e32 v137, vcc, v137, v4
	s_waitcnt vmcnt(2)
	v_addc_co_u32_e32 v138, vcc, v138, v5, vcc
	s_waitcnt vmcnt(1)
	v_add_co_u32_e32 v156, vcc, v156, v4
	s_waitcnt vmcnt(0)
	v_addc_co_u32_e32 v157, vcc, v157, v5, vcc
	global_load_ushort v156, v[156:157], off
	s_nop 0
	global_load_ushort v137, v[137:138], off
	s_waitcnt vmcnt(1)
	v_lshlrev_b32_e32 v156, 16, v156
	s_waitcnt vmcnt(0)
	v_lshlrev_b32_e32 v185, 16, v137
.LBB107_192:                            ;   in Loop: Header=BB107_149 Depth=1
	s_or_b64 exec, exec, s[0:1]
	v_add_co_u32_e32 v137, vcc, 19, v131
	v_addc_co_u32_e32 v138, vcc, 0, v132, vcc
	v_cmp_gt_i64_e32 vcc, s[12:13], v[137:138]
	v_mov_b32_e32 v157, 0
	v_mov_b32_e32 v187, 0
	;; [unrolled: 1-line block ×3, first 2 shown]
	s_and_saveexec_b64 s[0:1], vcc
	s_cbranch_execz .LBB107_194
; %bb.193:                              ;   in Loop: Header=BB107_149 Depth=1
	buffer_load_dword v137, off, s[40:43], 0 offset:208 ; 4-byte Folded Reload
	buffer_load_dword v138, off, s[40:43], 0 offset:212 ; 4-byte Folded Reload
	;; [unrolled: 1-line block ×3, first 2 shown]
	s_waitcnt vmcnt(2)
	v_add_co_u32_e32 v137, vcc, v137, v4
	s_waitcnt vmcnt(1)
	v_addc_co_u32_e32 v138, vcc, v138, v5, vcc
	s_waitcnt vmcnt(0)
	v_add_co_u32_e32 v186, vcc, v158, v4
	buffer_load_dword v158, off, s[40:43], 0 offset:220 ; 4-byte Folded Reload
	s_waitcnt vmcnt(0)
	v_addc_co_u32_e32 v187, vcc, v158, v5, vcc
	global_load_ushort v158, v[186:187], off
	s_nop 0
	global_load_ushort v137, v[137:138], off
	s_waitcnt vmcnt(1)
	v_lshlrev_b32_e32 v187, 16, v158
	s_waitcnt vmcnt(0)
	v_lshlrev_b32_e32 v186, 16, v137
.LBB107_194:                            ;   in Loop: Header=BB107_149 Depth=1
	s_or_b64 exec, exec, s[0:1]
	v_add_co_u32_e32 v137, vcc, 20, v131
	v_addc_co_u32_e32 v138, vcc, 0, v132, vcc
	v_cmp_gt_i64_e32 vcc, s[12:13], v[137:138]
	v_mov_b32_e32 v188, 0
	s_and_saveexec_b64 s[0:1], vcc
	s_cbranch_execz .LBB107_196
; %bb.195:                              ;   in Loop: Header=BB107_149 Depth=1
	buffer_load_dword v137, off, s[40:43], 0 offset:192 ; 4-byte Folded Reload
	buffer_load_dword v138, off, s[40:43], 0 offset:196 ; 4-byte Folded Reload
	buffer_load_dword v157, off, s[40:43], 0 offset:200 ; 4-byte Folded Reload
	buffer_load_dword v158, off, s[40:43], 0 offset:204 ; 4-byte Folded Reload
	s_waitcnt vmcnt(3)
	v_add_co_u32_e32 v137, vcc, v137, v4
	s_waitcnt vmcnt(2)
	v_addc_co_u32_e32 v138, vcc, v138, v5, vcc
	s_waitcnt vmcnt(1)
	v_add_co_u32_e32 v157, vcc, v157, v4
	s_waitcnt vmcnt(0)
	v_addc_co_u32_e32 v158, vcc, v158, v5, vcc
	global_load_ushort v157, v[157:158], off
	s_nop 0
	global_load_ushort v137, v[137:138], off
	s_waitcnt vmcnt(1)
	v_lshlrev_b32_e32 v157, 16, v157
	s_waitcnt vmcnt(0)
	v_lshlrev_b32_e32 v188, 16, v137
.LBB107_196:                            ;   in Loop: Header=BB107_149 Depth=1
	s_or_b64 exec, exec, s[0:1]
	v_add_co_u32_e32 v137, vcc, 21, v131
	v_addc_co_u32_e32 v138, vcc, 0, v132, vcc
	v_cmp_gt_i64_e32 vcc, s[12:13], v[137:138]
	v_mov_b32_e32 v158, 0
	v_mov_b32_e32 v190, 0
	v_mov_b32_e32 v189, 0
	s_and_saveexec_b64 s[0:1], vcc
	s_cbranch_execz .LBB107_198
; %bb.197:                              ;   in Loop: Header=BB107_149 Depth=1
	buffer_load_dword v137, off, s[40:43], 0 offset:176 ; 4-byte Folded Reload
	buffer_load_dword v138, off, s[40:43], 0 offset:180 ; 4-byte Folded Reload
	;; [unrolled: 1-line block ×3, first 2 shown]
	s_waitcnt vmcnt(2)
	v_add_co_u32_e32 v137, vcc, v137, v4
	s_waitcnt vmcnt(1)
	v_addc_co_u32_e32 v138, vcc, v138, v5, vcc
	s_waitcnt vmcnt(0)
	v_add_co_u32_e32 v189, vcc, v162, v4
	buffer_load_dword v162, off, s[40:43], 0 offset:188 ; 4-byte Folded Reload
	s_waitcnt vmcnt(0)
	v_addc_co_u32_e32 v190, vcc, v162, v5, vcc
	global_load_ushort v162, v[189:190], off
	s_nop 0
	global_load_ushort v137, v[137:138], off
	s_waitcnt vmcnt(1)
	v_lshlrev_b32_e32 v190, 16, v162
	s_waitcnt vmcnt(0)
	v_lshlrev_b32_e32 v189, 16, v137
.LBB107_198:                            ;   in Loop: Header=BB107_149 Depth=1
	s_or_b64 exec, exec, s[0:1]
	v_add_co_u32_e32 v137, vcc, 22, v131
	v_addc_co_u32_e32 v138, vcc, 0, v132, vcc
	v_cmp_gt_i64_e32 vcc, s[12:13], v[137:138]
	v_mov_b32_e32 v191, 0
	s_and_saveexec_b64 s[0:1], vcc
	s_cbranch_execz .LBB107_200
; %bb.199:                              ;   in Loop: Header=BB107_149 Depth=1
	buffer_load_dword v137, off, s[40:43], 0 offset:160 ; 4-byte Folded Reload
	buffer_load_dword v138, off, s[40:43], 0 offset:164 ; 4-byte Folded Reload
	;; [unrolled: 1-line block ×3, first 2 shown]
	s_waitcnt vmcnt(2)
	v_add_co_u32_e32 v137, vcc, v137, v4
	s_waitcnt vmcnt(1)
	v_addc_co_u32_e32 v138, vcc, v138, v5, vcc
	s_waitcnt vmcnt(0)
	v_add_co_u32_e32 v191, vcc, v158, v4
	buffer_load_dword v158, off, s[40:43], 0 offset:172 ; 4-byte Folded Reload
	s_waitcnt vmcnt(0)
	v_addc_co_u32_e32 v192, vcc, v158, v5, vcc
	global_load_ushort v158, v[191:192], off
	s_nop 0
	global_load_ushort v137, v[137:138], off
	s_waitcnt vmcnt(1)
	v_lshlrev_b32_e32 v158, 16, v158
	s_waitcnt vmcnt(0)
	v_lshlrev_b32_e32 v191, 16, v137
.LBB107_200:                            ;   in Loop: Header=BB107_149 Depth=1
	s_or_b64 exec, exec, s[0:1]
	v_add_co_u32_e32 v137, vcc, 23, v131
	v_addc_co_u32_e32 v138, vcc, 0, v132, vcc
	v_cmp_gt_i64_e32 vcc, s[12:13], v[137:138]
	v_mov_b32_e32 v162, 0
	v_mov_b32_e32 v193, 0
	;; [unrolled: 1-line block ×3, first 2 shown]
	s_and_saveexec_b64 s[0:1], vcc
	s_cbranch_execz .LBB107_202
; %bb.201:                              ;   in Loop: Header=BB107_149 Depth=1
	buffer_load_dword v137, off, s[40:43], 0 offset:144 ; 4-byte Folded Reload
	buffer_load_dword v138, off, s[40:43], 0 offset:148 ; 4-byte Folded Reload
	;; [unrolled: 1-line block ×3, first 2 shown]
	s_waitcnt vmcnt(2)
	v_add_co_u32_e32 v137, vcc, v137, v4
	s_waitcnt vmcnt(1)
	v_addc_co_u32_e32 v138, vcc, v138, v5, vcc
	s_waitcnt vmcnt(0)
	v_add_co_u32_e32 v192, vcc, v166, v4
	buffer_load_dword v166, off, s[40:43], 0 offset:156 ; 4-byte Folded Reload
	s_waitcnt vmcnt(0)
	v_addc_co_u32_e32 v193, vcc, v166, v5, vcc
	global_load_ushort v166, v[192:193], off
	s_nop 0
	global_load_ushort v137, v[137:138], off
	s_waitcnt vmcnt(1)
	v_lshlrev_b32_e32 v193, 16, v166
	s_waitcnt vmcnt(0)
	v_lshlrev_b32_e32 v192, 16, v137
.LBB107_202:                            ;   in Loop: Header=BB107_149 Depth=1
	s_or_b64 exec, exec, s[0:1]
	v_add_co_u32_e32 v137, vcc, 24, v131
	v_addc_co_u32_e32 v138, vcc, 0, v132, vcc
	v_cmp_gt_i64_e32 vcc, s[12:13], v[137:138]
	v_mov_b32_e32 v194, 0
	s_and_saveexec_b64 s[0:1], vcc
	s_cbranch_execz .LBB107_204
; %bb.203:                              ;   in Loop: Header=BB107_149 Depth=1
	buffer_load_dword v137, off, s[40:43], 0 offset:128 ; 4-byte Folded Reload
	buffer_load_dword v138, off, s[40:43], 0 offset:132 ; 4-byte Folded Reload
	;; [unrolled: 1-line block ×3, first 2 shown]
	s_waitcnt vmcnt(2)
	v_add_co_u32_e32 v137, vcc, v137, v4
	s_waitcnt vmcnt(1)
	v_addc_co_u32_e32 v138, vcc, v138, v5, vcc
	s_waitcnt vmcnt(0)
	v_add_co_u32_e32 v194, vcc, v162, v4
	buffer_load_dword v162, off, s[40:43], 0 offset:140 ; 4-byte Folded Reload
	s_waitcnt vmcnt(0)
	v_addc_co_u32_e32 v195, vcc, v162, v5, vcc
	global_load_ushort v162, v[194:195], off
	s_nop 0
	global_load_ushort v137, v[137:138], off
	s_waitcnt vmcnt(1)
	v_lshlrev_b32_e32 v162, 16, v162
	s_waitcnt vmcnt(0)
	v_lshlrev_b32_e32 v194, 16, v137
.LBB107_204:                            ;   in Loop: Header=BB107_149 Depth=1
	s_or_b64 exec, exec, s[0:1]
	v_add_co_u32_e32 v137, vcc, 25, v131
	v_addc_co_u32_e32 v138, vcc, 0, v132, vcc
	v_cmp_gt_i64_e32 vcc, s[12:13], v[137:138]
	v_mov_b32_e32 v166, 0
	v_mov_b32_e32 v196, 0
	v_mov_b32_e32 v195, 0
	s_and_saveexec_b64 s[0:1], vcc
	s_cbranch_execz .LBB107_206
; %bb.205:                              ;   in Loop: Header=BB107_149 Depth=1
	buffer_load_dword v137, off, s[40:43], 0 offset:112 ; 4-byte Folded Reload
	buffer_load_dword v138, off, s[40:43], 0 offset:116 ; 4-byte Folded Reload
	;; [unrolled: 1-line block ×4, first 2 shown]
	s_waitcnt vmcnt(3)
	v_add_co_u32_e32 v137, vcc, v137, v4
	s_waitcnt vmcnt(2)
	v_addc_co_u32_e32 v138, vcc, v138, v5, vcc
	s_waitcnt vmcnt(1)
	v_add_co_u32_e32 v195, vcc, v195, v4
	s_waitcnt vmcnt(0)
	v_addc_co_u32_e32 v196, vcc, v196, v5, vcc
	global_load_ushort v195, v[195:196], off
	s_nop 0
	global_load_ushort v137, v[137:138], off
	s_waitcnt vmcnt(1)
	v_lshlrev_b32_e32 v196, 16, v195
	s_waitcnt vmcnt(0)
	v_lshlrev_b32_e32 v195, 16, v137
.LBB107_206:                            ;   in Loop: Header=BB107_149 Depth=1
	s_or_b64 exec, exec, s[0:1]
	v_add_co_u32_e32 v137, vcc, 26, v131
	v_addc_co_u32_e32 v138, vcc, 0, v132, vcc
	v_cmp_gt_i64_e32 vcc, s[12:13], v[137:138]
	v_mov_b32_e32 v197, 0
	s_and_saveexec_b64 s[0:1], vcc
	s_cbranch_execz .LBB107_208
; %bb.207:                              ;   in Loop: Header=BB107_149 Depth=1
	buffer_load_dword v137, off, s[40:43], 0 offset:96 ; 4-byte Folded Reload
	buffer_load_dword v138, off, s[40:43], 0 offset:100 ; 4-byte Folded Reload
	;; [unrolled: 1-line block ×3, first 2 shown]
	s_waitcnt vmcnt(2)
	v_add_co_u32_e32 v137, vcc, v137, v4
	s_waitcnt vmcnt(1)
	v_addc_co_u32_e32 v138, vcc, v138, v5, vcc
	s_waitcnt vmcnt(0)
	v_add_co_u32_e32 v197, vcc, v166, v4
	buffer_load_dword v166, off, s[40:43], 0 offset:108 ; 4-byte Folded Reload
	s_waitcnt vmcnt(0)
	v_addc_co_u32_e32 v198, vcc, v166, v5, vcc
	global_load_ushort v166, v[197:198], off
	s_nop 0
	global_load_ushort v137, v[137:138], off
	s_waitcnt vmcnt(1)
	v_lshlrev_b32_e32 v166, 16, v166
	s_waitcnt vmcnt(0)
	v_lshlrev_b32_e32 v197, 16, v137
.LBB107_208:                            ;   in Loop: Header=BB107_149 Depth=1
	s_or_b64 exec, exec, s[0:1]
	v_add_co_u32_e32 v137, vcc, 27, v131
	v_addc_co_u32_e32 v138, vcc, 0, v132, vcc
	v_cmp_gt_i64_e32 vcc, s[12:13], v[137:138]
	v_mov_b32_e32 v137, 0
	v_mov_b32_e32 v199, 0
	;; [unrolled: 1-line block ×3, first 2 shown]
	s_and_saveexec_b64 s[0:1], vcc
	s_cbranch_execz .LBB107_210
; %bb.209:                              ;   in Loop: Header=BB107_149 Depth=1
	buffer_load_dword v138, off, s[40:43], 0 offset:80 ; 4-byte Folded Reload
	s_waitcnt vmcnt(0)
	v_add_co_u32_e32 v198, vcc, v138, v4
	buffer_load_dword v138, off, s[40:43], 0 offset:84 ; 4-byte Folded Reload
	s_waitcnt vmcnt(0)
	v_addc_co_u32_e32 v199, vcc, v138, v5, vcc
	buffer_load_dword v138, off, s[40:43], 0 offset:88 ; 4-byte Folded Reload
	s_waitcnt vmcnt(0)
	v_add_co_u32_e32 v200, vcc, v138, v4
	buffer_load_dword v138, off, s[40:43], 0 offset:92 ; 4-byte Folded Reload
	s_waitcnt vmcnt(0)
	v_addc_co_u32_e32 v201, vcc, v138, v5, vcc
	global_load_ushort v138, v[200:201], off
	s_nop 0
	global_load_ushort v198, v[198:199], off
	s_waitcnt vmcnt(1)
	v_lshlrev_b32_e32 v199, 16, v138
	s_waitcnt vmcnt(0)
	v_lshlrev_b32_e32 v198, 16, v198
.LBB107_210:                            ;   in Loop: Header=BB107_149 Depth=1
	s_or_b64 exec, exec, s[0:1]
	v_add_co_u32_e32 v200, vcc, 28, v131
	v_addc_co_u32_e32 v201, vcc, 0, v132, vcc
	v_cmp_gt_i64_e32 vcc, s[12:13], v[200:201]
	v_mov_b32_e32 v200, 0
	s_and_saveexec_b64 s[0:1], vcc
	s_cbranch_execz .LBB107_212
; %bb.211:                              ;   in Loop: Header=BB107_149 Depth=1
	buffer_load_dword v137, off, s[40:43], 0 offset:64 ; 4-byte Folded Reload
	buffer_load_dword v138, off, s[40:43], 0 offset:68 ; 4-byte Folded Reload
	buffer_load_dword v200, off, s[40:43], 0 offset:72 ; 4-byte Folded Reload
	buffer_load_dword v201, off, s[40:43], 0 offset:76 ; 4-byte Folded Reload
	s_waitcnt vmcnt(3)
	v_add_co_u32_e32 v137, vcc, v137, v4
	s_waitcnt vmcnt(2)
	v_addc_co_u32_e32 v138, vcc, v138, v5, vcc
	s_waitcnt vmcnt(1)
	v_add_co_u32_e32 v200, vcc, v200, v4
	s_waitcnt vmcnt(0)
	v_addc_co_u32_e32 v201, vcc, v201, v5, vcc
	global_load_ushort v200, v[200:201], off
	s_nop 0
	global_load_ushort v138, v[137:138], off
	s_waitcnt vmcnt(1)
	v_lshlrev_b32_e32 v137, 16, v200
	s_waitcnt vmcnt(0)
	v_lshlrev_b32_e32 v200, 16, v138
.LBB107_212:                            ;   in Loop: Header=BB107_149 Depth=1
	s_or_b64 exec, exec, s[0:1]
	v_add_co_u32_e32 v201, vcc, 29, v131
	v_addc_co_u32_e32 v202, vcc, 0, v132, vcc
	v_cmp_gt_i64_e32 vcc, s[12:13], v[201:202]
	v_mov_b32_e32 v138, 0
	v_mov_b32_e32 v202, 0
	;; [unrolled: 1-line block ×3, first 2 shown]
	s_and_saveexec_b64 s[0:1], vcc
	s_cbranch_execz .LBB107_214
; %bb.213:                              ;   in Loop: Header=BB107_149 Depth=1
	buffer_load_dword v201, off, s[40:43], 0 offset:48 ; 4-byte Folded Reload
	buffer_load_dword v202, off, s[40:43], 0 offset:52 ; 4-byte Folded Reload
	buffer_load_dword v203, off, s[40:43], 0 offset:56 ; 4-byte Folded Reload
	buffer_load_dword v204, off, s[40:43], 0 offset:60 ; 4-byte Folded Reload
	s_waitcnt vmcnt(3)
	v_add_co_u32_e32 v201, vcc, v201, v4
	s_waitcnt vmcnt(2)
	v_addc_co_u32_e32 v202, vcc, v202, v5, vcc
	s_waitcnt vmcnt(1)
	v_add_co_u32_e32 v203, vcc, v203, v4
	s_waitcnt vmcnt(0)
	v_addc_co_u32_e32 v204, vcc, v204, v5, vcc
	global_load_ushort v203, v[203:204], off
	s_nop 0
	global_load_ushort v201, v[201:202], off
	s_waitcnt vmcnt(1)
	v_lshlrev_b32_e32 v202, 16, v203
	s_waitcnt vmcnt(0)
	v_lshlrev_b32_e32 v201, 16, v201
.LBB107_214:                            ;   in Loop: Header=BB107_149 Depth=1
	s_or_b64 exec, exec, s[0:1]
	v_add_co_u32_e32 v203, vcc, 30, v131
	v_addc_co_u32_e32 v204, vcc, 0, v132, vcc
	v_cmp_gt_i64_e32 vcc, s[12:13], v[203:204]
	v_mov_b32_e32 v203, 0
	s_and_saveexec_b64 s[0:1], vcc
	s_cbranch_execz .LBB107_216
; %bb.215:                              ;   in Loop: Header=BB107_149 Depth=1
	buffer_load_dword v138, off, s[40:43], 0 offset:32 ; 4-byte Folded Reload
	s_waitcnt vmcnt(0)
	v_add_co_u32_e32 v203, vcc, v138, v4
	buffer_load_dword v138, off, s[40:43], 0 offset:36 ; 4-byte Folded Reload
	s_waitcnt vmcnt(0)
	v_addc_co_u32_e32 v204, vcc, v138, v5, vcc
	buffer_load_dword v138, off, s[40:43], 0 offset:40 ; 4-byte Folded Reload
	s_waitcnt vmcnt(0)
	v_add_co_u32_e32 v205, vcc, v138, v4
	buffer_load_dword v138, off, s[40:43], 0 offset:44 ; 4-byte Folded Reload
	s_waitcnt vmcnt(0)
	v_addc_co_u32_e32 v206, vcc, v138, v5, vcc
	global_load_ushort v138, v[205:206], off
	s_nop 0
	global_load_ushort v203, v[203:204], off
	s_waitcnt vmcnt(1)
	v_lshlrev_b32_e32 v138, 16, v138
	s_waitcnt vmcnt(0)
	v_lshlrev_b32_e32 v203, 16, v203
.LBB107_216:                            ;   in Loop: Header=BB107_149 Depth=1
	s_or_b64 exec, exec, s[0:1]
	v_add_co_u32_e32 v204, vcc, 31, v131
	v_addc_co_u32_e32 v205, vcc, 0, v132, vcc
	v_cmp_gt_i64_e32 vcc, s[12:13], v[204:205]
	v_mov_b32_e32 v205, 0
	v_mov_b32_e32 v204, 0
	s_and_saveexec_b64 s[0:1], vcc
	s_cbranch_execz .LBB107_218
; %bb.217:                              ;   in Loop: Header=BB107_149 Depth=1
	buffer_load_dword v204, off, s[40:43], 0 offset:16 ; 4-byte Folded Reload
	buffer_load_dword v205, off, s[40:43], 0 offset:20 ; 4-byte Folded Reload
	buffer_load_dword v206, off, s[40:43], 0 offset:24 ; 4-byte Folded Reload
	buffer_load_dword v207, off, s[40:43], 0 offset:28 ; 4-byte Folded Reload
	s_waitcnt vmcnt(3)
	v_add_co_u32_e32 v204, vcc, v204, v4
	s_waitcnt vmcnt(2)
	v_addc_co_u32_e32 v205, vcc, v205, v5, vcc
	s_waitcnt vmcnt(1)
	v_add_co_u32_e32 v206, vcc, v206, v4
	s_waitcnt vmcnt(0)
	v_addc_co_u32_e32 v207, vcc, v207, v5, vcc
	global_load_ushort v206, v[206:207], off
	s_nop 0
	global_load_ushort v204, v[204:205], off
	s_waitcnt vmcnt(1)
	v_lshlrev_b32_e32 v205, 16, v206
	s_waitcnt vmcnt(0)
	v_lshlrev_b32_e32 v204, 16, v204
.LBB107_218:                            ;   in Loop: Header=BB107_149 Depth=1
	s_or_b64 exec, exec, s[0:1]
	s_waitcnt vmcnt(1)
	ds_bpermute_b32 v207, v145, v147
	s_waitcnt vmcnt(0)
	ds_bpermute_b32 v206, v145, v148
	s_mov_b64 s[0:1], 0
	s_waitcnt lgkmcnt(1)
	v_sub_f32_e32 v130, v130, v207
	ds_bpermute_b32 v207, v145, v147 offset:4
	v_mul_f32_e32 v130, v154, v130
	s_waitcnt lgkmcnt(1)
	v_fma_f32 v130, v130, v206, v146
	ds_bpermute_b32 v206, v145, v148 offset:4
	v_add_f32_e32 v154, v208, v154
	s_waitcnt lgkmcnt(1)
	v_sub_f32_e32 v160, v160, v207
	v_mul_f32_e32 v160, v159, v160
	v_add_f32_e32 v154, v154, v159
	s_waitcnt lgkmcnt(0)
	v_fmac_f32_e32 v130, v160, v206
	ds_bpermute_b32 v160, v145, v147 offset:8
	ds_bpermute_b32 v159, v145, v148 offset:8
	s_waitcnt lgkmcnt(1)
	v_sub_f32_e32 v133, v133, v160
	v_mul_f32_e32 v133, v161, v133
	s_waitcnt lgkmcnt(0)
	v_fmac_f32_e32 v130, v133, v159
	ds_bpermute_b32 v159, v145, v147 offset:12
	v_add_f32_e32 v133, v154, v161
	ds_bpermute_b32 v154, v145, v148 offset:12
	v_add_f32_e32 v133, v133, v163
	v_add_f32_e32 v133, v133, v165
	s_waitcnt lgkmcnt(1)
	v_sub_f32_e32 v159, v164, v159
	v_mul_f32_e32 v159, v163, v159
	s_waitcnt lgkmcnt(0)
	v_fmac_f32_e32 v130, v159, v154
	ds_bpermute_b32 v159, v145, v147 offset:16
	ds_bpermute_b32 v154, v145, v148 offset:16
	s_waitcnt lgkmcnt(1)
	v_sub_f32_e32 v134, v134, v159
	v_mul_f32_e32 v134, v165, v134
	s_waitcnt lgkmcnt(0)
	v_fmac_f32_e32 v130, v134, v154
	ds_bpermute_b32 v154, v145, v147 offset:20
	ds_bpermute_b32 v134, v145, v148 offset:20
	s_waitcnt lgkmcnt(1)
	v_sub_f32_e32 v2, v2, v154
	v_mul_f32_e32 v2, v167, v2
	s_waitcnt lgkmcnt(0)
	v_fmac_f32_e32 v130, v2, v134
	ds_bpermute_b32 v134, v145, v147 offset:24
	v_add_f32_e32 v2, v133, v167
	ds_bpermute_b32 v133, v145, v148 offset:24
	v_add_f32_e32 v2, v2, v168
	v_add_f32_e32 v2, v2, v169
	s_waitcnt lgkmcnt(1)
	v_sub_f32_e32 v134, v149, v134
	v_mul_f32_e32 v134, v168, v134
	s_waitcnt lgkmcnt(0)
	v_fmac_f32_e32 v130, v134, v133
	ds_bpermute_b32 v134, v145, v147 offset:28
	ds_bpermute_b32 v133, v145, v148 offset:28
	v_add_f32_e32 v2, v2, v171
	v_add_f32_e32 v2, v2, v172
	v_add_f32_e32 v2, v2, v174
	s_waitcnt lgkmcnt(1)
	v_sub_f32_e32 v134, v170, v134
	v_mul_f32_e32 v134, v169, v134
	s_waitcnt lgkmcnt(0)
	v_fmac_f32_e32 v130, v134, v133
	ds_bpermute_b32 v134, v145, v147 offset:32
	ds_bpermute_b32 v133, v145, v148 offset:32
	v_add_f32_e32 v2, v2, v175
	;; [unrolled: 10-line block ×8, first 2 shown]
	v_add_f32_e32 v2, v2, v203
	s_waitcnt lgkmcnt(1)
	v_sub_f32_e32 v134, v153, v134
	v_mul_f32_e32 v134, v179, v134
	s_waitcnt lgkmcnt(0)
	v_fmac_f32_e32 v130, v134, v133
	ds_bpermute_b32 v134, v145, v147 offset:60
	ds_bpermute_b32 v133, v145, v148 offset:60
	s_waitcnt lgkmcnt(1)
	v_sub_f32_e32 v134, v181, v134
	v_mul_f32_e32 v134, v180, v134
	s_waitcnt lgkmcnt(0)
	v_fmac_f32_e32 v130, v134, v133
	ds_bpermute_b32 v134, v145, v147 offset:64
	ds_bpermute_b32 v133, v145, v148 offset:64
	s_waitcnt lgkmcnt(1)
	v_sub_f32_e32 v134, v155, v134
	v_mul_f32_e32 v134, v182, v134
	s_waitcnt lgkmcnt(0)
	v_fmac_f32_e32 v130, v134, v133
	ds_bpermute_b32 v134, v145, v147 offset:68
	ds_bpermute_b32 v133, v145, v148 offset:68
	s_waitcnt lgkmcnt(1)
	v_sub_f32_e32 v134, v184, v134
	v_mul_f32_e32 v134, v183, v134
	s_waitcnt lgkmcnt(0)
	v_fmac_f32_e32 v130, v134, v133
	ds_bpermute_b32 v134, v145, v147 offset:72
	ds_bpermute_b32 v133, v145, v148 offset:72
	s_waitcnt lgkmcnt(1)
	v_sub_f32_e32 v134, v156, v134
	v_mul_f32_e32 v134, v185, v134
	s_waitcnt lgkmcnt(0)
	v_fmac_f32_e32 v130, v134, v133
	ds_bpermute_b32 v134, v145, v147 offset:76
	ds_bpermute_b32 v133, v145, v148 offset:76
	s_waitcnt lgkmcnt(1)
	v_sub_f32_e32 v134, v187, v134
	v_mul_f32_e32 v134, v186, v134
	s_waitcnt lgkmcnt(0)
	v_fmac_f32_e32 v130, v134, v133
	ds_bpermute_b32 v134, v145, v147 offset:80
	ds_bpermute_b32 v133, v145, v148 offset:80
	s_waitcnt lgkmcnt(1)
	v_sub_f32_e32 v134, v157, v134
	v_mul_f32_e32 v134, v188, v134
	s_waitcnt lgkmcnt(0)
	v_fmac_f32_e32 v130, v134, v133
	ds_bpermute_b32 v134, v145, v147 offset:84
	ds_bpermute_b32 v133, v145, v148 offset:84
	s_waitcnt lgkmcnt(1)
	v_sub_f32_e32 v134, v190, v134
	v_mul_f32_e32 v134, v189, v134
	s_waitcnt lgkmcnt(0)
	v_fmac_f32_e32 v130, v134, v133
	ds_bpermute_b32 v134, v145, v147 offset:88
	ds_bpermute_b32 v133, v145, v148 offset:88
	s_waitcnt lgkmcnt(1)
	v_sub_f32_e32 v134, v158, v134
	v_mul_f32_e32 v134, v191, v134
	s_waitcnt lgkmcnt(0)
	v_fmac_f32_e32 v130, v134, v133
	ds_bpermute_b32 v134, v145, v147 offset:92
	ds_bpermute_b32 v133, v145, v148 offset:92
	s_waitcnt lgkmcnt(1)
	v_sub_f32_e32 v134, v193, v134
	v_mul_f32_e32 v134, v192, v134
	s_waitcnt lgkmcnt(0)
	v_fmac_f32_e32 v130, v134, v133
	ds_bpermute_b32 v134, v145, v147 offset:96
	ds_bpermute_b32 v133, v145, v148 offset:96
	s_waitcnt lgkmcnt(1)
	v_sub_f32_e32 v134, v162, v134
	v_mul_f32_e32 v134, v194, v134
	s_waitcnt lgkmcnt(0)
	v_fmac_f32_e32 v130, v134, v133
	ds_bpermute_b32 v134, v145, v147 offset:100
	ds_bpermute_b32 v133, v145, v148 offset:100
	s_waitcnt lgkmcnt(1)
	v_sub_f32_e32 v134, v196, v134
	v_mul_f32_e32 v134, v195, v134
	s_waitcnt lgkmcnt(0)
	v_fmac_f32_e32 v130, v134, v133
	ds_bpermute_b32 v134, v145, v147 offset:104
	ds_bpermute_b32 v133, v145, v148 offset:104
	s_waitcnt lgkmcnt(1)
	v_sub_f32_e32 v134, v166, v134
	v_mul_f32_e32 v134, v197, v134
	s_waitcnt lgkmcnt(0)
	v_fmac_f32_e32 v130, v134, v133
	ds_bpermute_b32 v134, v145, v147 offset:108
	ds_bpermute_b32 v133, v145, v148 offset:108
	s_waitcnt lgkmcnt(1)
	v_sub_f32_e32 v134, v199, v134
	v_mul_f32_e32 v134, v198, v134
	s_waitcnt lgkmcnt(0)
	v_fmac_f32_e32 v130, v134, v133
	ds_bpermute_b32 v134, v145, v147 offset:112
	ds_bpermute_b32 v133, v145, v148 offset:112
	s_waitcnt lgkmcnt(1)
	v_sub_f32_e32 v134, v137, v134
	v_mul_f32_e32 v134, v200, v134
	s_waitcnt lgkmcnt(0)
	v_fmac_f32_e32 v130, v134, v133
	ds_bpermute_b32 v134, v145, v147 offset:116
	ds_bpermute_b32 v133, v145, v148 offset:116
	s_waitcnt lgkmcnt(1)
	v_sub_f32_e32 v134, v202, v134
	v_mul_f32_e32 v134, v201, v134
	s_waitcnt lgkmcnt(0)
	v_fmac_f32_e32 v130, v134, v133
	ds_bpermute_b32 v134, v145, v147 offset:120
	ds_bpermute_b32 v133, v145, v148 offset:120
	s_waitcnt lgkmcnt(1)
	v_sub_f32_e32 v134, v138, v134
	v_mul_f32_e32 v134, v203, v134
	s_waitcnt lgkmcnt(0)
	v_fmac_f32_e32 v130, v134, v133
	ds_bpermute_b32 v134, v145, v147 offset:124
	ds_bpermute_b32 v133, v145, v148 offset:124
	s_waitcnt lgkmcnt(1)
	v_sub_f32_e32 v134, v205, v134
	v_mul_f32_e32 v134, v204, v134
	s_waitcnt lgkmcnt(0)
	v_fmac_f32_e32 v130, v134, v133
	v_add_f32_e32 v133, v2, v204
.LBB107_219:                            ;   in Loop: Header=BB107_149 Depth=1
	s_and_b64 vcc, exec, s[0:1]
	s_cbranch_vccz .LBB107_225
; %bb.220:                              ;   in Loop: Header=BB107_149 Depth=1
	s_load_dword s0, s[2:3], 0x0
	buffer_load_dword v133, off, s[40:43], 0 offset:304 ; 4-byte Folded Reload
	buffer_load_dword v134, off, s[40:43], 0 offset:308 ; 4-byte Folded Reload
	v_mov_b32_e32 v2, 0
	s_waitcnt lgkmcnt(0)
	s_cmp_lt_u32 s6, s0
	s_cselect_b32 s0, 12, 18
	s_add_u32 s0, s2, s0
	s_addc_u32 s1, s3, 0
	s_waitcnt vmcnt(0)
	global_load_ushort v130, v134, s[0:1]
	s_nop 0
	buffer_load_dword v133, off, s[40:43], 0 offset:292 ; 4-byte Folded Reload
	buffer_load_dword v134, off, s[40:43], 0 offset:296 ; 4-byte Folded Reload
	;; [unrolled: 1-line block ×3, first 2 shown]
	s_waitcnt vmcnt(0)
	v_mad_u32_u24 v130, v133, v130, v134
	v_and_b32_e32 v130, 63, v130
	v_cmp_gt_u32_e32 vcc, 32, v130
	v_mov_b32_e32 v133, 0
	s_and_saveexec_b64 s[0:1], vcc
	s_cbranch_execz .LBB107_224
; %bb.221:                              ;   in Loop: Header=BB107_149 Depth=1
	v_add_co_u32_e32 v130, vcc, v131, v130
	v_addc_co_u32_e32 v131, vcc, 0, v132, vcc
	v_cmp_gt_i64_e32 vcc, s[12:13], v[130:131]
	v_mov_b32_e32 v133, 0
	v_mov_b32_e32 v2, 0
	s_and_saveexec_b64 s[18:19], vcc
	s_cbranch_execz .LBB107_223
; %bb.222:                              ;   in Loop: Header=BB107_149 Depth=1
	v_lshlrev_b64 v[130:131], 2, v[130:131]
	v_mov_b32_e32 v2, s23
	v_add_co_u32_e32 v137, vcc, s22, v130
	v_addc_co_u32_e32 v138, vcc, v2, v131, vcc
	v_mov_b32_e32 v2, s21
	v_add_co_u32_e32 v130, vcc, s20, v130
	v_addc_co_u32_e32 v131, vcc, v2, v131, vcc
	global_load_dword v133, v[130:131], off
	global_load_dword v2, v[137:138], off
.LBB107_223:                            ;   in Loop: Header=BB107_149 Depth=1
	s_or_b64 exec, exec, s[18:19]
.LBB107_224:                            ;   in Loop: Header=BB107_149 Depth=1
	s_or_b64 exec, exec, s[0:1]
	buffer_load_dword v130, off, s[40:43], 0 ; 4-byte Folded Reload
	buffer_load_dword v131, off, s[40:43], 0 offset:4 ; 4-byte Folded Reload
	s_waitcnt vmcnt(2)
	ds_bpermute_b32 v205, v145, v2
	s_waitcnt vmcnt(1)
	v_add_co_u32_e32 v130, vcc, v130, v4
	s_waitcnt vmcnt(0)
	v_addc_co_u32_e32 v131, vcc, v131, v5, vcc
	global_load_ushort v132, v[130:131], off
	s_nop 0
	buffer_load_dword v130, off, s[40:43], 0 offset:8 ; 4-byte Folded Reload
	buffer_load_dword v131, off, s[40:43], 0 offset:12 ; 4-byte Folded Reload
	s_waitcnt vmcnt(1)
	v_add_co_u32_e32 v130, vcc, v130, v4
	s_waitcnt vmcnt(0)
	v_addc_co_u32_e32 v131, vcc, v131, v5, vcc
	global_load_ushort v134, v[130:131], off
	v_add_co_u32_e32 v130, vcc, v6, v4
	v_addc_co_u32_e32 v131, vcc, v7, v5, vcc
	global_load_ushort v137, v[130:131], off
	v_add_co_u32_e32 v130, vcc, v68, v4
	;; [unrolled: 3-line block ×62, first 2 shown]
	v_addc_co_u32_e32 v131, vcc, v129, v5, vcc
	global_load_ushort v130, v[130:131], off
	v_lshlrev_b32_e32 v131, 16, v132
	s_waitcnt vmcnt(62)
	v_lshlrev_b32_e32 v132, 16, v134
	s_waitcnt vmcnt(61)
	;; [unrolled: 2-line block ×60, first 2 shown]
	v_lshlrev_b32_e32 v201, 16, v202
	ds_bpermute_b32 v202, v145, v133
	s_waitcnt vmcnt(2)
	v_lshlrev_b32_e32 v203, 16, v203
	s_waitcnt lgkmcnt(0)
	v_sub_f32_e32 v132, v132, v202
	ds_bpermute_b32 v202, v145, v133 offset:4
	v_mul_f32_e32 v132, v132, v131
	v_fmac_f32_e32 v146, v132, v205
	ds_bpermute_b32 v132, v145, v2 offset:4
	v_add_f32_e32 v131, v208, v131
	s_waitcnt lgkmcnt(1)
	v_sub_f32_e32 v137, v137, v202
	ds_bpermute_b32 v202, v145, v133 offset:8
	v_mul_f32_e32 v137, v137, v134
	s_waitcnt lgkmcnt(1)
	v_fmac_f32_e32 v146, v137, v132
	ds_bpermute_b32 v132, v145, v2 offset:8
	v_add_f32_e32 v131, v131, v134
	s_waitcnt lgkmcnt(1)
	v_sub_f32_e32 v134, v139, v202
	ds_bpermute_b32 v137, v145, v133 offset:12
	v_mul_f32_e32 v134, v134, v138
	s_waitcnt lgkmcnt(1)
	;; [unrolled: 8-line block ×27, first 2 shown]
	v_fmac_f32_e32 v146, v134, v132
	ds_bpermute_b32 v132, v145, v2 offset:112
	s_waitcnt vmcnt(0)
	v_lshlrev_b32_e32 v130, 16, v130
	s_waitcnt lgkmcnt(1)
	v_sub_f32_e32 v134, v198, v137
	ds_bpermute_b32 v137, v145, v133 offset:116
	v_mul_f32_e32 v134, v134, v197
	s_waitcnt lgkmcnt(1)
	v_fmac_f32_e32 v146, v134, v132
	ds_bpermute_b32 v132, v145, v2 offset:116
	v_add_f32_e32 v131, v131, v195
	s_waitcnt lgkmcnt(1)
	v_sub_f32_e32 v134, v200, v137
	ds_bpermute_b32 v137, v145, v133 offset:120
	v_mul_f32_e32 v134, v134, v199
	ds_bpermute_b32 v133, v145, v133 offset:124
	s_waitcnt lgkmcnt(2)
	v_fmac_f32_e32 v146, v134, v132
	ds_bpermute_b32 v132, v145, v2 offset:120
	ds_bpermute_b32 v2, v145, v2 offset:124
	s_waitcnt lgkmcnt(3)
	v_sub_f32_e32 v134, v203, v137
	v_lshlrev_b32_e32 v204, 16, v204
	v_add_f32_e32 v131, v131, v197
	v_mul_f32_e32 v134, v134, v201
	s_waitcnt lgkmcnt(2)
	v_sub_f32_e32 v130, v130, v133
	v_add_f32_e32 v131, v131, v199
	s_waitcnt lgkmcnt(1)
	v_fmac_f32_e32 v146, v134, v132
	v_mul_f32_e32 v130, v130, v204
	v_add_f32_e32 v131, v131, v201
	s_waitcnt lgkmcnt(0)
	v_fmac_f32_e32 v146, v130, v2
	v_add_f32_e32 v133, v131, v204
	v_mov_b32_e32 v130, v146
.LBB107_225:                            ;   in Loop: Header=BB107_149 Depth=1
	buffer_load_dword v2, off, s[40:43], 0  ; 4-byte Folded Reload
	buffer_load_dword v131, off, s[40:43], 0 offset:4 ; 4-byte Folded Reload
	s_add_u32 s16, s16, s7
	s_addc_u32 s17, s17, 0
	s_add_u32 s26, s26, s7
	s_addc_u32 s27, 0, s27
	s_waitcnt vmcnt(1)
	v_add_co_u32_e32 v2, vcc, s10, v2
	buffer_store_dword v2, off, s[40:43], 0 ; 4-byte Folded Spill
	v_mov_b32_e32 v2, s11
	s_waitcnt vmcnt(1)
	v_addc_co_u32_e32 v131, vcc, v131, v2, vcc
	buffer_store_dword v131, off, s[40:43], 0 offset:4 ; 4-byte Folded Spill
	buffer_load_dword v131, off, s[40:43], 0 offset:8 ; 4-byte Folded Reload
	s_waitcnt vmcnt(0)
	v_add_co_u32_e32 v131, vcc, s10, v131
	buffer_store_dword v131, off, s[40:43], 0 offset:8 ; 4-byte Folded Spill
	buffer_load_dword v131, off, s[40:43], 0 offset:12 ; 4-byte Folded Reload
	s_waitcnt vmcnt(0)
	v_addc_co_u32_e32 v131, vcc, v131, v2, vcc
	v_add_co_u32_e32 v135, vcc, s7, v135
	v_addc_co_u32_e32 v136, vcc, 0, v136, vcc
	v_add_co_u32_e32 v6, vcc, s10, v6
	;; [unrolled: 2-line block ×23, first 2 shown]
	v_addc_co_u32_e32 v49, vcc, v49, v2, vcc
	buffer_store_dword v131, off, s[40:43], 0 offset:12 ; 4-byte Folded Spill
	v_add_co_u32_e32 v50, vcc, s10, v50
	buffer_load_dword v131, off, s[40:43], 0 offset:16 ; 4-byte Folded Reload
	v_addc_co_u32_e32 v51, vcc, v51, v2, vcc
	v_add_co_u32_e32 v52, vcc, s10, v52
	v_addc_co_u32_e32 v53, vcc, v53, v2, vcc
	v_add_co_u32_e32 v54, vcc, s10, v54
	;; [unrolled: 2-line block ×39, first 2 shown]
	v_addc_co_u32_e32 v129, vcc, v129, v2, vcc
	s_waitcnt vmcnt(0)
	v_add_co_u32_e32 v131, vcc, s10, v131
	buffer_store_dword v131, off, s[40:43], 0 offset:16 ; 4-byte Folded Spill
	buffer_load_dword v131, off, s[40:43], 0 offset:20 ; 4-byte Folded Reload
	s_waitcnt vmcnt(0)
	v_addc_co_u32_e32 v131, vcc, v131, v2, vcc
	buffer_store_dword v131, off, s[40:43], 0 offset:20 ; 4-byte Folded Spill
	buffer_load_dword v131, off, s[40:43], 0 offset:24 ; 4-byte Folded Reload
	s_waitcnt vmcnt(0)
	v_add_co_u32_e32 v131, vcc, s10, v131
	buffer_store_dword v131, off, s[40:43], 0 offset:24 ; 4-byte Folded Spill
	buffer_load_dword v131, off, s[40:43], 0 offset:28 ; 4-byte Folded Reload
	s_waitcnt vmcnt(0)
	v_addc_co_u32_e32 v131, vcc, v131, v2, vcc
	buffer_store_dword v131, off, s[40:43], 0 offset:28 ; 4-byte Folded Spill
	buffer_load_dword v131, off, s[40:43], 0 offset:32 ; 4-byte Folded Reload
	;; [unrolled: 8-line block ×34, first 2 shown]
	s_waitcnt vmcnt(0)
	v_add_co_u32_e32 v131, vcc, s10, v131
	v_addc_co_u32_e32 v209, vcc, v209, v2, vcc
	v_add_co_u32_e32 v210, vcc, s10, v210
	v_addc_co_u32_e32 v211, vcc, v211, v2, vcc
	;; [unrolled: 2-line block ×27, first 2 shown]
	buffer_store_dword v131, off, s[40:43], 0 offset:288 ; 4-byte Folded Spill
	v_add_co_u32_e32 v143, vcc, s10, v143
	v_mov_b32_e32 v132, s13
	v_addc_co_u32_e32 v144, vcc, v144, v2, vcc
	v_mov_b32_e32 v131, s12
	v_cmp_ge_i64_e32 vcc, s[16:17], v[131:132]
	s_cbranch_vccnz .LBB107_227
; %bb.226:                              ;   in Loop: Header=BB107_149 Depth=1
	v_mov_b32_e32 v208, v133
	v_mov_b32_e32 v146, v130
	s_branch .LBB107_149
.LBB107_227:
	buffer_load_dword v1, off, s[40:43], 0 offset:292 ; 4-byte Folded Reload
	buffer_load_dword v2, off, s[40:43], 0 offset:296 ; 4-byte Folded Reload
	buffer_load_dword v0, off, s[40:43], 0 offset:300 ; 4-byte Folded Reload
.LBB107_228:
	s_mov_b32 s7, 0
	s_lshl_b64 s[0:1], s[6:7], 5
	s_waitcnt vmcnt(0)
	v_or_b32_e32 v4, s0, v0
	v_mov_b32_e32 v5, s1
	v_cmp_gt_i64_e32 vcc, s[14:15], v[4:5]
	s_and_saveexec_b64 s[0:1], vcc
	s_cbranch_execz .LBB107_233
; %bb.229:
	s_load_dword s0, s[4:5], 0x4c
	v_mov_b32_e32 v2, 0
	v_mov_b32_e32 v0, s8
	s_waitcnt lgkmcnt(0)
	s_lshr_b32 s0, s0, 16
	v_mad_u64_u32 v[2:3], s[0:1], s0, v0, v[1:2]
	s_load_dwordx4 s[0:3], s[4:5], 0x30
	v_lshlrev_b64 v[0:1], 1, v[4:5]
	v_mul_lo_u32 v3, v3, s14
	v_mul_lo_u32 v6, v2, s15
	s_waitcnt lgkmcnt(0)
	s_cmp_eq_u64 s[0:1], 0
	s_cbranch_scc1 .LBB107_231
; %bb.230:
	v_bfe_u32 v4, v130, 16, 1
	s_movk_i32 s4, 0x7fff
	v_add3_u32 v7, v130, v4, s4
	v_mad_u64_u32 v[4:5], s[4:5], v2, s14, 0
	v_cmp_o_f32_e32 vcc, v130, v130
	v_mov_b32_e32 v8, 0x7fc0
	v_add3_u32 v5, v5, v6, v3
	v_lshlrev_b64 v[4:5], 1, v[4:5]
	v_cndmask_b32_sdwa v7, v8, v7, vcc dst_sel:DWORD dst_unused:UNUSED_PAD src0_sel:DWORD src1_sel:WORD_1
	v_mov_b32_e32 v8, s1
	v_add_co_u32_e32 v4, vcc, s0, v4
	v_addc_co_u32_e32 v5, vcc, v8, v5, vcc
	v_add_co_u32_e32 v4, vcc, v4, v0
	v_addc_co_u32_e32 v5, vcc, v5, v1, vcc
	global_store_short v[4:5], v7, off
.LBB107_231:
	s_cmp_eq_u64 s[2:3], 0
	s_cbranch_scc1 .LBB107_233
; %bb.232:
	v_bfe_u32 v4, v133, 16, 1
	s_movk_i32 s0, 0x7fff
	v_add3_u32 v7, v133, v4, s0
	v_mad_u64_u32 v[4:5], s[0:1], v2, s14, 0
	v_cmp_o_f32_e32 vcc, v133, v133
	v_mov_b32_e32 v2, 0x7fc0
	v_add3_u32 v5, v5, v6, v3
	v_cndmask_b32_sdwa v7, v2, v7, vcc dst_sel:DWORD dst_unused:UNUSED_PAD src0_sel:DWORD src1_sel:WORD_1
	v_lshlrev_b64 v[2:3], 1, v[4:5]
	v_mov_b32_e32 v4, s3
	v_add_co_u32_e32 v2, vcc, s2, v2
	v_addc_co_u32_e32 v3, vcc, v4, v3, vcc
	v_add_co_u32_e32 v0, vcc, v2, v0
	v_addc_co_u32_e32 v1, vcc, v3, v1, vcc
	global_store_short v[0:1], v7, off
.LBB107_233:
	s_endpgm
	.section	.rodata,"a",@progbits
	.p2align	6, 0x0
	.amdhsa_kernel _ZN2at6native12_GLOBAL__N_135GammaBetaBackwardCUDAKernelTemplateIN3c108BFloat16EfLj32ELj1ELj32ELb1ELb0ELb0EEEvllPKT_S7_PKT0_SA_PS5_SB_
		.amdhsa_group_segment_fixed_size 0
		.amdhsa_private_segment_fixed_size 316
		.amdhsa_kernarg_size 320
		.amdhsa_user_sgpr_count 6
		.amdhsa_user_sgpr_private_segment_buffer 1
		.amdhsa_user_sgpr_dispatch_ptr 0
		.amdhsa_user_sgpr_queue_ptr 0
		.amdhsa_user_sgpr_kernarg_segment_ptr 1
		.amdhsa_user_sgpr_dispatch_id 0
		.amdhsa_user_sgpr_flat_scratch_init 0
		.amdhsa_user_sgpr_private_segment_size 0
		.amdhsa_uses_dynamic_stack 0
		.amdhsa_system_sgpr_private_segment_wavefront_offset 1
		.amdhsa_system_sgpr_workgroup_id_x 1
		.amdhsa_system_sgpr_workgroup_id_y 1
		.amdhsa_system_sgpr_workgroup_id_z 0
		.amdhsa_system_sgpr_workgroup_info 0
		.amdhsa_system_vgpr_workitem_id 1
		.amdhsa_next_free_vgpr 256
		.amdhsa_next_free_sgpr 44
		.amdhsa_reserve_vcc 1
		.amdhsa_reserve_flat_scratch 0
		.amdhsa_float_round_mode_32 0
		.amdhsa_float_round_mode_16_64 0
		.amdhsa_float_denorm_mode_32 3
		.amdhsa_float_denorm_mode_16_64 3
		.amdhsa_dx10_clamp 1
		.amdhsa_ieee_mode 1
		.amdhsa_fp16_overflow 0
		.amdhsa_exception_fp_ieee_invalid_op 0
		.amdhsa_exception_fp_denorm_src 0
		.amdhsa_exception_fp_ieee_div_zero 0
		.amdhsa_exception_fp_ieee_overflow 0
		.amdhsa_exception_fp_ieee_underflow 0
		.amdhsa_exception_fp_ieee_inexact 0
		.amdhsa_exception_int_div_zero 0
	.end_amdhsa_kernel
	.section	.text._ZN2at6native12_GLOBAL__N_135GammaBetaBackwardCUDAKernelTemplateIN3c108BFloat16EfLj32ELj1ELj32ELb1ELb0ELb0EEEvllPKT_S7_PKT0_SA_PS5_SB_,"axG",@progbits,_ZN2at6native12_GLOBAL__N_135GammaBetaBackwardCUDAKernelTemplateIN3c108BFloat16EfLj32ELj1ELj32ELb1ELb0ELb0EEEvllPKT_S7_PKT0_SA_PS5_SB_,comdat
.Lfunc_end107:
	.size	_ZN2at6native12_GLOBAL__N_135GammaBetaBackwardCUDAKernelTemplateIN3c108BFloat16EfLj32ELj1ELj32ELb1ELb0ELb0EEEvllPKT_S7_PKT0_SA_PS5_SB_, .Lfunc_end107-_ZN2at6native12_GLOBAL__N_135GammaBetaBackwardCUDAKernelTemplateIN3c108BFloat16EfLj32ELj1ELj32ELb1ELb0ELb0EEEvllPKT_S7_PKT0_SA_PS5_SB_
                                        ; -- End function
	.set _ZN2at6native12_GLOBAL__N_135GammaBetaBackwardCUDAKernelTemplateIN3c108BFloat16EfLj32ELj1ELj32ELb1ELb0ELb0EEEvllPKT_S7_PKT0_SA_PS5_SB_.num_vgpr, 256
	.set _ZN2at6native12_GLOBAL__N_135GammaBetaBackwardCUDAKernelTemplateIN3c108BFloat16EfLj32ELj1ELj32ELb1ELb0ELb0EEEvllPKT_S7_PKT0_SA_PS5_SB_.num_agpr, 0
	.set _ZN2at6native12_GLOBAL__N_135GammaBetaBackwardCUDAKernelTemplateIN3c108BFloat16EfLj32ELj1ELj32ELb1ELb0ELb0EEEvllPKT_S7_PKT0_SA_PS5_SB_.numbered_sgpr, 44
	.set _ZN2at6native12_GLOBAL__N_135GammaBetaBackwardCUDAKernelTemplateIN3c108BFloat16EfLj32ELj1ELj32ELb1ELb0ELb0EEEvllPKT_S7_PKT0_SA_PS5_SB_.num_named_barrier, 0
	.set _ZN2at6native12_GLOBAL__N_135GammaBetaBackwardCUDAKernelTemplateIN3c108BFloat16EfLj32ELj1ELj32ELb1ELb0ELb0EEEvllPKT_S7_PKT0_SA_PS5_SB_.private_seg_size, 316
	.set _ZN2at6native12_GLOBAL__N_135GammaBetaBackwardCUDAKernelTemplateIN3c108BFloat16EfLj32ELj1ELj32ELb1ELb0ELb0EEEvllPKT_S7_PKT0_SA_PS5_SB_.uses_vcc, 1
	.set _ZN2at6native12_GLOBAL__N_135GammaBetaBackwardCUDAKernelTemplateIN3c108BFloat16EfLj32ELj1ELj32ELb1ELb0ELb0EEEvllPKT_S7_PKT0_SA_PS5_SB_.uses_flat_scratch, 0
	.set _ZN2at6native12_GLOBAL__N_135GammaBetaBackwardCUDAKernelTemplateIN3c108BFloat16EfLj32ELj1ELj32ELb1ELb0ELb0EEEvllPKT_S7_PKT0_SA_PS5_SB_.has_dyn_sized_stack, 0
	.set _ZN2at6native12_GLOBAL__N_135GammaBetaBackwardCUDAKernelTemplateIN3c108BFloat16EfLj32ELj1ELj32ELb1ELb0ELb0EEEvllPKT_S7_PKT0_SA_PS5_SB_.has_recursion, 0
	.set _ZN2at6native12_GLOBAL__N_135GammaBetaBackwardCUDAKernelTemplateIN3c108BFloat16EfLj32ELj1ELj32ELb1ELb0ELb0EEEvllPKT_S7_PKT0_SA_PS5_SB_.has_indirect_call, 0
	.section	.AMDGPU.csdata,"",@progbits
; Kernel info:
; codeLenInByte = 26776
; TotalNumSgprs: 48
; NumVgprs: 256
; ScratchSize: 316
; MemoryBound: 0
; FloatMode: 240
; IeeeMode: 1
; LDSByteSize: 0 bytes/workgroup (compile time only)
; SGPRBlocks: 5
; VGPRBlocks: 63
; NumSGPRsForWavesPerEU: 48
; NumVGPRsForWavesPerEU: 256
; Occupancy: 1
; WaveLimiterHint : 0
; COMPUTE_PGM_RSRC2:SCRATCH_EN: 1
; COMPUTE_PGM_RSRC2:USER_SGPR: 6
; COMPUTE_PGM_RSRC2:TRAP_HANDLER: 0
; COMPUTE_PGM_RSRC2:TGID_X_EN: 1
; COMPUTE_PGM_RSRC2:TGID_Y_EN: 1
; COMPUTE_PGM_RSRC2:TGID_Z_EN: 0
; COMPUTE_PGM_RSRC2:TIDIG_COMP_CNT: 1
	.section	.text._ZN2at6native12_GLOBAL__N_135GammaBetaBackwardCUDAKernelTemplateIN3c108BFloat16EfLj32ELj1ELj8ELb1ELb1ELb0EEEvllPKT_S7_PKT0_SA_PS5_SB_,"axG",@progbits,_ZN2at6native12_GLOBAL__N_135GammaBetaBackwardCUDAKernelTemplateIN3c108BFloat16EfLj32ELj1ELj8ELb1ELb1ELb0EEEvllPKT_S7_PKT0_SA_PS5_SB_,comdat
	.globl	_ZN2at6native12_GLOBAL__N_135GammaBetaBackwardCUDAKernelTemplateIN3c108BFloat16EfLj32ELj1ELj8ELb1ELb1ELb0EEEvllPKT_S7_PKT0_SA_PS5_SB_ ; -- Begin function _ZN2at6native12_GLOBAL__N_135GammaBetaBackwardCUDAKernelTemplateIN3c108BFloat16EfLj32ELj1ELj8ELb1ELb1ELb0EEEvllPKT_S7_PKT0_SA_PS5_SB_
	.p2align	8
	.type	_ZN2at6native12_GLOBAL__N_135GammaBetaBackwardCUDAKernelTemplateIN3c108BFloat16EfLj32ELj1ELj8ELb1ELb1ELb0EEEvllPKT_S7_PKT0_SA_PS5_SB_,@function
_ZN2at6native12_GLOBAL__N_135GammaBetaBackwardCUDAKernelTemplateIN3c108BFloat16EfLj32ELj1ELj8ELb1ELb1ELb0EEEvllPKT_S7_PKT0_SA_PS5_SB_: ; @_ZN2at6native12_GLOBAL__N_135GammaBetaBackwardCUDAKernelTemplateIN3c108BFloat16EfLj32ELj1ELj8ELb1ELb1ELb0EEEvllPKT_S7_PKT0_SA_PS5_SB_
; %bb.0:
	s_load_dwordx4 s[16:19], s[4:5], 0x0
	s_lshl_b32 s24, s7, 3
	s_mov_b32 s25, 0
	v_mov_b32_e32 v2, s24
	v_mov_b32_e32 v3, s25
	s_waitcnt lgkmcnt(0)
	v_cmp_gt_i64_e32 vcc, s[16:17], v[2:3]
	s_mov_b32 s2, s7
	s_cbranch_vccnz .LBB108_2
; %bb.1:
	s_add_u32 s26, s4, 64
	s_addc_u32 s27, s5, 0
	s_mov_b64 s[0:1], 0
	s_branch .LBB108_3
.LBB108_2:
	s_mov_b64 s[0:1], -1
                                        ; implicit-def: $sgpr26_sgpr27
.LBB108_3:
	s_load_dwordx4 s[20:23], s[4:5], 0x30
	v_mov_b32_e32 v7, 0
	s_andn2_b64 vcc, exec, s[0:1]
	v_mov_b32_e32 v6, 0
	s_cbranch_vccnz .LBB108_10
; %bb.4:
	v_mbcnt_lo_u32_b32 v4, -1, 0
	v_lshlrev_b32_e32 v3, 3, v1
	v_mbcnt_hi_u32_b32 v4, -1, v4
	s_load_dword s0, s[4:5], 0x4c
	s_load_dword s3, s[4:5], 0x44
	s_load_dwordx8 s[8:15], s[4:5], 0x10
	s_add_u32 s26, s4, 64
	v_lshlrev_b32_e32 v4, 2, v4
	v_add_co_u32_e32 v3, vcc, s24, v3
	s_addc_u32 s27, s5, 0
	v_and_b32_e32 v8, 0x100, v4
	v_addc_co_u32_e64 v4, s[4:5], 0, 0, vcc
	v_mul_lo_u32 v7, s19, v3
	v_mul_lo_u32 v18, s18, v4
	v_mad_u64_u32 v[16:17], s[4:5], s18, v3, 0
	s_waitcnt lgkmcnt(0)
	s_and_b32 s0, s0, 0xffff
	v_mad_u32_u24 v2, v1, s0, v0
	v_and_b32_e32 v2, 63, v2
	v_cmp_gt_u32_e64 s[0:1], 8, v2
	v_mov_b32_e32 v6, 0
	v_lshl_or_b32 v5, s6, 5, v0
	v_add_co_u32_e32 v2, vcc, v3, v2
	v_add3_u32 v17, v17, v18, v7
	v_addc_co_u32_e32 v3, vcc, 0, v4, vcc
	v_lshlrev_b64 v[16:17], 1, v[16:17]
	v_lshlrev_b64 v[4:5], 1, v[5:6]
	s_lshl_b32 s28, s3, 3
	v_add_co_u32_e32 v16, vcc, v16, v4
	s_mul_i32 s3, s19, s28
	s_mul_hi_u32 s4, s18, s28
	s_mov_b32 s29, 0
	v_addc_co_u32_e32 v17, vcc, v17, v5, vcc
	v_lshlrev_b64 v[4:5], 2, v[2:3]
	s_add_i32 s5, s4, s3
	s_mul_i32 s4, s18, s28
	v_or_b32_e32 v9, 4, v8
	v_or_b32_e32 v10, 8, v8
	;; [unrolled: 1-line block ×7, first 2 shown]
	s_lshl_b64 s[30:31], s[28:29], 2
	s_lshl_b64 s[34:35], s[4:5], 1
	;; [unrolled: 1-line block ×3, first 2 shown]
	v_mov_b32_e32 v7, v6
	s_branch .LBB108_7
.LBB108_5:                              ;   in Loop: Header=BB108_7 Depth=1
	s_or_b64 exec, exec, s[38:39]
.LBB108_6:                              ;   in Loop: Header=BB108_7 Depth=1
	s_or_b64 exec, exec, s[4:5]
	v_mov_b32_e32 v21, s11
	v_add_co_u32_e32 v20, vcc, s10, v16
	v_addc_co_u32_e32 v21, vcc, v21, v17, vcc
	global_load_ushort v27, v[20:21], off
	v_mov_b32_e32 v26, s37
	v_add_co_u32_e32 v22, vcc, s36, v20
	v_addc_co_u32_e32 v23, vcc, v21, v26, vcc
	v_mov_b32_e32 v21, s9
	v_add_co_u32_e32 v20, vcc, s8, v16
	v_addc_co_u32_e32 v21, vcc, v21, v17, vcc
	v_add_co_u32_e32 v24, vcc, s36, v20
	global_load_ushort v20, v[20:21], off
	v_addc_co_u32_e32 v25, vcc, v21, v26, vcc
	s_add_u32 s24, s24, s28
	s_addc_u32 s25, s25, 0
	v_add_co_u32_e64 v16, s[4:5], s34, v16
	s_waitcnt vmcnt(1)
	v_lshlrev_b32_e32 v21, 16, v27
	ds_bpermute_b32 v27, v8, v19
	s_waitcnt lgkmcnt(0)
	v_sub_f32_e32 v21, v21, v27
	global_load_ushort v27, v[22:23], off
	s_waitcnt vmcnt(1)
	v_lshlrev_b32_e32 v20, 16, v20
	v_add_f32_e32 v6, v6, v20
	v_mul_f32_e32 v20, v21, v20
	ds_bpermute_b32 v21, v8, v18
	s_waitcnt lgkmcnt(0)
	v_fmac_f32_e32 v7, v20, v21
	v_add_co_u32_e32 v20, vcc, s36, v22
	v_addc_co_u32_e32 v21, vcc, v23, v26, vcc
	global_load_ushort v28, v[20:21], off
	v_add_co_u32_e32 v22, vcc, s36, v24
	global_load_ushort v24, v[24:25], off
	v_addc_co_u32_e32 v23, vcc, v25, v26, vcc
	s_waitcnt vmcnt(2)
	v_lshlrev_b32_e32 v25, 16, v27
	ds_bpermute_b32 v27, v9, v19
	s_waitcnt lgkmcnt(0)
	v_sub_f32_e32 v25, v25, v27
	s_waitcnt vmcnt(0)
	v_lshlrev_b32_e32 v27, 16, v24
	v_mul_f32_e32 v24, v25, v27
	ds_bpermute_b32 v25, v9, v18
	v_add_f32_e32 v6, v6, v27
	s_waitcnt lgkmcnt(0)
	v_fmac_f32_e32 v7, v24, v25
	v_add_co_u32_e32 v24, vcc, s36, v20
	v_addc_co_u32_e32 v25, vcc, v21, v26, vcc
	v_add_co_u32_e32 v20, vcc, s36, v22
	global_load_ushort v22, v[22:23], off
	v_addc_co_u32_e32 v21, vcc, v23, v26, vcc
	v_lshlrev_b32_e32 v23, 16, v28
	ds_bpermute_b32 v28, v10, v19
	global_load_ushort v29, v[24:25], off
	s_waitcnt lgkmcnt(0)
	v_sub_f32_e32 v23, v23, v28
	s_waitcnt vmcnt(1)
	v_lshlrev_b32_e32 v28, 16, v22
	v_mul_f32_e32 v22, v23, v28
	ds_bpermute_b32 v23, v10, v18
	v_add_f32_e32 v6, v6, v28
	s_waitcnt lgkmcnt(0)
	v_fmac_f32_e32 v7, v22, v23
	v_add_co_u32_e32 v22, vcc, s36, v24
	v_addc_co_u32_e32 v23, vcc, v25, v26, vcc
	global_load_ushort v30, v[22:23], off
	v_add_co_u32_e32 v24, vcc, s36, v20
	global_load_ushort v20, v[20:21], off
	v_addc_co_u32_e32 v25, vcc, v21, v26, vcc
	s_waitcnt vmcnt(2)
	v_lshlrev_b32_e32 v21, 16, v29
	ds_bpermute_b32 v29, v11, v19
	s_waitcnt lgkmcnt(0)
	v_sub_f32_e32 v21, v21, v29
	s_waitcnt vmcnt(0)
	v_lshlrev_b32_e32 v29, 16, v20
	v_mul_f32_e32 v20, v21, v29
	ds_bpermute_b32 v21, v11, v18
	v_add_f32_e32 v6, v6, v29
	s_waitcnt lgkmcnt(0)
	v_fmac_f32_e32 v7, v20, v21
	v_add_co_u32_e32 v20, vcc, s36, v22
	v_addc_co_u32_e32 v21, vcc, v23, v26, vcc
	global_load_ushort v31, v[20:21], off
	v_add_co_u32_e32 v22, vcc, s36, v24
	global_load_ushort v24, v[24:25], off
	v_addc_co_u32_e32 v23, vcc, v25, v26, vcc
	v_lshlrev_b32_e32 v25, 16, v30
	ds_bpermute_b32 v30, v12, v19
	s_waitcnt lgkmcnt(0)
	v_sub_f32_e32 v25, v25, v30
	s_waitcnt vmcnt(0)
	v_lshlrev_b32_e32 v30, 16, v24
	v_mul_f32_e32 v24, v25, v30
	ds_bpermute_b32 v25, v12, v18
	v_add_f32_e32 v6, v6, v30
	s_waitcnt lgkmcnt(0)
	v_fmac_f32_e32 v7, v24, v25
	v_add_co_u32_e32 v24, vcc, s36, v20
	v_addc_co_u32_e32 v25, vcc, v21, v26, vcc
	v_add_co_u32_e32 v20, vcc, s36, v22
	global_load_ushort v22, v[22:23], off
	v_addc_co_u32_e32 v21, vcc, v23, v26, vcc
	v_lshlrev_b32_e32 v23, 16, v31
	ds_bpermute_b32 v31, v13, v19
	global_load_ushort v32, v[24:25], off
	s_waitcnt lgkmcnt(0)
	v_sub_f32_e32 v23, v23, v31
	s_waitcnt vmcnt(1)
	v_lshlrev_b32_e32 v31, 16, v22
	v_mul_f32_e32 v22, v23, v31
	ds_bpermute_b32 v23, v13, v18
	v_add_f32_e32 v6, v6, v31
	s_waitcnt lgkmcnt(0)
	v_fmac_f32_e32 v7, v22, v23
	v_add_co_u32_e32 v22, vcc, s36, v24
	v_addc_co_u32_e32 v23, vcc, v25, v26, vcc
	v_add_co_u32_e32 v24, vcc, s36, v20
	global_load_ushort v20, v[20:21], off
	v_addc_co_u32_e32 v25, vcc, v21, v26, vcc
	ds_bpermute_b32 v26, v14, v19
	s_waitcnt vmcnt(1)
	v_lshlrev_b32_e32 v21, 16, v32
	ds_bpermute_b32 v19, v15, v19
	v_add_co_u32_e32 v4, vcc, s30, v4
	s_waitcnt lgkmcnt(1)
	v_sub_f32_e32 v21, v21, v26
	ds_bpermute_b32 v26, v14, v18
	ds_bpermute_b32 v18, v15, v18
	s_waitcnt vmcnt(0)
	v_lshlrev_b32_e32 v20, 16, v20
	v_mul_f32_e32 v21, v21, v20
	s_waitcnt lgkmcnt(1)
	v_fmac_f32_e32 v7, v21, v26
	global_load_ushort v21, v[24:25], off
	global_load_ushort v26, v[22:23], off
	v_add_f32_e32 v6, v6, v20
	s_waitcnt vmcnt(1)
	v_lshlrev_b32_e32 v20, 16, v21
	s_waitcnt vmcnt(0)
	v_lshlrev_b32_e32 v21, 16, v26
	v_sub_f32_e32 v19, v21, v19
	v_mul_f32_e32 v19, v19, v20
	s_waitcnt lgkmcnt(0)
	v_fmac_f32_e32 v7, v19, v18
	v_mov_b32_e32 v18, s31
	v_addc_co_u32_e32 v5, vcc, v5, v18, vcc
	v_add_co_u32_e32 v2, vcc, s28, v2
	v_mov_b32_e32 v19, s17
	v_addc_co_u32_e32 v3, vcc, 0, v3, vcc
	v_mov_b32_e32 v18, s16
	v_cmp_lt_i64_e32 vcc, s[24:25], v[18:19]
	v_add_f32_e32 v6, v6, v20
	v_mov_b32_e32 v20, s35
	v_addc_co_u32_e64 v17, s[4:5], v17, v20, s[4:5]
	s_cbranch_vccz .LBB108_10
.LBB108_7:                              ; =>This Inner Loop Header: Depth=1
	v_mov_b32_e32 v18, 0
	v_mov_b32_e32 v19, 0
	s_and_saveexec_b64 s[4:5], s[0:1]
	s_cbranch_execz .LBB108_6
; %bb.8:                                ;   in Loop: Header=BB108_7 Depth=1
	v_cmp_gt_i64_e32 vcc, s[16:17], v[2:3]
	v_mov_b32_e32 v19, 0
	v_mov_b32_e32 v18, 0
	s_and_saveexec_b64 s[38:39], vcc
	s_cbranch_execz .LBB108_5
; %bb.9:                                ;   in Loop: Header=BB108_7 Depth=1
	v_mov_b32_e32 v18, s15
	v_add_co_u32_e32 v20, vcc, s14, v4
	v_addc_co_u32_e32 v21, vcc, v18, v5, vcc
	v_mov_b32_e32 v18, s13
	v_add_co_u32_e32 v22, vcc, s12, v4
	v_addc_co_u32_e32 v23, vcc, v18, v5, vcc
	global_load_dword v19, v[22:23], off
	global_load_dword v18, v[20:21], off
	s_branch .LBB108_5
.LBB108_10:
	s_load_dword s0, s[26:27], 0xc
	v_mov_b32_e32 v2, 0
	v_mov_b32_e32 v3, s2
	s_mov_b32 s7, 0
	s_waitcnt lgkmcnt(0)
	s_lshr_b32 s0, s0, 16
	v_mad_u64_u32 v[2:3], s[0:1], s0, v3, v[1:2]
	s_lshl_b64 s[0:1], s[6:7], 5
	v_or_b32_e32 v0, s0, v0
	v_mul_lo_u32 v3, v3, s18
	v_mul_lo_u32 v4, v2, s19
	v_mov_b32_e32 v1, s1
	v_lshlrev_b64 v[0:1], 1, v[0:1]
	s_cmp_eq_u64 s[20:21], 0
	s_cbranch_scc1 .LBB108_12
; %bb.11:
	v_bfe_u32 v5, v7, 16, 1
	s_movk_i32 s0, 0x7fff
	v_add3_u32 v5, v7, v5, s0
	v_cmp_o_f32_e32 vcc, v7, v7
	v_mad_u64_u32 v[7:8], s[0:1], v2, s18, 0
	v_mov_b32_e32 v9, 0x7fc0
	v_cndmask_b32_sdwa v5, v9, v5, vcc dst_sel:DWORD dst_unused:UNUSED_PAD src0_sel:DWORD src1_sel:WORD_1
	v_add3_u32 v8, v8, v4, v3
	v_lshlrev_b64 v[7:8], 1, v[7:8]
	v_mov_b32_e32 v9, s21
	v_add_co_u32_e32 v7, vcc, s20, v7
	v_addc_co_u32_e32 v8, vcc, v9, v8, vcc
	v_add_co_u32_e32 v7, vcc, v7, v0
	v_addc_co_u32_e32 v8, vcc, v8, v1, vcc
	global_store_short v[7:8], v5, off
.LBB108_12:
	s_cmp_eq_u64 s[22:23], 0
	s_cbranch_scc1 .LBB108_14
; %bb.13:
	v_bfe_u32 v5, v6, 16, 1
	s_movk_i32 s0, 0x7fff
	v_add3_u32 v7, v6, v5, s0
	v_cmp_o_f32_e32 vcc, v6, v6
	v_mad_u64_u32 v[5:6], s[0:1], v2, s18, 0
	v_mov_b32_e32 v2, 0x7fc0
	v_cndmask_b32_sdwa v7, v2, v7, vcc dst_sel:DWORD dst_unused:UNUSED_PAD src0_sel:DWORD src1_sel:WORD_1
	v_add3_u32 v6, v6, v4, v3
	v_lshlrev_b64 v[2:3], 1, v[5:6]
	v_mov_b32_e32 v4, s23
	v_add_co_u32_e32 v2, vcc, s22, v2
	v_addc_co_u32_e32 v3, vcc, v4, v3, vcc
	v_add_co_u32_e32 v0, vcc, v2, v0
	v_addc_co_u32_e32 v1, vcc, v3, v1, vcc
	global_store_short v[0:1], v7, off
.LBB108_14:
	s_endpgm
	.section	.rodata,"a",@progbits
	.p2align	6, 0x0
	.amdhsa_kernel _ZN2at6native12_GLOBAL__N_135GammaBetaBackwardCUDAKernelTemplateIN3c108BFloat16EfLj32ELj1ELj8ELb1ELb1ELb0EEEvllPKT_S7_PKT0_SA_PS5_SB_
		.amdhsa_group_segment_fixed_size 0
		.amdhsa_private_segment_fixed_size 0
		.amdhsa_kernarg_size 320
		.amdhsa_user_sgpr_count 6
		.amdhsa_user_sgpr_private_segment_buffer 1
		.amdhsa_user_sgpr_dispatch_ptr 0
		.amdhsa_user_sgpr_queue_ptr 0
		.amdhsa_user_sgpr_kernarg_segment_ptr 1
		.amdhsa_user_sgpr_dispatch_id 0
		.amdhsa_user_sgpr_flat_scratch_init 0
		.amdhsa_user_sgpr_private_segment_size 0
		.amdhsa_uses_dynamic_stack 0
		.amdhsa_system_sgpr_private_segment_wavefront_offset 0
		.amdhsa_system_sgpr_workgroup_id_x 1
		.amdhsa_system_sgpr_workgroup_id_y 1
		.amdhsa_system_sgpr_workgroup_id_z 0
		.amdhsa_system_sgpr_workgroup_info 0
		.amdhsa_system_vgpr_workitem_id 1
		.amdhsa_next_free_vgpr 33
		.amdhsa_next_free_sgpr 40
		.amdhsa_reserve_vcc 1
		.amdhsa_reserve_flat_scratch 0
		.amdhsa_float_round_mode_32 0
		.amdhsa_float_round_mode_16_64 0
		.amdhsa_float_denorm_mode_32 3
		.amdhsa_float_denorm_mode_16_64 3
		.amdhsa_dx10_clamp 1
		.amdhsa_ieee_mode 1
		.amdhsa_fp16_overflow 0
		.amdhsa_exception_fp_ieee_invalid_op 0
		.amdhsa_exception_fp_denorm_src 0
		.amdhsa_exception_fp_ieee_div_zero 0
		.amdhsa_exception_fp_ieee_overflow 0
		.amdhsa_exception_fp_ieee_underflow 0
		.amdhsa_exception_fp_ieee_inexact 0
		.amdhsa_exception_int_div_zero 0
	.end_amdhsa_kernel
	.section	.text._ZN2at6native12_GLOBAL__N_135GammaBetaBackwardCUDAKernelTemplateIN3c108BFloat16EfLj32ELj1ELj8ELb1ELb1ELb0EEEvllPKT_S7_PKT0_SA_PS5_SB_,"axG",@progbits,_ZN2at6native12_GLOBAL__N_135GammaBetaBackwardCUDAKernelTemplateIN3c108BFloat16EfLj32ELj1ELj8ELb1ELb1ELb0EEEvllPKT_S7_PKT0_SA_PS5_SB_,comdat
.Lfunc_end108:
	.size	_ZN2at6native12_GLOBAL__N_135GammaBetaBackwardCUDAKernelTemplateIN3c108BFloat16EfLj32ELj1ELj8ELb1ELb1ELb0EEEvllPKT_S7_PKT0_SA_PS5_SB_, .Lfunc_end108-_ZN2at6native12_GLOBAL__N_135GammaBetaBackwardCUDAKernelTemplateIN3c108BFloat16EfLj32ELj1ELj8ELb1ELb1ELb0EEEvllPKT_S7_PKT0_SA_PS5_SB_
                                        ; -- End function
	.set _ZN2at6native12_GLOBAL__N_135GammaBetaBackwardCUDAKernelTemplateIN3c108BFloat16EfLj32ELj1ELj8ELb1ELb1ELb0EEEvllPKT_S7_PKT0_SA_PS5_SB_.num_vgpr, 33
	.set _ZN2at6native12_GLOBAL__N_135GammaBetaBackwardCUDAKernelTemplateIN3c108BFloat16EfLj32ELj1ELj8ELb1ELb1ELb0EEEvllPKT_S7_PKT0_SA_PS5_SB_.num_agpr, 0
	.set _ZN2at6native12_GLOBAL__N_135GammaBetaBackwardCUDAKernelTemplateIN3c108BFloat16EfLj32ELj1ELj8ELb1ELb1ELb0EEEvllPKT_S7_PKT0_SA_PS5_SB_.numbered_sgpr, 40
	.set _ZN2at6native12_GLOBAL__N_135GammaBetaBackwardCUDAKernelTemplateIN3c108BFloat16EfLj32ELj1ELj8ELb1ELb1ELb0EEEvllPKT_S7_PKT0_SA_PS5_SB_.num_named_barrier, 0
	.set _ZN2at6native12_GLOBAL__N_135GammaBetaBackwardCUDAKernelTemplateIN3c108BFloat16EfLj32ELj1ELj8ELb1ELb1ELb0EEEvllPKT_S7_PKT0_SA_PS5_SB_.private_seg_size, 0
	.set _ZN2at6native12_GLOBAL__N_135GammaBetaBackwardCUDAKernelTemplateIN3c108BFloat16EfLj32ELj1ELj8ELb1ELb1ELb0EEEvllPKT_S7_PKT0_SA_PS5_SB_.uses_vcc, 1
	.set _ZN2at6native12_GLOBAL__N_135GammaBetaBackwardCUDAKernelTemplateIN3c108BFloat16EfLj32ELj1ELj8ELb1ELb1ELb0EEEvllPKT_S7_PKT0_SA_PS5_SB_.uses_flat_scratch, 0
	.set _ZN2at6native12_GLOBAL__N_135GammaBetaBackwardCUDAKernelTemplateIN3c108BFloat16EfLj32ELj1ELj8ELb1ELb1ELb0EEEvllPKT_S7_PKT0_SA_PS5_SB_.has_dyn_sized_stack, 0
	.set _ZN2at6native12_GLOBAL__N_135GammaBetaBackwardCUDAKernelTemplateIN3c108BFloat16EfLj32ELj1ELj8ELb1ELb1ELb0EEEvllPKT_S7_PKT0_SA_PS5_SB_.has_recursion, 0
	.set _ZN2at6native12_GLOBAL__N_135GammaBetaBackwardCUDAKernelTemplateIN3c108BFloat16EfLj32ELj1ELj8ELb1ELb1ELb0EEEvllPKT_S7_PKT0_SA_PS5_SB_.has_indirect_call, 0
	.section	.AMDGPU.csdata,"",@progbits
; Kernel info:
; codeLenInByte = 1476
; TotalNumSgprs: 44
; NumVgprs: 33
; ScratchSize: 0
; MemoryBound: 0
; FloatMode: 240
; IeeeMode: 1
; LDSByteSize: 0 bytes/workgroup (compile time only)
; SGPRBlocks: 5
; VGPRBlocks: 8
; NumSGPRsForWavesPerEU: 44
; NumVGPRsForWavesPerEU: 33
; Occupancy: 7
; WaveLimiterHint : 0
; COMPUTE_PGM_RSRC2:SCRATCH_EN: 0
; COMPUTE_PGM_RSRC2:USER_SGPR: 6
; COMPUTE_PGM_RSRC2:TRAP_HANDLER: 0
; COMPUTE_PGM_RSRC2:TGID_X_EN: 1
; COMPUTE_PGM_RSRC2:TGID_Y_EN: 1
; COMPUTE_PGM_RSRC2:TGID_Z_EN: 0
; COMPUTE_PGM_RSRC2:TIDIG_COMP_CNT: 1
	.section	.text._ZN2at6native12_GLOBAL__N_135GammaBetaBackwardCUDAKernelTemplateIN3c108BFloat16EfLj32ELj1ELj8ELb1ELb0ELb0EEEvllPKT_S7_PKT0_SA_PS5_SB_,"axG",@progbits,_ZN2at6native12_GLOBAL__N_135GammaBetaBackwardCUDAKernelTemplateIN3c108BFloat16EfLj32ELj1ELj8ELb1ELb0ELb0EEEvllPKT_S7_PKT0_SA_PS5_SB_,comdat
	.globl	_ZN2at6native12_GLOBAL__N_135GammaBetaBackwardCUDAKernelTemplateIN3c108BFloat16EfLj32ELj1ELj8ELb1ELb0ELb0EEEvllPKT_S7_PKT0_SA_PS5_SB_ ; -- Begin function _ZN2at6native12_GLOBAL__N_135GammaBetaBackwardCUDAKernelTemplateIN3c108BFloat16EfLj32ELj1ELj8ELb1ELb0ELb0EEEvllPKT_S7_PKT0_SA_PS5_SB_
	.p2align	8
	.type	_ZN2at6native12_GLOBAL__N_135GammaBetaBackwardCUDAKernelTemplateIN3c108BFloat16EfLj32ELj1ELj8ELb1ELb0ELb0EEEvllPKT_S7_PKT0_SA_PS5_SB_,@function
_ZN2at6native12_GLOBAL__N_135GammaBetaBackwardCUDAKernelTemplateIN3c108BFloat16EfLj32ELj1ELj8ELb1ELb0ELb0EEEvllPKT_S7_PKT0_SA_PS5_SB_: ; @_ZN2at6native12_GLOBAL__N_135GammaBetaBackwardCUDAKernelTemplateIN3c108BFloat16EfLj32ELj1ELj8ELb1ELb0ELb0EEEvllPKT_S7_PKT0_SA_PS5_SB_
; %bb.0:
	s_mov_b32 s8, s7
	s_load_dwordx8 s[12:19], s[4:5], 0x0
	s_load_dwordx4 s[20:23], s[4:5], 0x20
	s_lshl_b32 s24, s8, 3
	s_lshl_b32 s7, s6, 5
	s_mov_b32 s25, 0
	v_mov_b32_e32 v4, s24
	s_or_b32 s0, s7, 31
	v_mov_b32_e32 v5, s25
	v_mov_b32_e32 v2, s0
	;; [unrolled: 1-line block ×3, first 2 shown]
	s_waitcnt lgkmcnt(0)
	v_cmp_gt_i64_e64 s[0:1], s[12:13], v[4:5]
	v_cmp_le_i64_e32 vcc, s[14:15], v[2:3]
	v_cndmask_b32_e64 v2, 0, 1, s[0:1]
	v_cmp_ne_u32_e64 s[0:1], 1, v2
	s_cbranch_vccz .LBB109_49
; %bb.1:
	s_and_b64 vcc, exec, s[0:1]
	v_mov_b32_e32 v56, 0
	s_cbranch_vccnz .LBB109_50
; %bb.2:
	v_lshlrev_b32_e32 v23, 3, v1
	v_add_co_u32_e32 v9, vcc, s24, v23
	v_addc_co_u32_e64 v10, s[2:3], 0, 0, vcc
	v_mul_lo_u32 v7, s15, v9
	v_mul_lo_u32 v8, s14, v10
	v_mad_u64_u32 v[5:6], s[2:3], s14, v9, 0
	v_mov_b32_e32 v2, 0
	s_load_dword s9, s[4:5], 0x44
	v_add_u32_e32 v3, s7, v0
	v_mov_b32_e32 v4, v2
	v_add3_u32 v6, v6, v8, v7
	v_cmp_gt_i64_e64 s[2:3], s[14:15], v[3:4]
	v_lshlrev_b64 v[19:20], 1, v[3:4]
	v_lshlrev_b64 v[3:4], 1, v[5:6]
	s_add_u32 s26, s4, 64
	v_mov_b32_e32 v7, s17
	v_add_co_u32_e32 v25, vcc, s16, v3
	s_addc_u32 s27, s5, 0
	s_waitcnt lgkmcnt(0)
	s_lshl_b32 s9, s9, 3
	v_addc_co_u32_e32 v26, vcc, v7, v4, vcc
	s_mul_i32 s10, s15, s9
	s_mul_hi_u32 s11, s14, s9
	v_add_co_u32_e32 v7, vcc, 7, v9
	s_add_i32 s11, s11, s10
	s_mul_i32 s10, s14, s9
	v_addc_co_u32_e32 v8, vcc, 0, v10, vcc
	s_lshl_b64 s[28:29], s[10:11], 1
	v_mul_lo_u32 v12, s15, v7
	v_mul_lo_u32 v13, s14, v8
	v_mad_u64_u32 v[7:8], s[10:11], s14, v7, 0
	v_mov_b32_e32 v11, s19
	v_add_co_u32_e32 v27, vcc, s18, v3
	v_add3_u32 v8, v8, v13, v12
	v_addc_co_u32_e32 v28, vcc, v11, v4, vcc
	v_lshlrev_b64 v[3:4], 1, v[7:8]
	v_mov_b32_e32 v7, s17
	v_add_co_u32_e32 v29, vcc, s16, v3
	v_addc_co_u32_e32 v30, vcc, v7, v4, vcc
	v_add_co_u32_e32 v7, vcc, 6, v9
	v_addc_co_u32_e32 v8, vcc, 0, v10, vcc
	v_mul_lo_u32 v12, s15, v7
	v_mul_lo_u32 v13, s14, v8
	v_mad_u64_u32 v[7:8], s[10:11], s14, v7, 0
	v_add_co_u32_e32 v31, vcc, s18, v3
	v_add3_u32 v8, v8, v13, v12
	v_addc_co_u32_e32 v32, vcc, v11, v4, vcc
	v_lshlrev_b64 v[3:4], 1, v[7:8]
	v_mov_b32_e32 v7, s17
	v_add_co_u32_e32 v33, vcc, s16, v3
	v_addc_co_u32_e32 v34, vcc, v7, v4, vcc
	v_add_co_u32_e32 v7, vcc, 5, v9
	v_addc_co_u32_e32 v8, vcc, 0, v10, vcc
	v_mul_lo_u32 v12, s15, v7
	v_mul_lo_u32 v13, s14, v8
	v_mad_u64_u32 v[7:8], s[10:11], s14, v7, 0
	;; [unrolled: 12-line block ×5, first 2 shown]
	v_add_co_u32_e32 v47, vcc, s18, v3
	v_add3_u32 v8, v8, v10, v9
	v_addc_co_u32_e32 v48, vcc, v11, v4, vcc
	v_lshlrev_b64 v[3:4], 1, v[7:8]
	v_mov_b32_e32 v7, s17
	v_add_co_u32_e32 v49, vcc, s16, v3
	v_addc_co_u32_e32 v50, vcc, v7, v4, vcc
	v_mov_b32_e32 v7, s19
	v_add_co_u32_e32 v51, vcc, s18, v3
	v_addc_co_u32_e32 v52, vcc, v7, v4, vcc
	;; [unrolled: 3-line block ×3, first 2 shown]
	v_lshlrev_b64 v[3:4], 1, v[3:4]
	v_mov_b32_e32 v5, s17
	v_add_co_u32_e32 v53, vcc, s16, v3
	v_addc_co_u32_e32 v54, vcc, v5, v4, vcc
	v_add_co_u32_e32 v55, vcc, s18, v3
	v_mbcnt_lo_u32_b32 v3, -1, 0
	v_mbcnt_hi_u32_b32 v3, -1, v3
	v_mov_b32_e32 v5, s19
	v_lshlrev_b32_e32 v3, 2, v3
	v_mov_b32_e32 v24, v2
	s_mov_b64 s[30:31], 7
	v_addc_co_u32_e32 v57, vcc, v5, v4, vcc
	v_and_b32_e32 v58, 0x100, v3
	v_mov_b32_e32 v56, 0
	v_mov_b32_e32 v59, 0
	s_mov_b64 s[34:35], s[24:25]
.LBB109_3:                              ; =>This Inner Loop Header: Depth=1
	s_add_u32 s10, s24, s30
	v_mov_b32_e32 v3, s12
	s_addc_u32 s11, 0, s31
	v_mov_b32_e32 v4, s13
	v_cmp_ge_i64_e32 vcc, s[10:11], v[3:4]
	v_add_co_u32_e64 v21, s[10:11], s24, v23
	v_addc_co_u32_e64 v22, s[10:11], 0, v24, s[10:11]
	s_mov_b64 s[10:11], -1
	s_and_b64 vcc, exec, vcc
                                        ; implicit-def: $vgpr3_vgpr4_vgpr5_vgpr6_vgpr7_vgpr8_vgpr9_vgpr10
                                        ; implicit-def: $vgpr60
                                        ; implicit-def: $vgpr11_vgpr12_vgpr13_vgpr14_vgpr15_vgpr16_vgpr17_vgpr18
                                        ; implicit-def: $vgpr4
                                        ; implicit-def: $vgpr3
                                        ; implicit-def: $vgpr5
	s_cbranch_vccz .LBB109_25
; %bb.4:                                ;   in Loop: Header=BB109_3 Depth=1
	s_load_dword s10, s[26:27], 0xc
	v_mov_b32_e32 v60, 0
	v_mov_b32_e32 v61, 0
	s_waitcnt lgkmcnt(0)
	s_and_b32 s10, s10, 0xffff
	v_mad_u32_u24 v3, v1, s10, v0
	v_and_b32_e32 v3, 63, v3
	v_cmp_gt_u32_e32 vcc, 8, v3
	s_and_saveexec_b64 s[10:11], vcc
	s_cbranch_execz .LBB109_8
; %bb.5:                                ;   in Loop: Header=BB109_3 Depth=1
	v_add_co_u32_e32 v3, vcc, v21, v3
	v_addc_co_u32_e32 v4, vcc, 0, v22, vcc
	v_cmp_gt_i64_e32 vcc, s[12:13], v[3:4]
	v_mov_b32_e32 v61, 0
	v_mov_b32_e32 v60, 0
	s_and_saveexec_b64 s[36:37], vcc
	s_cbranch_execz .LBB109_7
; %bb.6:                                ;   in Loop: Header=BB109_3 Depth=1
	v_lshlrev_b64 v[3:4], 2, v[3:4]
	v_mov_b32_e32 v6, s23
	v_add_co_u32_e32 v5, vcc, s22, v3
	v_addc_co_u32_e32 v6, vcc, v6, v4, vcc
	v_mov_b32_e32 v7, s21
	v_add_co_u32_e32 v3, vcc, s20, v3
	v_addc_co_u32_e32 v4, vcc, v7, v4, vcc
	global_load_dword v61, v[3:4], off
	global_load_dword v60, v[5:6], off
.LBB109_7:                              ;   in Loop: Header=BB109_3 Depth=1
	s_or_b64 exec, exec, s[36:37]
.LBB109_8:                              ;   in Loop: Header=BB109_3 Depth=1
	s_or_b64 exec, exec, s[10:11]
	v_mov_b32_e32 v9, v2
	v_cmp_gt_i64_e32 vcc, s[12:13], v[21:22]
	v_mov_b32_e32 v3, v2
	v_mov_b32_e32 v4, v2
	;; [unrolled: 1-line block ×15, first 2 shown]
	s_and_b64 s[36:37], s[2:3], vcc
	v_mov_b32_e32 v9, v8
	v_mov_b32_e32 v8, v7
	;; [unrolled: 1-line block ×7, first 2 shown]
	s_and_saveexec_b64 s[10:11], s[36:37]
	s_cbranch_execz .LBB109_10
; %bb.9:                                ;   in Loop: Header=BB109_3 Depth=1
	v_add_co_u32_e32 v3, vcc, v25, v19
	v_addc_co_u32_e32 v4, vcc, v26, v20, vcc
	global_load_ushort v11, v[3:4], off
	v_add_co_u32_e32 v3, vcc, v27, v19
	v_addc_co_u32_e32 v4, vcc, v28, v20, vcc
	global_load_ushort v18, v[3:4], off
	v_mov_b32_e32 v4, v2
	v_mov_b32_e32 v5, v2
	;; [unrolled: 1-line block ×13, first 2 shown]
	s_waitcnt vmcnt(1)
	v_lshlrev_b32_e32 v3, 16, v11
	s_waitcnt vmcnt(0)
	v_lshlrev_b32_e32 v11, 16, v18
	v_mov_b32_e32 v18, v2
.LBB109_10:                             ;   in Loop: Header=BB109_3 Depth=1
	s_or_b64 exec, exec, s[10:11]
	v_add_co_u32_e32 v62, vcc, 1, v21
	v_addc_co_u32_e32 v63, vcc, 0, v22, vcc
	v_cmp_gt_i64_e32 vcc, s[12:13], v[62:63]
	s_and_b64 s[36:37], s[2:3], vcc
	s_and_saveexec_b64 s[10:11], s[36:37]
	s_cbranch_execz .LBB109_12
; %bb.11:                               ;   in Loop: Header=BB109_3 Depth=1
	v_add_co_u32_e32 v62, vcc, v53, v19
	v_addc_co_u32_e32 v63, vcc, v54, v20, vcc
	global_load_ushort v4, v[62:63], off
	v_add_co_u32_e32 v62, vcc, v55, v19
	v_addc_co_u32_e32 v63, vcc, v57, v20, vcc
	global_load_ushort v12, v[62:63], off
	s_waitcnt vmcnt(1)
	v_lshlrev_b32_e32 v4, 16, v4
	s_waitcnt vmcnt(0)
	v_lshlrev_b32_e32 v12, 16, v12
.LBB109_12:                             ;   in Loop: Header=BB109_3 Depth=1
	s_or_b64 exec, exec, s[10:11]
	v_add_co_u32_e32 v62, vcc, 2, v21
	v_addc_co_u32_e32 v63, vcc, 0, v22, vcc
	v_cmp_gt_i64_e32 vcc, s[12:13], v[62:63]
	s_and_b64 s[36:37], s[2:3], vcc
	s_and_saveexec_b64 s[10:11], s[36:37]
	s_cbranch_execz .LBB109_14
; %bb.13:                               ;   in Loop: Header=BB109_3 Depth=1
	v_add_co_u32_e32 v62, vcc, v49, v19
	v_addc_co_u32_e32 v63, vcc, v50, v20, vcc
	global_load_ushort v5, v[62:63], off
	v_add_co_u32_e32 v62, vcc, v51, v19
	v_addc_co_u32_e32 v63, vcc, v52, v20, vcc
	global_load_ushort v13, v[62:63], off
	s_waitcnt vmcnt(1)
	v_lshlrev_b32_e32 v5, 16, v5
	s_waitcnt vmcnt(0)
	v_lshlrev_b32_e32 v13, 16, v13
.LBB109_14:                             ;   in Loop: Header=BB109_3 Depth=1
	;; [unrolled: 19-line block ×7, first 2 shown]
	s_or_b64 exec, exec, s[10:11]
	s_waitcnt vmcnt(1)
	ds_bpermute_b32 v62, v58, v61
	ds_bpermute_b32 v65, v58, v61 offset:4
	s_waitcnt vmcnt(0)
	ds_bpermute_b32 v63, v58, v60
	ds_bpermute_b32 v66, v58, v60 offset:4
	v_add_f32_e32 v64, v56, v3
	s_waitcnt lgkmcnt(3)
	v_sub_f32_e32 v11, v11, v62
	v_mul_f32_e32 v3, v3, v11
	s_waitcnt lgkmcnt(2)
	v_sub_f32_e32 v11, v12, v65
	ds_bpermute_b32 v12, v58, v61 offset:8
	s_waitcnt lgkmcnt(2)
	v_fma_f32 v3, v3, v63, v59
	v_mul_f32_e32 v11, v4, v11
	s_waitcnt lgkmcnt(1)
	v_fmac_f32_e32 v3, v11, v66
	ds_bpermute_b32 v11, v58, v60 offset:8
	s_waitcnt lgkmcnt(1)
	v_sub_f32_e32 v12, v13, v12
	ds_bpermute_b32 v13, v58, v61 offset:12
	v_mul_f32_e32 v12, v5, v12
	v_add_f32_e32 v4, v4, v64
	s_waitcnt lgkmcnt(1)
	v_fmac_f32_e32 v3, v12, v11
	ds_bpermute_b32 v11, v58, v60 offset:12
	v_add_f32_e32 v4, v5, v4
	s_waitcnt lgkmcnt(1)
	v_sub_f32_e32 v5, v14, v13
	ds_bpermute_b32 v12, v58, v61 offset:16
	v_mul_f32_e32 v5, v6, v5
	s_waitcnt lgkmcnt(1)
	v_fmac_f32_e32 v3, v5, v11
	ds_bpermute_b32 v5, v58, v60 offset:16
	v_add_f32_e32 v4, v6, v4
	s_waitcnt lgkmcnt(1)
	v_sub_f32_e32 v6, v15, v12
	ds_bpermute_b32 v11, v58, v61 offset:20
	v_mul_f32_e32 v6, v7, v6
	;; [unrolled: 8-line block ×3, first 2 shown]
	s_waitcnt lgkmcnt(1)
	v_fmac_f32_e32 v3, v6, v5
	ds_bpermute_b32 v6, v58, v60 offset:24
	v_add_f32_e32 v5, v8, v4
	ds_bpermute_b32 v60, v58, v60 offset:28
	ds_bpermute_b32 v4, v58, v61 offset:28
	s_waitcnt lgkmcnt(3)
	v_sub_f32_e32 v7, v17, v7
	v_mul_f32_e32 v7, v9, v7
	s_waitcnt lgkmcnt(2)
	v_fmac_f32_e32 v3, v7, v6
	v_add_f32_e32 v5, v9, v5
	s_mov_b64 s[10:11], 0
.LBB109_25:                             ;   in Loop: Header=BB109_3 Depth=1
	s_and_b64 vcc, exec, s[10:11]
	s_cbranch_vccz .LBB109_40
; %bb.26:                               ;   in Loop: Header=BB109_3 Depth=1
	s_load_dword s10, s[26:27], 0x0
	s_waitcnt lgkmcnt(0)
	v_mov_b32_e32 v60, 0
	v_mov_b32_e32 v61, 0
	s_cmp_lt_u32 s6, s10
	s_cselect_b32 s10, 12, 18
	s_add_u32 s10, s26, s10
	s_addc_u32 s11, s27, 0
	global_load_ushort v3, v2, s[10:11]
	s_waitcnt vmcnt(0)
	v_mad_u32_u24 v3, v1, v3, v0
	v_and_b32_e32 v3, 63, v3
	v_cmp_gt_u32_e32 vcc, 8, v3
	s_and_saveexec_b64 s[10:11], vcc
	s_cbranch_execz .LBB109_30
; %bb.27:                               ;   in Loop: Header=BB109_3 Depth=1
	v_add_co_u32_e32 v3, vcc, v21, v3
	v_addc_co_u32_e32 v4, vcc, 0, v22, vcc
	v_cmp_gt_i64_e32 vcc, s[12:13], v[3:4]
	v_mov_b32_e32 v61, 0
	v_mov_b32_e32 v60, 0
	s_and_saveexec_b64 s[36:37], vcc
	s_cbranch_execz .LBB109_29
; %bb.28:                               ;   in Loop: Header=BB109_3 Depth=1
	v_lshlrev_b64 v[3:4], 2, v[3:4]
	v_mov_b32_e32 v6, s23
	v_add_co_u32_e32 v5, vcc, s22, v3
	v_addc_co_u32_e32 v6, vcc, v6, v4, vcc
	v_mov_b32_e32 v7, s21
	v_add_co_u32_e32 v3, vcc, s20, v3
	v_addc_co_u32_e32 v4, vcc, v7, v4, vcc
	global_load_dword v61, v[3:4], off
	global_load_dword v60, v[5:6], off
.LBB109_29:                             ;   in Loop: Header=BB109_3 Depth=1
	s_or_b64 exec, exec, s[36:37]
.LBB109_30:                             ;   in Loop: Header=BB109_3 Depth=1
	s_or_b64 exec, exec, s[10:11]
	v_mov_b32_e32 v9, v2
	v_mov_b32_e32 v3, v2
	;; [unrolled: 1-line block ×23, first 2 shown]
	s_and_saveexec_b64 s[10:11], s[2:3]
	s_cbranch_execnz .LBB109_42
; %bb.31:                               ;   in Loop: Header=BB109_3 Depth=1
	s_or_b64 exec, exec, s[10:11]
	s_and_saveexec_b64 s[10:11], s[2:3]
	s_cbranch_execnz .LBB109_43
.LBB109_32:                             ;   in Loop: Header=BB109_3 Depth=1
	s_or_b64 exec, exec, s[10:11]
	s_and_saveexec_b64 s[10:11], s[2:3]
	s_cbranch_execnz .LBB109_44
.LBB109_33:                             ;   in Loop: Header=BB109_3 Depth=1
	s_or_b64 exec, exec, s[10:11]
	s_and_saveexec_b64 s[10:11], s[2:3]
	s_cbranch_execnz .LBB109_45
.LBB109_34:                             ;   in Loop: Header=BB109_3 Depth=1
	s_or_b64 exec, exec, s[10:11]
	s_and_saveexec_b64 s[10:11], s[2:3]
	s_cbranch_execnz .LBB109_46
.LBB109_35:                             ;   in Loop: Header=BB109_3 Depth=1
	s_or_b64 exec, exec, s[10:11]
	s_and_saveexec_b64 s[10:11], s[2:3]
	s_cbranch_execnz .LBB109_47
.LBB109_36:                             ;   in Loop: Header=BB109_3 Depth=1
	s_or_b64 exec, exec, s[10:11]
	s_and_saveexec_b64 s[10:11], s[2:3]
	s_cbranch_execnz .LBB109_48
.LBB109_37:                             ;   in Loop: Header=BB109_3 Depth=1
	s_or_b64 exec, exec, s[10:11]
	s_and_saveexec_b64 s[10:11], s[2:3]
	s_cbranch_execz .LBB109_39
.LBB109_38:                             ;   in Loop: Header=BB109_3 Depth=1
	v_add_co_u32_e32 v21, vcc, v29, v19
	v_addc_co_u32_e32 v22, vcc, v30, v20, vcc
	global_load_ushort v10, v[21:22], off
	v_add_co_u32_e32 v21, vcc, v31, v19
	v_addc_co_u32_e32 v22, vcc, v32, v20, vcc
	global_load_ushort v18, v[21:22], off
	s_waitcnt vmcnt(1)
	v_lshlrev_b32_e32 v10, 16, v10
	s_waitcnt vmcnt(0)
	v_lshlrev_b32_e32 v18, 16, v18
.LBB109_39:                             ;   in Loop: Header=BB109_3 Depth=1
	s_or_b64 exec, exec, s[10:11]
	s_waitcnt vmcnt(1)
	ds_bpermute_b32 v21, v58, v61
	s_waitcnt vmcnt(0)
	ds_bpermute_b32 v22, v58, v60
	ds_bpermute_b32 v62, v58, v61 offset:4
	ds_bpermute_b32 v63, v58, v60 offset:4
	v_add_f32_e32 v56, v56, v3
	s_waitcnt lgkmcnt(3)
	v_sub_f32_e32 v11, v11, v21
	v_mul_f32_e32 v3, v3, v11
	s_waitcnt lgkmcnt(2)
	v_fmac_f32_e32 v59, v3, v22
	s_waitcnt lgkmcnt(1)
	v_sub_f32_e32 v3, v12, v62
	ds_bpermute_b32 v11, v58, v61 offset:8
	v_mul_f32_e32 v3, v4, v3
	s_waitcnt lgkmcnt(1)
	v_fmac_f32_e32 v59, v3, v63
	ds_bpermute_b32 v3, v58, v60 offset:8
	ds_bpermute_b32 v12, v58, v61 offset:12
	s_waitcnt lgkmcnt(2)
	v_sub_f32_e32 v11, v13, v11
	v_mul_f32_e32 v11, v5, v11
	v_add_f32_e32 v4, v4, v56
	s_waitcnt lgkmcnt(1)
	v_fmac_f32_e32 v59, v11, v3
	ds_bpermute_b32 v3, v58, v60 offset:12
	v_add_f32_e32 v4, v5, v4
	s_waitcnt lgkmcnt(1)
	v_sub_f32_e32 v5, v14, v12
	ds_bpermute_b32 v11, v58, v61 offset:16
	v_mul_f32_e32 v5, v6, v5
	s_waitcnt lgkmcnt(1)
	v_fmac_f32_e32 v59, v5, v3
	ds_bpermute_b32 v3, v58, v60 offset:16
	v_add_f32_e32 v4, v6, v4
	s_waitcnt lgkmcnt(1)
	v_sub_f32_e32 v5, v15, v11
	ds_bpermute_b32 v6, v58, v61 offset:20
	v_mul_f32_e32 v5, v7, v5
	;; [unrolled: 8-line block ×3, first 2 shown]
	s_waitcnt lgkmcnt(1)
	v_fmac_f32_e32 v59, v5, v3
	ds_bpermute_b32 v5, v58, v60 offset:24
	v_add_f32_e32 v3, v8, v4
	ds_bpermute_b32 v60, v58, v60 offset:28
	ds_bpermute_b32 v4, v58, v61 offset:28
	s_waitcnt lgkmcnt(3)
	v_sub_f32_e32 v6, v17, v6
	v_mul_f32_e32 v6, v9, v6
	s_waitcnt lgkmcnt(2)
	v_fmac_f32_e32 v59, v6, v5
	v_add_f32_e32 v5, v9, v3
	v_mov_b32_e32 v3, v59
.LBB109_40:                             ;   in Loop: Header=BB109_3 Depth=1
	s_waitcnt lgkmcnt(0)
	v_sub_f32_e32 v4, v18, v4
	v_mul_f32_e32 v4, v10, v4
	v_fmac_f32_e32 v3, v4, v60
	v_mov_b32_e32 v4, s29
	v_add_co_u32_e32 v25, vcc, s28, v25
	v_addc_co_u32_e32 v26, vcc, v26, v4, vcc
	v_add_co_u32_e32 v27, vcc, s28, v27
	v_addc_co_u32_e32 v28, vcc, v28, v4, vcc
	;; [unrolled: 2-line block ×16, first 2 shown]
	v_add_f32_e32 v56, v5, v10
	s_add_u32 s34, s34, s9
	v_add_co_u32_e32 v23, vcc, s9, v23
	v_mov_b32_e32 v4, s12
	s_addc_u32 s35, s35, 0
	v_addc_co_u32_e32 v24, vcc, 0, v24, vcc
	v_mov_b32_e32 v5, s13
	v_cmp_lt_i64_e32 vcc, s[34:35], v[4:5]
	s_add_u32 s30, s30, s9
	s_addc_u32 s31, 0, s31
	s_cbranch_vccz .LBB109_50
; %bb.41:                               ;   in Loop: Header=BB109_3 Depth=1
	v_mov_b32_e32 v59, v3
	s_branch .LBB109_3
.LBB109_42:                             ;   in Loop: Header=BB109_3 Depth=1
	v_add_co_u32_e32 v3, vcc, v25, v19
	v_addc_co_u32_e32 v4, vcc, v26, v20, vcc
	global_load_ushort v11, v[3:4], off
	v_add_co_u32_e32 v3, vcc, v27, v19
	v_addc_co_u32_e32 v4, vcc, v28, v20, vcc
	global_load_ushort v18, v[3:4], off
	v_mov_b32_e32 v4, v2
	v_mov_b32_e32 v5, v2
	;; [unrolled: 1-line block ×13, first 2 shown]
	s_waitcnt vmcnt(1)
	v_lshlrev_b32_e32 v3, 16, v11
	s_waitcnt vmcnt(0)
	v_lshlrev_b32_e32 v11, 16, v18
	v_mov_b32_e32 v18, v2
	s_or_b64 exec, exec, s[10:11]
	s_and_saveexec_b64 s[10:11], s[2:3]
	s_cbranch_execz .LBB109_32
.LBB109_43:                             ;   in Loop: Header=BB109_3 Depth=1
	v_add_co_u32_e32 v21, vcc, v53, v19
	v_addc_co_u32_e32 v22, vcc, v54, v20, vcc
	global_load_ushort v4, v[21:22], off
	v_add_co_u32_e32 v21, vcc, v55, v19
	v_addc_co_u32_e32 v22, vcc, v57, v20, vcc
	global_load_ushort v12, v[21:22], off
	s_waitcnt vmcnt(1)
	v_lshlrev_b32_e32 v4, 16, v4
	s_waitcnt vmcnt(0)
	v_lshlrev_b32_e32 v12, 16, v12
	s_or_b64 exec, exec, s[10:11]
	s_and_saveexec_b64 s[10:11], s[2:3]
	s_cbranch_execz .LBB109_33
.LBB109_44:                             ;   in Loop: Header=BB109_3 Depth=1
	v_add_co_u32_e32 v21, vcc, v49, v19
	v_addc_co_u32_e32 v22, vcc, v50, v20, vcc
	global_load_ushort v5, v[21:22], off
	v_add_co_u32_e32 v21, vcc, v51, v19
	v_addc_co_u32_e32 v22, vcc, v52, v20, vcc
	global_load_ushort v13, v[21:22], off
	s_waitcnt vmcnt(1)
	v_lshlrev_b32_e32 v5, 16, v5
	s_waitcnt vmcnt(0)
	v_lshlrev_b32_e32 v13, 16, v13
	s_or_b64 exec, exec, s[10:11]
	s_and_saveexec_b64 s[10:11], s[2:3]
	s_cbranch_execz .LBB109_34
.LBB109_45:                             ;   in Loop: Header=BB109_3 Depth=1
	v_add_co_u32_e32 v21, vcc, v45, v19
	v_addc_co_u32_e32 v22, vcc, v46, v20, vcc
	global_load_ushort v6, v[21:22], off
	v_add_co_u32_e32 v21, vcc, v47, v19
	v_addc_co_u32_e32 v22, vcc, v48, v20, vcc
	global_load_ushort v14, v[21:22], off
	s_waitcnt vmcnt(1)
	v_lshlrev_b32_e32 v6, 16, v6
	s_waitcnt vmcnt(0)
	v_lshlrev_b32_e32 v14, 16, v14
	s_or_b64 exec, exec, s[10:11]
	s_and_saveexec_b64 s[10:11], s[2:3]
	s_cbranch_execz .LBB109_35
.LBB109_46:                             ;   in Loop: Header=BB109_3 Depth=1
	v_add_co_u32_e32 v21, vcc, v41, v19
	v_addc_co_u32_e32 v22, vcc, v42, v20, vcc
	global_load_ushort v7, v[21:22], off
	v_add_co_u32_e32 v21, vcc, v43, v19
	v_addc_co_u32_e32 v22, vcc, v44, v20, vcc
	global_load_ushort v15, v[21:22], off
	s_waitcnt vmcnt(1)
	v_lshlrev_b32_e32 v7, 16, v7
	s_waitcnt vmcnt(0)
	v_lshlrev_b32_e32 v15, 16, v15
	s_or_b64 exec, exec, s[10:11]
	s_and_saveexec_b64 s[10:11], s[2:3]
	s_cbranch_execz .LBB109_36
.LBB109_47:                             ;   in Loop: Header=BB109_3 Depth=1
	v_add_co_u32_e32 v21, vcc, v37, v19
	v_addc_co_u32_e32 v22, vcc, v38, v20, vcc
	global_load_ushort v8, v[21:22], off
	v_add_co_u32_e32 v21, vcc, v39, v19
	v_addc_co_u32_e32 v22, vcc, v40, v20, vcc
	global_load_ushort v16, v[21:22], off
	s_waitcnt vmcnt(1)
	v_lshlrev_b32_e32 v8, 16, v8
	s_waitcnt vmcnt(0)
	v_lshlrev_b32_e32 v16, 16, v16
	s_or_b64 exec, exec, s[10:11]
	s_and_saveexec_b64 s[10:11], s[2:3]
	s_cbranch_execz .LBB109_37
.LBB109_48:                             ;   in Loop: Header=BB109_3 Depth=1
	v_add_co_u32_e32 v21, vcc, v33, v19
	v_addc_co_u32_e32 v22, vcc, v34, v20, vcc
	global_load_ushort v9, v[21:22], off
	v_add_co_u32_e32 v21, vcc, v35, v19
	v_addc_co_u32_e32 v22, vcc, v36, v20, vcc
	global_load_ushort v17, v[21:22], off
	s_waitcnt vmcnt(1)
	v_lshlrev_b32_e32 v9, 16, v9
	s_waitcnt vmcnt(0)
	v_lshlrev_b32_e32 v17, 16, v17
	s_or_b64 exec, exec, s[10:11]
	s_and_saveexec_b64 s[10:11], s[2:3]
	s_cbranch_execnz .LBB109_38
	s_branch .LBB109_39
.LBB109_49:
                                        ; implicit-def: $vgpr3
                                        ; implicit-def: $vgpr56
	s_branch .LBB109_51
.LBB109_50:
	s_cbranch_execnz .LBB109_83
.LBB109_51:
	v_mov_b32_e32 v3, 0
	s_and_b64 vcc, exec, s[0:1]
	v_mov_b32_e32 v56, 0
	s_cbranch_vccnz .LBB109_83
; %bb.52:
	v_lshlrev_b32_e32 v51, 3, v1
	v_add_co_u32_e32 v8, vcc, s24, v51
	v_addc_co_u32_e64 v9, s[0:1], 0, 0, vcc
	v_mul_lo_u32 v4, s15, v8
	v_mul_lo_u32 v5, s14, v9
	v_mad_u64_u32 v[2:3], s[0:1], s14, v8, 0
	v_mov_b32_e32 v6, s17
	s_add_u32 s2, s4, 64
	v_add3_u32 v3, v3, v5, v4
	v_lshlrev_b64 v[4:5], 1, v[2:3]
	s_addc_u32 s3, s5, 0
	v_add_co_u32_e32 v52, vcc, s16, v4
	v_addc_co_u32_e32 v53, vcc, v6, v5, vcc
	v_mov_b32_e32 v6, s19
	v_add_co_u32_e32 v54, vcc, s18, v4
	v_addc_co_u32_e32 v55, vcc, v6, v5, vcc
	v_lshlrev_b32_e32 v4, 4, v1
	s_lshl_b64 s[0:1], s[24:25], 1
	v_mov_b32_e32 v5, s1
	v_add_co_u32_e32 v10, vcc, s0, v4
	v_addc_co_u32_e32 v11, vcc, 0, v5, vcc
	v_add_co_u32_e32 v12, vcc, 2, v10
	v_addc_co_u32_e32 v6, vcc, 0, v11, vcc
	v_mov_b32_e32 v4, s16
	v_mul_lo_u32 v14, s14, v6
	v_mov_b32_e32 v6, s18
	v_mov_b32_e32 v5, s17
	;; [unrolled: 1-line block ×3, first 2 shown]
	v_mad_u64_u32 v[19:20], s[0:1], s14, v12, v[4:5]
	v_mul_lo_u32 v15, s15, v12
	v_mad_u64_u32 v[21:22], s[0:1], s14, v12, v[6:7]
	v_add_co_u32_e32 v12, vcc, 4, v10
	v_addc_co_u32_e32 v16, vcc, 0, v11, vcc
	v_mov_b32_e32 v13, s15
	v_add_co_u32_e32 v2, vcc, s14, v2
	v_addc_co_u32_e32 v3, vcc, v3, v13, vcc
	v_mul_lo_u32 v17, s15, v12
	v_mad_u64_u32 v[23:24], s[0:1], s14, v12, v[4:5]
	v_mad_u64_u32 v[25:26], s[0:1], s14, v12, v[6:7]
	v_add_co_u32_e32 v12, vcc, 6, v10
	v_addc_co_u32_e32 v13, vcc, 0, v11, vcc
	v_add3_u32 v20, v15, v20, v14
	v_add3_u32 v22, v15, v22, v14
	v_mul_lo_u32 v13, s14, v13
	v_mul_lo_u32 v14, s15, v12
	v_mad_u64_u32 v[27:28], s[0:1], s14, v12, v[4:5]
	v_mad_u64_u32 v[29:30], s[0:1], s14, v12, v[6:7]
	v_add_co_u32_e32 v12, vcc, 8, v10
	v_mul_lo_u32 v16, s14, v16
	v_addc_co_u32_e32 v15, vcc, 0, v11, vcc
	v_mul_lo_u32 v18, s15, v12
	v_mad_u64_u32 v[31:32], s[0:1], s14, v12, v[4:5]
	v_mad_u64_u32 v[33:34], s[0:1], s14, v12, v[6:7]
	v_add_co_u32_e32 v12, vcc, 10, v10
	v_add3_u32 v28, v14, v28, v13
	v_add3_u32 v30, v14, v30, v13
	v_addc_co_u32_e32 v13, vcc, 0, v11, vcc
	v_mul_lo_u32 v14, s15, v12
	v_mad_u64_u32 v[35:36], s[0:1], s14, v12, v[4:5]
	v_mad_u64_u32 v[37:38], s[0:1], s14, v12, v[6:7]
	v_add_co_u32_e32 v12, vcc, 12, v10
	v_add3_u32 v24, v17, v24, v16
	v_add3_u32 v26, v17, v26, v16
	v_addc_co_u32_e32 v16, vcc, 0, v11, vcc
	v_add_co_u32_e32 v10, vcc, 14, v10
	v_addc_co_u32_e32 v11, vcc, 0, v11, vcc
	v_mad_u64_u32 v[39:40], s[0:1], s14, v12, v[4:5]
	v_mad_u64_u32 v[43:44], s[0:1], s14, v10, v[4:5]
	v_add_co_u32_e32 v4, vcc, 7, v8
	v_addc_co_u32_e32 v5, vcc, 0, v9, vcc
	v_mad_u64_u32 v[41:42], s[0:1], s14, v12, v[6:7]
	v_mad_u64_u32 v[45:46], s[0:1], s14, v10, v[6:7]
	v_mul_lo_u32 v6, s15, v10
	v_mul_lo_u32 v7, s14, v5
	v_mul_lo_u32 v10, s15, v4
	v_mad_u64_u32 v[4:5], s[0:1], s14, v4, 0
	v_mul_lo_u32 v11, s14, v11
	v_mul_lo_u32 v17, s15, v12
	v_add3_u32 v5, v5, v7, v10
	v_lshlrev_b64 v[4:5], 1, v[4:5]
	v_add3_u32 v44, v6, v44, v11
	v_add3_u32 v46, v6, v46, v11
	v_mov_b32_e32 v6, s17
	v_add_co_u32_e32 v57, vcc, s16, v4
	v_addc_co_u32_e32 v58, vcc, v6, v5, vcc
	v_add_co_u32_e32 v6, vcc, 6, v8
	v_addc_co_u32_e32 v7, vcc, 0, v9, vcc
	v_mul_lo_u32 v11, s14, v7
	v_mul_lo_u32 v12, s15, v6
	v_mad_u64_u32 v[6:7], s[0:1], s14, v6, 0
	v_mov_b32_e32 v10, s19
	v_add_co_u32_e32 v59, vcc, s18, v4
	v_add3_u32 v7, v7, v11, v12
	v_addc_co_u32_e32 v60, vcc, v10, v5, vcc
	v_lshlrev_b64 v[4:5], 1, v[6:7]
	v_mov_b32_e32 v6, s17
	v_add_co_u32_e32 v61, vcc, s16, v4
	v_addc_co_u32_e32 v62, vcc, v6, v5, vcc
	v_add_co_u32_e32 v6, vcc, 5, v8
	v_addc_co_u32_e32 v7, vcc, 0, v9, vcc
	v_mul_lo_u32 v11, s14, v7
	v_mul_lo_u32 v12, s15, v6
	v_mad_u64_u32 v[6:7], s[0:1], s14, v6, 0
	v_add_co_u32_e32 v63, vcc, s18, v4
	v_add3_u32 v7, v7, v11, v12
	v_addc_co_u32_e32 v64, vcc, v10, v5, vcc
	v_lshlrev_b64 v[4:5], 1, v[6:7]
	v_mov_b32_e32 v6, s17
	v_add_co_u32_e32 v65, vcc, s16, v4
	v_addc_co_u32_e32 v66, vcc, v6, v5, vcc
	v_add_co_u32_e32 v6, vcc, 4, v8
	v_addc_co_u32_e32 v7, vcc, 0, v9, vcc
	v_mul_lo_u32 v11, s14, v7
	v_mul_lo_u32 v12, s15, v6
	v_mad_u64_u32 v[6:7], s[0:1], s14, v6, 0
	;; [unrolled: 12-line block ×4, first 2 shown]
	v_add_co_u32_e32 v75, vcc, s18, v4
	v_add3_u32 v7, v7, v8, v9
	v_addc_co_u32_e32 v76, vcc, v10, v5, vcc
	v_lshlrev_b64 v[4:5], 1, v[6:7]
	v_mov_b32_e32 v6, s17
	v_add_co_u32_e32 v77, vcc, s16, v4
	v_addc_co_u32_e32 v78, vcc, v6, v5, vcc
	v_mov_b32_e32 v6, s19
	v_add_co_u32_e32 v79, vcc, s18, v4
	v_lshlrev_b64 v[2:3], 1, v[2:3]
	v_addc_co_u32_e32 v80, vcc, v6, v5, vcc
	s_load_dword s0, s[4:5], 0x44
	v_mov_b32_e32 v4, s17
	v_add_co_u32_e32 v81, vcc, s16, v2
	v_addc_co_u32_e32 v82, vcc, v4, v3, vcc
	v_mov_b32_e32 v4, s19
	v_add_co_u32_e32 v83, vcc, s18, v2
	v_mov_b32_e32 v2, 0
	v_mul_lo_u32 v15, s14, v15
	v_mul_lo_u32 v13, s14, v13
	;; [unrolled: 1-line block ×3, first 2 shown]
	v_addc_co_u32_e32 v84, vcc, v4, v3, vcc
	v_add_u32_e32 v3, s7, v0
	v_mov_b32_e32 v4, v2
	s_waitcnt lgkmcnt(0)
	s_lshl_b32 s7, s0, 3
	v_lshlrev_b64 v[47:48], 1, v[3:4]
	v_mbcnt_lo_u32_b32 v3, -1, 0
	s_mul_i32 s0, s15, s7
	s_mul_hi_u32 s1, s14, s7
	v_mbcnt_hi_u32_b32 v3, -1, v3
	s_add_i32 s1, s1, s0
	s_mul_i32 s0, s14, s7
	v_lshlrev_b32_e32 v3, 2, v3
	v_add3_u32 v32, v18, v32, v15
	v_add3_u32 v34, v18, v34, v15
	;; [unrolled: 1-line block ×6, first 2 shown]
	s_lshl_b64 s[10:11], s[0:1], 1
	s_mov_b64 s[16:17], 7
	v_and_b32_e32 v85, 0x100, v3
	s_mov_b64 s[18:19], s[24:25]
	v_mov_b32_e32 v86, v2
	v_mov_b32_e32 v88, 0
	;; [unrolled: 1-line block ×3, first 2 shown]
.LBB109_53:                             ; =>This Inner Loop Header: Depth=1
	s_add_u32 s0, s24, s16
	v_mov_b32_e32 v3, s12
	s_addc_u32 s1, 0, s17
	v_mov_b32_e32 v4, s13
	v_cmp_ge_i64_e32 vcc, s[0:1], v[3:4]
	v_add_co_u32_e64 v49, s[0:1], s24, v51
	v_addc_co_u32_e64 v50, s[0:1], 0, v86, s[0:1]
	s_mov_b64 s[0:1], -1
                                        ; implicit-def: $vgpr56
                                        ; implicit-def: $vgpr3
	s_cbranch_vccz .LBB109_75
; %bb.54:                               ;   in Loop: Header=BB109_53 Depth=1
	s_load_dword s0, s[2:3], 0xc
	v_mov_b32_e32 v56, 0
	v_mov_b32_e32 v89, 0
	s_waitcnt lgkmcnt(0)
	s_and_b32 s0, s0, 0xffff
	v_mad_u32_u24 v3, v1, s0, v0
	v_and_b32_e32 v3, 63, v3
	v_cmp_gt_u32_e32 vcc, 8, v3
	s_and_saveexec_b64 s[0:1], vcc
	s_cbranch_execz .LBB109_58
; %bb.55:                               ;   in Loop: Header=BB109_53 Depth=1
	v_add_co_u32_e32 v3, vcc, v49, v3
	v_addc_co_u32_e32 v4, vcc, 0, v50, vcc
	v_cmp_gt_i64_e32 vcc, s[12:13], v[3:4]
	v_mov_b32_e32 v89, 0
	v_mov_b32_e32 v56, 0
	s_and_saveexec_b64 s[26:27], vcc
	s_cbranch_execz .LBB109_57
; %bb.56:                               ;   in Loop: Header=BB109_53 Depth=1
	v_lshlrev_b64 v[3:4], 2, v[3:4]
	v_mov_b32_e32 v6, s23
	v_add_co_u32_e32 v5, vcc, s22, v3
	v_addc_co_u32_e32 v6, vcc, v6, v4, vcc
	v_mov_b32_e32 v7, s21
	v_add_co_u32_e32 v3, vcc, s20, v3
	v_addc_co_u32_e32 v4, vcc, v7, v4, vcc
	global_load_dword v89, v[3:4], off
	global_load_dword v56, v[5:6], off
.LBB109_57:                             ;   in Loop: Header=BB109_53 Depth=1
	s_or_b64 exec, exec, s[26:27]
.LBB109_58:                             ;   in Loop: Header=BB109_53 Depth=1
	s_or_b64 exec, exec, s[0:1]
	v_mov_b32_e32 v9, v2
	v_mov_b32_e32 v3, v2
	;; [unrolled: 1-line block ×8, first 2 shown]
	v_cmp_gt_i64_e32 vcc, s[12:13], v[49:50]
	v_mov_b32_e32 v17, v8
	v_mov_b32_e32 v16, v7
	;; [unrolled: 1-line block ×15, first 2 shown]
	s_and_saveexec_b64 s[0:1], vcc
	s_cbranch_execz .LBB109_60
; %bb.59:                               ;   in Loop: Header=BB109_53 Depth=1
	v_add_co_u32_e32 v3, vcc, v52, v47
	v_addc_co_u32_e32 v4, vcc, v53, v48, vcc
	global_load_ushort v11, v[3:4], off
	v_add_co_u32_e32 v3, vcc, v54, v47
	v_addc_co_u32_e32 v4, vcc, v55, v48, vcc
	global_load_ushort v18, v[3:4], off
	v_mov_b32_e32 v4, v2
	v_mov_b32_e32 v5, v2
	;; [unrolled: 1-line block ×13, first 2 shown]
	s_waitcnt vmcnt(1)
	v_lshlrev_b32_e32 v3, 16, v11
	s_waitcnt vmcnt(0)
	v_lshlrev_b32_e32 v11, 16, v18
	v_mov_b32_e32 v18, v2
.LBB109_60:                             ;   in Loop: Header=BB109_53 Depth=1
	s_or_b64 exec, exec, s[0:1]
	v_add_co_u32_e32 v90, vcc, 1, v49
	v_addc_co_u32_e32 v91, vcc, 0, v50, vcc
	v_cmp_gt_i64_e32 vcc, s[12:13], v[90:91]
	s_and_saveexec_b64 s[0:1], vcc
	s_cbranch_execz .LBB109_62
; %bb.61:                               ;   in Loop: Header=BB109_53 Depth=1
	v_add_co_u32_e32 v90, vcc, v81, v47
	v_addc_co_u32_e32 v91, vcc, v82, v48, vcc
	global_load_ushort v4, v[90:91], off
	v_add_co_u32_e32 v90, vcc, v83, v47
	v_addc_co_u32_e32 v91, vcc, v84, v48, vcc
	global_load_ushort v12, v[90:91], off
	s_waitcnt vmcnt(1)
	v_lshlrev_b32_e32 v4, 16, v4
	s_waitcnt vmcnt(0)
	v_lshlrev_b32_e32 v12, 16, v12
.LBB109_62:                             ;   in Loop: Header=BB109_53 Depth=1
	s_or_b64 exec, exec, s[0:1]
	v_add_co_u32_e32 v90, vcc, 2, v49
	v_addc_co_u32_e32 v91, vcc, 0, v50, vcc
	v_cmp_gt_i64_e32 vcc, s[12:13], v[90:91]
	s_and_saveexec_b64 s[0:1], vcc
	s_cbranch_execz .LBB109_64
; %bb.63:                               ;   in Loop: Header=BB109_53 Depth=1
	v_add_co_u32_e32 v90, vcc, v77, v47
	v_addc_co_u32_e32 v91, vcc, v78, v48, vcc
	global_load_ushort v5, v[90:91], off
	v_add_co_u32_e32 v90, vcc, v79, v47
	v_addc_co_u32_e32 v91, vcc, v80, v48, vcc
	global_load_ushort v13, v[90:91], off
	s_waitcnt vmcnt(1)
	v_lshlrev_b32_e32 v5, 16, v5
	s_waitcnt vmcnt(0)
	v_lshlrev_b32_e32 v13, 16, v13
.LBB109_64:                             ;   in Loop: Header=BB109_53 Depth=1
	;; [unrolled: 18-line block ×7, first 2 shown]
	s_or_b64 exec, exec, s[0:1]
	s_waitcnt vmcnt(1)
	ds_bpermute_b32 v90, v85, v89
	ds_bpermute_b32 v93, v85, v89 offset:4
	s_waitcnt vmcnt(0)
	ds_bpermute_b32 v91, v85, v56
	ds_bpermute_b32 v94, v85, v56 offset:4
	v_add_f32_e32 v92, v88, v3
	s_waitcnt lgkmcnt(3)
	v_sub_f32_e32 v11, v11, v90
	v_mul_f32_e32 v3, v3, v11
	s_waitcnt lgkmcnt(2)
	v_sub_f32_e32 v11, v12, v93
	ds_bpermute_b32 v12, v85, v89 offset:8
	s_waitcnt lgkmcnt(2)
	v_fma_f32 v3, v3, v91, v87
	v_mul_f32_e32 v11, v4, v11
	s_waitcnt lgkmcnt(1)
	v_fmac_f32_e32 v3, v11, v94
	ds_bpermute_b32 v11, v85, v56 offset:8
	s_waitcnt lgkmcnt(1)
	v_sub_f32_e32 v12, v13, v12
	ds_bpermute_b32 v13, v85, v89 offset:12
	v_mul_f32_e32 v12, v5, v12
	v_add_f32_e32 v4, v4, v92
	s_waitcnt lgkmcnt(1)
	v_fmac_f32_e32 v3, v12, v11
	ds_bpermute_b32 v11, v85, v56 offset:12
	v_add_f32_e32 v4, v5, v4
	s_waitcnt lgkmcnt(1)
	v_sub_f32_e32 v5, v14, v13
	ds_bpermute_b32 v12, v85, v89 offset:16
	v_mul_f32_e32 v5, v6, v5
	s_waitcnt lgkmcnt(1)
	v_fmac_f32_e32 v3, v5, v11
	ds_bpermute_b32 v5, v85, v56 offset:16
	v_add_f32_e32 v4, v6, v4
	s_waitcnt lgkmcnt(1)
	v_sub_f32_e32 v6, v15, v12
	ds_bpermute_b32 v11, v85, v89 offset:20
	v_mul_f32_e32 v6, v7, v6
	s_waitcnt lgkmcnt(1)
	v_fmac_f32_e32 v3, v6, v5
	ds_bpermute_b32 v5, v85, v56 offset:20
	v_add_f32_e32 v4, v7, v4
	ds_bpermute_b32 v7, v85, v89 offset:24
	s_waitcnt lgkmcnt(2)
	v_sub_f32_e32 v6, v16, v11
	v_mul_f32_e32 v6, v8, v6
	s_waitcnt lgkmcnt(1)
	v_fmac_f32_e32 v3, v6, v5
	ds_bpermute_b32 v5, v85, v56 offset:24
	s_waitcnt lgkmcnt(1)
	v_sub_f32_e32 v6, v17, v7
	ds_bpermute_b32 v7, v85, v89 offset:28
	v_add_f32_e32 v4, v8, v4
	ds_bpermute_b32 v8, v85, v56 offset:28
	v_mul_f32_e32 v6, v9, v6
	s_waitcnt lgkmcnt(2)
	v_fmac_f32_e32 v3, v6, v5
	s_waitcnt lgkmcnt(1)
	v_sub_f32_e32 v5, v18, v7
	v_add_f32_e32 v4, v9, v4
	v_mul_f32_e32 v5, v10, v5
	s_waitcnt lgkmcnt(0)
	v_fmac_f32_e32 v3, v5, v8
	v_add_f32_e32 v56, v10, v4
	s_mov_b64 s[0:1], 0
.LBB109_75:                             ;   in Loop: Header=BB109_53 Depth=1
	s_and_b64 vcc, exec, s[0:1]
	s_cbranch_vccz .LBB109_81
; %bb.76:                               ;   in Loop: Header=BB109_53 Depth=1
	s_load_dword s0, s[2:3], 0x0
	v_mov_b32_e32 v5, 0
	v_mov_b32_e32 v6, 0
	s_waitcnt lgkmcnt(0)
	s_cmp_lt_u32 s6, s0
	s_cselect_b32 s0, 12, 18
	s_add_u32 s0, s2, s0
	s_addc_u32 s1, s3, 0
	global_load_ushort v3, v2, s[0:1]
	s_waitcnt vmcnt(0)
	v_mad_u32_u24 v3, v1, v3, v0
	v_and_b32_e32 v3, 63, v3
	v_cmp_gt_u32_e32 vcc, 8, v3
	s_and_saveexec_b64 s[0:1], vcc
	s_cbranch_execz .LBB109_80
; %bb.77:                               ;   in Loop: Header=BB109_53 Depth=1
	v_add_co_u32_e32 v3, vcc, v49, v3
	v_addc_co_u32_e32 v4, vcc, 0, v50, vcc
	v_cmp_gt_i64_e32 vcc, s[12:13], v[3:4]
	v_mov_b32_e32 v6, 0
	v_mov_b32_e32 v5, 0
	s_and_saveexec_b64 s[26:27], vcc
	s_cbranch_execz .LBB109_79
; %bb.78:                               ;   in Loop: Header=BB109_53 Depth=1
	v_lshlrev_b64 v[3:4], 2, v[3:4]
	v_mov_b32_e32 v5, s23
	v_add_co_u32_e32 v7, vcc, s22, v3
	v_addc_co_u32_e32 v8, vcc, v5, v4, vcc
	v_mov_b32_e32 v5, s21
	v_add_co_u32_e32 v3, vcc, s20, v3
	v_addc_co_u32_e32 v4, vcc, v5, v4, vcc
	global_load_dword v6, v[3:4], off
	global_load_dword v5, v[7:8], off
.LBB109_79:                             ;   in Loop: Header=BB109_53 Depth=1
	s_or_b64 exec, exec, s[26:27]
.LBB109_80:                             ;   in Loop: Header=BB109_53 Depth=1
	s_or_b64 exec, exec, s[0:1]
	v_add_co_u32_e32 v3, vcc, v52, v47
	v_addc_co_u32_e32 v4, vcc, v53, v48, vcc
	global_load_ushort v7, v[3:4], off
	v_add_co_u32_e32 v3, vcc, v54, v47
	v_addc_co_u32_e32 v4, vcc, v55, v48, vcc
	global_load_ushort v8, v[3:4], off
	;; [unrolled: 3-line block ×16, first 2 shown]
	s_waitcnt vmcnt(16)
	ds_bpermute_b32 v89, v85, v5
	s_waitcnt vmcnt(15)
	v_lshlrev_b32_e32 v4, 16, v7
	s_waitcnt vmcnt(14)
	v_lshlrev_b32_e32 v7, 16, v8
	;; [unrolled: 2-line block ×13, first 2 shown]
	ds_bpermute_b32 v49, v85, v6
	s_waitcnt vmcnt(2)
	v_lshlrev_b32_e32 v50, 16, v50
	s_waitcnt lgkmcnt(0)
	v_sub_f32_e32 v7, v7, v49
	ds_bpermute_b32 v49, v85, v6 offset:4
	v_mul_f32_e32 v7, v7, v4
	v_fmac_f32_e32 v87, v7, v89
	ds_bpermute_b32 v7, v85, v5 offset:4
	v_add_f32_e32 v4, v88, v4
	s_waitcnt lgkmcnt(1)
	v_sub_f32_e32 v9, v9, v49
	ds_bpermute_b32 v49, v85, v6 offset:8
	v_mul_f32_e32 v9, v9, v8
	s_waitcnt lgkmcnt(1)
	v_fmac_f32_e32 v87, v9, v7
	ds_bpermute_b32 v7, v85, v5 offset:8
	v_add_f32_e32 v4, v4, v8
	s_waitcnt lgkmcnt(1)
	v_sub_f32_e32 v8, v11, v49
	ds_bpermute_b32 v9, v85, v6 offset:12
	v_mul_f32_e32 v8, v8, v10
	s_waitcnt lgkmcnt(1)
	;; [unrolled: 8-line block ×3, first 2 shown]
	v_fmac_f32_e32 v87, v8, v7
	ds_bpermute_b32 v7, v85, v5 offset:16
	s_waitcnt vmcnt(0)
	v_lshlrev_b32_e32 v3, 16, v3
	s_waitcnt lgkmcnt(1)
	v_sub_f32_e32 v8, v15, v9
	ds_bpermute_b32 v9, v85, v6 offset:20
	v_mul_f32_e32 v8, v8, v14
	s_waitcnt lgkmcnt(1)
	v_fmac_f32_e32 v87, v8, v7
	ds_bpermute_b32 v7, v85, v5 offset:20
	v_add_f32_e32 v4, v4, v12
	s_waitcnt lgkmcnt(1)
	v_sub_f32_e32 v8, v17, v9
	ds_bpermute_b32 v9, v85, v6 offset:24
	v_mul_f32_e32 v8, v8, v16
	ds_bpermute_b32 v6, v85, v6 offset:28
	s_waitcnt lgkmcnt(2)
	v_fmac_f32_e32 v87, v8, v7
	ds_bpermute_b32 v7, v85, v5 offset:24
	ds_bpermute_b32 v5, v85, v5 offset:28
	s_waitcnt lgkmcnt(3)
	v_sub_f32_e32 v8, v50, v9
	v_lshlrev_b32_e32 v56, 16, v56
	v_add_f32_e32 v4, v4, v14
	v_mul_f32_e32 v8, v8, v18
	s_waitcnt lgkmcnt(2)
	v_sub_f32_e32 v3, v3, v6
	v_add_f32_e32 v4, v4, v16
	s_waitcnt lgkmcnt(1)
	v_fmac_f32_e32 v87, v8, v7
	v_mul_f32_e32 v3, v3, v56
	v_add_f32_e32 v4, v4, v18
	s_waitcnt lgkmcnt(0)
	v_fmac_f32_e32 v87, v3, v5
	v_add_f32_e32 v56, v4, v56
	v_mov_b32_e32 v3, v87
.LBB109_81:                             ;   in Loop: Header=BB109_53 Depth=1
	v_mov_b32_e32 v4, s11
	v_add_co_u32_e32 v52, vcc, s10, v52
	v_addc_co_u32_e32 v53, vcc, v53, v4, vcc
	v_add_co_u32_e32 v54, vcc, s10, v54
	v_addc_co_u32_e32 v55, vcc, v55, v4, vcc
	;; [unrolled: 2-line block ×30, first 2 shown]
	v_add_co_u32_e32 v83, vcc, s10, v83
	s_add_u32 s18, s18, s7
	v_addc_co_u32_e32 v84, vcc, v84, v4, vcc
	v_mov_b32_e32 v4, s12
	s_addc_u32 s19, s19, 0
	v_mov_b32_e32 v5, s13
	v_cmp_ge_i64_e32 vcc, s[18:19], v[4:5]
	s_add_u32 s16, s16, s7
	s_addc_u32 s17, 0, s17
	s_cbranch_vccnz .LBB109_83
; %bb.82:                               ;   in Loop: Header=BB109_53 Depth=1
	v_mov_b32_e32 v88, v56
	v_mov_b32_e32 v87, v3
	s_branch .LBB109_53
.LBB109_83:
	s_mov_b32 s7, 0
	s_lshl_b64 s[0:1], s[6:7], 5
	v_or_b32_e32 v6, s0, v0
	v_mov_b32_e32 v7, s1
	v_cmp_gt_i64_e32 vcc, s[14:15], v[6:7]
	s_and_saveexec_b64 s[0:1], vcc
	s_cbranch_execz .LBB109_88
; %bb.84:
	s_load_dword s0, s[4:5], 0x4c
	v_mov_b32_e32 v2, 0
	v_mov_b32_e32 v0, s8
	s_waitcnt lgkmcnt(0)
	s_lshr_b32 s0, s0, 16
	v_mad_u64_u32 v[4:5], s[0:1], s0, v0, v[1:2]
	s_load_dwordx4 s[0:3], s[4:5], 0x30
	v_lshlrev_b64 v[0:1], 1, v[6:7]
	v_mul_lo_u32 v2, v5, s14
	v_mul_lo_u32 v5, v4, s15
	s_waitcnt lgkmcnt(0)
	s_cmp_eq_u64 s[0:1], 0
	s_cbranch_scc1 .LBB109_86
; %bb.85:
	v_bfe_u32 v6, v3, 16, 1
	s_movk_i32 s4, 0x7fff
	v_add3_u32 v8, v3, v6, s4
	v_mad_u64_u32 v[6:7], s[4:5], v4, s14, 0
	v_cmp_o_f32_e32 vcc, v3, v3
	v_mov_b32_e32 v3, 0x7fc0
	v_add3_u32 v7, v7, v5, v2
	v_lshlrev_b64 v[6:7], 1, v[6:7]
	v_cndmask_b32_sdwa v3, v3, v8, vcc dst_sel:DWORD dst_unused:UNUSED_PAD src0_sel:DWORD src1_sel:WORD_1
	v_mov_b32_e32 v8, s1
	v_add_co_u32_e32 v6, vcc, s0, v6
	v_addc_co_u32_e32 v7, vcc, v8, v7, vcc
	v_add_co_u32_e32 v6, vcc, v6, v0
	v_addc_co_u32_e32 v7, vcc, v7, v1, vcc
	global_store_short v[6:7], v3, off
.LBB109_86:
	s_cmp_eq_u64 s[2:3], 0
	s_cbranch_scc1 .LBB109_88
; %bb.87:
	v_bfe_u32 v3, v56, 16, 1
	s_movk_i32 s0, 0x7fff
	v_add3_u32 v6, v56, v3, s0
	v_mad_u64_u32 v[3:4], s[0:1], v4, s14, 0
	v_cmp_o_f32_e32 vcc, v56, v56
	v_mov_b32_e32 v7, 0x7fc0
	v_add3_u32 v4, v4, v5, v2
	v_lshlrev_b64 v[2:3], 1, v[3:4]
	v_cndmask_b32_sdwa v6, v7, v6, vcc dst_sel:DWORD dst_unused:UNUSED_PAD src0_sel:DWORD src1_sel:WORD_1
	v_mov_b32_e32 v4, s3
	v_add_co_u32_e32 v2, vcc, s2, v2
	v_addc_co_u32_e32 v3, vcc, v4, v3, vcc
	v_add_co_u32_e32 v0, vcc, v2, v0
	v_addc_co_u32_e32 v1, vcc, v3, v1, vcc
	global_store_short v[0:1], v6, off
.LBB109_88:
	s_endpgm
	.section	.rodata,"a",@progbits
	.p2align	6, 0x0
	.amdhsa_kernel _ZN2at6native12_GLOBAL__N_135GammaBetaBackwardCUDAKernelTemplateIN3c108BFloat16EfLj32ELj1ELj8ELb1ELb0ELb0EEEvllPKT_S7_PKT0_SA_PS5_SB_
		.amdhsa_group_segment_fixed_size 0
		.amdhsa_private_segment_fixed_size 0
		.amdhsa_kernarg_size 320
		.amdhsa_user_sgpr_count 6
		.amdhsa_user_sgpr_private_segment_buffer 1
		.amdhsa_user_sgpr_dispatch_ptr 0
		.amdhsa_user_sgpr_queue_ptr 0
		.amdhsa_user_sgpr_kernarg_segment_ptr 1
		.amdhsa_user_sgpr_dispatch_id 0
		.amdhsa_user_sgpr_flat_scratch_init 0
		.amdhsa_user_sgpr_private_segment_size 0
		.amdhsa_uses_dynamic_stack 0
		.amdhsa_system_sgpr_private_segment_wavefront_offset 0
		.amdhsa_system_sgpr_workgroup_id_x 1
		.amdhsa_system_sgpr_workgroup_id_y 1
		.amdhsa_system_sgpr_workgroup_id_z 0
		.amdhsa_system_sgpr_workgroup_info 0
		.amdhsa_system_vgpr_workitem_id 1
		.amdhsa_next_free_vgpr 95
		.amdhsa_next_free_sgpr 38
		.amdhsa_reserve_vcc 1
		.amdhsa_reserve_flat_scratch 0
		.amdhsa_float_round_mode_32 0
		.amdhsa_float_round_mode_16_64 0
		.amdhsa_float_denorm_mode_32 3
		.amdhsa_float_denorm_mode_16_64 3
		.amdhsa_dx10_clamp 1
		.amdhsa_ieee_mode 1
		.amdhsa_fp16_overflow 0
		.amdhsa_exception_fp_ieee_invalid_op 0
		.amdhsa_exception_fp_denorm_src 0
		.amdhsa_exception_fp_ieee_div_zero 0
		.amdhsa_exception_fp_ieee_overflow 0
		.amdhsa_exception_fp_ieee_underflow 0
		.amdhsa_exception_fp_ieee_inexact 0
		.amdhsa_exception_int_div_zero 0
	.end_amdhsa_kernel
	.section	.text._ZN2at6native12_GLOBAL__N_135GammaBetaBackwardCUDAKernelTemplateIN3c108BFloat16EfLj32ELj1ELj8ELb1ELb0ELb0EEEvllPKT_S7_PKT0_SA_PS5_SB_,"axG",@progbits,_ZN2at6native12_GLOBAL__N_135GammaBetaBackwardCUDAKernelTemplateIN3c108BFloat16EfLj32ELj1ELj8ELb1ELb0ELb0EEEvllPKT_S7_PKT0_SA_PS5_SB_,comdat
.Lfunc_end109:
	.size	_ZN2at6native12_GLOBAL__N_135GammaBetaBackwardCUDAKernelTemplateIN3c108BFloat16EfLj32ELj1ELj8ELb1ELb0ELb0EEEvllPKT_S7_PKT0_SA_PS5_SB_, .Lfunc_end109-_ZN2at6native12_GLOBAL__N_135GammaBetaBackwardCUDAKernelTemplateIN3c108BFloat16EfLj32ELj1ELj8ELb1ELb0ELb0EEEvllPKT_S7_PKT0_SA_PS5_SB_
                                        ; -- End function
	.set _ZN2at6native12_GLOBAL__N_135GammaBetaBackwardCUDAKernelTemplateIN3c108BFloat16EfLj32ELj1ELj8ELb1ELb0ELb0EEEvllPKT_S7_PKT0_SA_PS5_SB_.num_vgpr, 95
	.set _ZN2at6native12_GLOBAL__N_135GammaBetaBackwardCUDAKernelTemplateIN3c108BFloat16EfLj32ELj1ELj8ELb1ELb0ELb0EEEvllPKT_S7_PKT0_SA_PS5_SB_.num_agpr, 0
	.set _ZN2at6native12_GLOBAL__N_135GammaBetaBackwardCUDAKernelTemplateIN3c108BFloat16EfLj32ELj1ELj8ELb1ELb0ELb0EEEvllPKT_S7_PKT0_SA_PS5_SB_.numbered_sgpr, 38
	.set _ZN2at6native12_GLOBAL__N_135GammaBetaBackwardCUDAKernelTemplateIN3c108BFloat16EfLj32ELj1ELj8ELb1ELb0ELb0EEEvllPKT_S7_PKT0_SA_PS5_SB_.num_named_barrier, 0
	.set _ZN2at6native12_GLOBAL__N_135GammaBetaBackwardCUDAKernelTemplateIN3c108BFloat16EfLj32ELj1ELj8ELb1ELb0ELb0EEEvllPKT_S7_PKT0_SA_PS5_SB_.private_seg_size, 0
	.set _ZN2at6native12_GLOBAL__N_135GammaBetaBackwardCUDAKernelTemplateIN3c108BFloat16EfLj32ELj1ELj8ELb1ELb0ELb0EEEvllPKT_S7_PKT0_SA_PS5_SB_.uses_vcc, 1
	.set _ZN2at6native12_GLOBAL__N_135GammaBetaBackwardCUDAKernelTemplateIN3c108BFloat16EfLj32ELj1ELj8ELb1ELb0ELb0EEEvllPKT_S7_PKT0_SA_PS5_SB_.uses_flat_scratch, 0
	.set _ZN2at6native12_GLOBAL__N_135GammaBetaBackwardCUDAKernelTemplateIN3c108BFloat16EfLj32ELj1ELj8ELb1ELb0ELb0EEEvllPKT_S7_PKT0_SA_PS5_SB_.has_dyn_sized_stack, 0
	.set _ZN2at6native12_GLOBAL__N_135GammaBetaBackwardCUDAKernelTemplateIN3c108BFloat16EfLj32ELj1ELj8ELb1ELb0ELb0EEEvllPKT_S7_PKT0_SA_PS5_SB_.has_recursion, 0
	.set _ZN2at6native12_GLOBAL__N_135GammaBetaBackwardCUDAKernelTemplateIN3c108BFloat16EfLj32ELj1ELj8ELb1ELb0ELb0EEEvllPKT_S7_PKT0_SA_PS5_SB_.has_indirect_call, 0
	.section	.AMDGPU.csdata,"",@progbits
; Kernel info:
; codeLenInByte = 7188
; TotalNumSgprs: 42
; NumVgprs: 95
; ScratchSize: 0
; MemoryBound: 0
; FloatMode: 240
; IeeeMode: 1
; LDSByteSize: 0 bytes/workgroup (compile time only)
; SGPRBlocks: 5
; VGPRBlocks: 23
; NumSGPRsForWavesPerEU: 42
; NumVGPRsForWavesPerEU: 95
; Occupancy: 2
; WaveLimiterHint : 0
; COMPUTE_PGM_RSRC2:SCRATCH_EN: 0
; COMPUTE_PGM_RSRC2:USER_SGPR: 6
; COMPUTE_PGM_RSRC2:TRAP_HANDLER: 0
; COMPUTE_PGM_RSRC2:TGID_X_EN: 1
; COMPUTE_PGM_RSRC2:TGID_Y_EN: 1
; COMPUTE_PGM_RSRC2:TGID_Z_EN: 0
; COMPUTE_PGM_RSRC2:TIDIG_COMP_CNT: 1
	.section	.text._ZN2at6native12_GLOBAL__N_135GammaBetaBackwardCUDAKernelTemplateIN3c108BFloat16EfLj32ELj8ELj64ELb0ELb1ELb0EEEvllPKT_S7_PKT0_SA_PS5_SB_,"axG",@progbits,_ZN2at6native12_GLOBAL__N_135GammaBetaBackwardCUDAKernelTemplateIN3c108BFloat16EfLj32ELj8ELj64ELb0ELb1ELb0EEEvllPKT_S7_PKT0_SA_PS5_SB_,comdat
	.globl	_ZN2at6native12_GLOBAL__N_135GammaBetaBackwardCUDAKernelTemplateIN3c108BFloat16EfLj32ELj8ELj64ELb0ELb1ELb0EEEvllPKT_S7_PKT0_SA_PS5_SB_ ; -- Begin function _ZN2at6native12_GLOBAL__N_135GammaBetaBackwardCUDAKernelTemplateIN3c108BFloat16EfLj32ELj8ELj64ELb0ELb1ELb0EEEvllPKT_S7_PKT0_SA_PS5_SB_
	.p2align	8
	.type	_ZN2at6native12_GLOBAL__N_135GammaBetaBackwardCUDAKernelTemplateIN3c108BFloat16EfLj32ELj8ELj64ELb0ELb1ELb0EEEvllPKT_S7_PKT0_SA_PS5_SB_,@function
_ZN2at6native12_GLOBAL__N_135GammaBetaBackwardCUDAKernelTemplateIN3c108BFloat16EfLj32ELj8ELj64ELb0ELb1ELb0EEEvllPKT_S7_PKT0_SA_PS5_SB_: ; @_ZN2at6native12_GLOBAL__N_135GammaBetaBackwardCUDAKernelTemplateIN3c108BFloat16EfLj32ELj8ELj64ELb0ELb1ELb0EEEvllPKT_S7_PKT0_SA_PS5_SB_
; %bb.0:
	s_load_dwordx4 s[20:23], s[4:5], 0x0
	s_lshl_b32 s24, s7, 6
	s_mov_b32 s25, 0
	v_mov_b32_e32 v2, s24
	v_mov_b32_e32 v3, s25
	s_waitcnt lgkmcnt(0)
	v_cmp_gt_i64_e32 vcc, s[20:21], v[2:3]
	s_cbranch_vccnz .LBB110_2
; %bb.1:
	s_mov_b64 s[0:1], 0
	s_branch .LBB110_3
.LBB110_2:
	s_mov_b64 s[0:1], -1
.LBB110_3:
	s_load_dwordx4 s[16:19], s[4:5], 0x30
	v_mov_b32_e32 v16, 0
	s_andn2_b64 vcc, exec, s[0:1]
	v_mbcnt_lo_u32_b32 v7, -1, 0
	v_mov_b32_e32 v6, 0
	s_cbranch_vccnz .LBB110_10
; %bb.4:
	s_load_dword s0, s[4:5], 0x4c
	s_load_dword s2, s[4:5], 0x44
	s_load_dwordx8 s[8:15], s[4:5], 0x10
	v_lshlrev_b32_e32 v2, 3, v1
	v_mbcnt_hi_u32_b32 v4, -1, v7
	v_lshlrev_b32_e32 v4, 2, v4
	v_add_co_u32_e32 v2, vcc, s24, v2
	v_and_b32_e32 v8, 0x100, v4
	s_waitcnt lgkmcnt(0)
	s_lshl_b32 s4, s2, 6
	v_addc_co_u32_e64 v4, s[2:3], 0, 0, vcc
	v_mul_lo_u32 v18, s23, v2
	v_mul_lo_u32 v19, s22, v4
	v_mad_u64_u32 v[16:17], s[2:3], s22, v2, 0
	s_and_b32 s0, s0, 0xffff
	v_mad_u32_u24 v3, v1, s0, v0
	v_and_b32_e32 v3, 63, v3
	v_mov_b32_e32 v6, 0
	v_lshl_add_u32 v5, s6, 5, v0
	v_add_co_u32_e32 v2, vcc, v2, v3
	v_add3_u32 v17, v17, v19, v18
	v_cmp_gt_u32_e64 s[0:1], 8, v3
	v_addc_co_u32_e32 v3, vcc, 0, v4, vcc
	v_lshlrev_b64 v[17:18], 1, v[16:17]
	v_lshlrev_b64 v[4:5], 1, v[5:6]
	s_mul_i32 s2, s23, s4
	v_add_co_u32_e32 v17, vcc, v17, v4
	s_mul_hi_u32 s3, s22, s4
	s_mov_b32 s5, 0
	v_addc_co_u32_e32 v18, vcc, v18, v5, vcc
	v_lshlrev_b64 v[4:5], 2, v[2:3]
	s_add_i32 s3, s3, s2
	s_mul_i32 s2, s22, s4
	v_or_b32_e32 v9, 4, v8
	v_or_b32_e32 v10, 8, v8
	;; [unrolled: 1-line block ×7, first 2 shown]
	s_lshl_b64 s[26:27], s[4:5], 2
	s_lshl_b64 s[28:29], s[2:3], 1
	;; [unrolled: 1-line block ×3, first 2 shown]
	v_mov_b32_e32 v16, v6
	s_branch .LBB110_7
.LBB110_5:                              ;   in Loop: Header=BB110_7 Depth=1
	s_or_b64 exec, exec, s[30:31]
.LBB110_6:                              ;   in Loop: Header=BB110_7 Depth=1
	s_or_b64 exec, exec, s[2:3]
	v_mov_b32_e32 v22, s11
	v_add_co_u32_e32 v21, vcc, s10, v17
	v_addc_co_u32_e32 v22, vcc, v22, v18, vcc
	global_load_ushort v28, v[21:22], off
	v_mov_b32_e32 v27, s23
	v_add_co_u32_e32 v23, vcc, s22, v21
	v_addc_co_u32_e32 v24, vcc, v22, v27, vcc
	v_mov_b32_e32 v22, s9
	v_add_co_u32_e32 v21, vcc, s8, v17
	v_addc_co_u32_e32 v22, vcc, v22, v18, vcc
	v_add_co_u32_e32 v25, vcc, s22, v21
	global_load_ushort v21, v[21:22], off
	v_addc_co_u32_e32 v26, vcc, v22, v27, vcc
	s_add_u32 s24, s24, s4
	s_addc_u32 s25, s25, 0
	v_add_co_u32_e64 v17, s[2:3], s28, v17
	s_waitcnt vmcnt(1)
	v_lshlrev_b32_e32 v22, 16, v28
	ds_bpermute_b32 v28, v8, v20
	s_waitcnt lgkmcnt(0)
	v_sub_f32_e32 v22, v22, v28
	global_load_ushort v28, v[23:24], off
	s_waitcnt vmcnt(1)
	v_lshlrev_b32_e32 v21, 16, v21
	v_add_f32_e32 v6, v6, v21
	v_mul_f32_e32 v21, v22, v21
	ds_bpermute_b32 v22, v8, v19
	s_waitcnt lgkmcnt(0)
	v_fmac_f32_e32 v16, v21, v22
	v_add_co_u32_e32 v21, vcc, s22, v23
	v_addc_co_u32_e32 v22, vcc, v24, v27, vcc
	global_load_ushort v29, v[21:22], off
	v_add_co_u32_e32 v23, vcc, s22, v25
	global_load_ushort v25, v[25:26], off
	v_addc_co_u32_e32 v24, vcc, v26, v27, vcc
	s_waitcnt vmcnt(2)
	v_lshlrev_b32_e32 v26, 16, v28
	ds_bpermute_b32 v28, v9, v20
	s_waitcnt lgkmcnt(0)
	v_sub_f32_e32 v26, v26, v28
	s_waitcnt vmcnt(0)
	v_lshlrev_b32_e32 v28, 16, v25
	v_mul_f32_e32 v25, v26, v28
	ds_bpermute_b32 v26, v9, v19
	v_add_f32_e32 v6, v6, v28
	s_waitcnt lgkmcnt(0)
	v_fmac_f32_e32 v16, v25, v26
	v_add_co_u32_e32 v25, vcc, s22, v21
	v_addc_co_u32_e32 v26, vcc, v22, v27, vcc
	v_add_co_u32_e32 v21, vcc, s22, v23
	global_load_ushort v23, v[23:24], off
	v_addc_co_u32_e32 v22, vcc, v24, v27, vcc
	v_lshlrev_b32_e32 v24, 16, v29
	ds_bpermute_b32 v29, v10, v20
	global_load_ushort v30, v[25:26], off
	s_waitcnt lgkmcnt(0)
	v_sub_f32_e32 v24, v24, v29
	s_waitcnt vmcnt(1)
	v_lshlrev_b32_e32 v29, 16, v23
	v_mul_f32_e32 v23, v24, v29
	ds_bpermute_b32 v24, v10, v19
	v_add_f32_e32 v6, v6, v29
	s_waitcnt lgkmcnt(0)
	v_fmac_f32_e32 v16, v23, v24
	v_add_co_u32_e32 v23, vcc, s22, v25
	v_addc_co_u32_e32 v24, vcc, v26, v27, vcc
	global_load_ushort v31, v[23:24], off
	v_add_co_u32_e32 v25, vcc, s22, v21
	global_load_ushort v21, v[21:22], off
	v_addc_co_u32_e32 v26, vcc, v22, v27, vcc
	s_waitcnt vmcnt(2)
	v_lshlrev_b32_e32 v22, 16, v30
	ds_bpermute_b32 v30, v11, v20
	s_waitcnt lgkmcnt(0)
	v_sub_f32_e32 v22, v22, v30
	s_waitcnt vmcnt(0)
	v_lshlrev_b32_e32 v30, 16, v21
	v_mul_f32_e32 v21, v22, v30
	ds_bpermute_b32 v22, v11, v19
	v_add_f32_e32 v6, v6, v30
	s_waitcnt lgkmcnt(0)
	v_fmac_f32_e32 v16, v21, v22
	v_add_co_u32_e32 v21, vcc, s22, v23
	v_addc_co_u32_e32 v22, vcc, v24, v27, vcc
	global_load_ushort v32, v[21:22], off
	v_add_co_u32_e32 v23, vcc, s22, v25
	global_load_ushort v25, v[25:26], off
	v_addc_co_u32_e32 v24, vcc, v26, v27, vcc
	v_lshlrev_b32_e32 v26, 16, v31
	ds_bpermute_b32 v31, v12, v20
	s_waitcnt lgkmcnt(0)
	v_sub_f32_e32 v26, v26, v31
	s_waitcnt vmcnt(0)
	v_lshlrev_b32_e32 v31, 16, v25
	v_mul_f32_e32 v25, v26, v31
	ds_bpermute_b32 v26, v12, v19
	v_add_f32_e32 v6, v6, v31
	s_waitcnt lgkmcnt(0)
	v_fmac_f32_e32 v16, v25, v26
	v_add_co_u32_e32 v25, vcc, s22, v21
	v_addc_co_u32_e32 v26, vcc, v22, v27, vcc
	v_add_co_u32_e32 v21, vcc, s22, v23
	global_load_ushort v23, v[23:24], off
	v_addc_co_u32_e32 v22, vcc, v24, v27, vcc
	v_lshlrev_b32_e32 v24, 16, v32
	ds_bpermute_b32 v32, v13, v20
	global_load_ushort v33, v[25:26], off
	s_waitcnt lgkmcnt(0)
	v_sub_f32_e32 v24, v24, v32
	s_waitcnt vmcnt(1)
	v_lshlrev_b32_e32 v32, 16, v23
	v_mul_f32_e32 v23, v24, v32
	ds_bpermute_b32 v24, v13, v19
	v_add_f32_e32 v6, v6, v32
	s_waitcnt lgkmcnt(0)
	v_fmac_f32_e32 v16, v23, v24
	v_add_co_u32_e32 v23, vcc, s22, v25
	v_addc_co_u32_e32 v24, vcc, v26, v27, vcc
	v_add_co_u32_e32 v25, vcc, s22, v21
	global_load_ushort v21, v[21:22], off
	v_addc_co_u32_e32 v26, vcc, v22, v27, vcc
	ds_bpermute_b32 v27, v14, v20
	s_waitcnt vmcnt(1)
	v_lshlrev_b32_e32 v22, 16, v33
	ds_bpermute_b32 v20, v15, v20
	v_add_co_u32_e32 v4, vcc, s26, v4
	s_waitcnt lgkmcnt(1)
	v_sub_f32_e32 v22, v22, v27
	ds_bpermute_b32 v27, v14, v19
	ds_bpermute_b32 v19, v15, v19
	s_waitcnt vmcnt(0)
	v_lshlrev_b32_e32 v21, 16, v21
	v_mul_f32_e32 v22, v22, v21
	s_waitcnt lgkmcnt(1)
	v_fmac_f32_e32 v16, v22, v27
	global_load_ushort v22, v[25:26], off
	global_load_ushort v27, v[23:24], off
	v_add_f32_e32 v6, v6, v21
	s_waitcnt vmcnt(1)
	v_lshlrev_b32_e32 v21, 16, v22
	s_waitcnt vmcnt(0)
	v_lshlrev_b32_e32 v22, 16, v27
	v_sub_f32_e32 v20, v22, v20
	v_mul_f32_e32 v20, v20, v21
	s_waitcnt lgkmcnt(0)
	v_fmac_f32_e32 v16, v20, v19
	v_mov_b32_e32 v19, s27
	v_addc_co_u32_e32 v5, vcc, v5, v19, vcc
	v_add_co_u32_e32 v2, vcc, s4, v2
	v_mov_b32_e32 v19, s20
	v_addc_co_u32_e32 v3, vcc, 0, v3, vcc
	v_mov_b32_e32 v20, s21
	v_cmp_lt_i64_e32 vcc, s[24:25], v[19:20]
	v_add_f32_e32 v6, v6, v21
	v_mov_b32_e32 v21, s29
	v_addc_co_u32_e64 v18, s[2:3], v18, v21, s[2:3]
	s_cbranch_vccz .LBB110_10
.LBB110_7:                              ; =>This Inner Loop Header: Depth=1
	v_mov_b32_e32 v19, 0
	v_mov_b32_e32 v20, 0
	s_and_saveexec_b64 s[2:3], s[0:1]
	s_cbranch_execz .LBB110_6
; %bb.8:                                ;   in Loop: Header=BB110_7 Depth=1
	v_cmp_gt_i64_e32 vcc, s[20:21], v[2:3]
	v_mov_b32_e32 v20, 0
	v_mov_b32_e32 v19, 0
	s_and_saveexec_b64 s[30:31], vcc
	s_cbranch_execz .LBB110_5
; %bb.9:                                ;   in Loop: Header=BB110_7 Depth=1
	v_mov_b32_e32 v19, s15
	v_add_co_u32_e32 v21, vcc, s14, v4
	v_addc_co_u32_e32 v22, vcc, v19, v5, vcc
	v_mov_b32_e32 v19, s13
	v_add_co_u32_e32 v23, vcc, s12, v4
	v_addc_co_u32_e32 v24, vcc, v19, v5, vcc
	global_load_dword v20, v[23:24], off
	global_load_dword v19, v[21:22], off
	s_branch .LBB110_5
.LBB110_10:
	v_mad_u32_u24 v2, v1, 33, v0
	v_sub_u32_e32 v4, v2, v1
	s_movk_i32 s0, 0x800
	v_lshl_add_u32 v3, v2, 2, 0
	v_cmp_gt_u32_e32 vcc, s0, v4
	ds_write_b32 v3, v16
	ds_write_b32 v3, v6 offset:1056
	s_waitcnt lgkmcnt(0)
	s_barrier
	s_and_saveexec_b64 s[0:1], vcc
	s_cbranch_execz .LBB110_74
; %bb.11:
	v_and_b32_e32 v1, 63, v4
	v_lshrrev_b32_e32 v2, 6, v4
	v_cmp_gt_u32_e64 s[0:1], 8, v1
	v_mul_u32_u24_e32 v3, 33, v1
                                        ; implicit-def: $vgpr1
                                        ; implicit-def: $vgpr6
	s_and_saveexec_b64 s[2:3], s[0:1]
	s_cbranch_execz .LBB110_13
; %bb.12:
	v_add_u32_e32 v1, v2, v3
	v_lshl_add_u32 v1, v1, 2, 0
	ds_read_b32 v6, v1
	ds_read_b32 v1, v1 offset:1056
.LBB110_13:
	s_or_b64 exec, exec, s[2:3]
	v_mbcnt_hi_u32_b32 v7, -1, v7
	v_and_b32_e32 v5, 64, v7
	v_add_u32_e32 v8, 64, v5
	v_xor_b32_e32 v5, 4, v7
	v_cmp_lt_i32_e32 vcc, v5, v8
	v_cndmask_b32_e32 v5, v7, v5, vcc
	v_lshlrev_b32_e32 v5, 2, v5
	s_waitcnt lgkmcnt(1)
	ds_bpermute_b32 v9, v5, v6
	s_waitcnt lgkmcnt(1)
	ds_bpermute_b32 v10, v5, v1
	v_cmp_eq_u32_e64 s[2:3], 0, v0
	s_mov_b32 s7, 0
	s_lshl_b64 s[4:5], s[6:7], 5
	s_waitcnt lgkmcnt(1)
	v_add_f32_e32 v9, v6, v9
	v_xor_b32_e32 v6, 2, v7
	v_cmp_lt_i32_e32 vcc, v6, v8
	v_cndmask_b32_e32 v6, v7, v6, vcc
	v_lshlrev_b32_e32 v6, 2, v6
	s_waitcnt lgkmcnt(0)
	v_add_f32_e32 v1, v1, v10
	ds_bpermute_b32 v10, v6, v9
	ds_bpermute_b32 v11, v6, v1
	s_cmp_lg_u64 s[16:17], 0
	s_cselect_b64 s[8:9], -1, 0
	s_cmp_lg_u64 s[18:19], 0
	s_waitcnt lgkmcnt(1)
	v_add_f32_e32 v0, v9, v10
	v_xor_b32_e32 v9, 1, v7
	v_cmp_lt_i32_e32 vcc, v9, v8
	v_cndmask_b32_e32 v7, v7, v9, vcc
	s_waitcnt lgkmcnt(0)
	v_add_f32_e32 v1, v1, v11
	v_lshlrev_b32_e32 v7, 2, v7
	ds_bpermute_b32 v8, v7, v0
	ds_bpermute_b32 v9, v7, v1
	s_cselect_b64 s[6:7], -1, 0
	s_waitcnt lgkmcnt(1)
	v_add_f32_e32 v8, v0, v8
	s_waitcnt lgkmcnt(0)
	v_add_f32_e32 v9, v1, v9
	s_and_saveexec_b64 s[10:11], s[2:3]
	s_cbranch_execz .LBB110_18
; %bb.14:
	v_mov_b32_e32 v1, s5
	v_or_b32_e32 v0, s4, v2
	v_lshlrev_b64 v[0:1], 1, v[0:1]
	s_andn2_b64 vcc, exec, s[8:9]
	s_cbranch_vccnz .LBB110_16
; %bb.15:
	v_bfe_u32 v10, v8, 16, 1
	s_movk_i32 s12, 0x7fff
	v_add3_u32 v10, v8, v10, s12
	v_cmp_o_f32_e32 vcc, v8, v8
	v_mov_b32_e32 v11, 0x7fc0
	v_cndmask_b32_sdwa v12, v11, v10, vcc dst_sel:DWORD dst_unused:UNUSED_PAD src0_sel:DWORD src1_sel:WORD_1
	v_mov_b32_e32 v11, s17
	v_add_co_u32_e32 v10, vcc, s16, v0
	v_addc_co_u32_e32 v11, vcc, v11, v1, vcc
	global_store_short v[10:11], v12, off
.LBB110_16:
	s_andn2_b64 vcc, exec, s[6:7]
	s_cbranch_vccnz .LBB110_18
; %bb.17:
	v_bfe_u32 v10, v9, 16, 1
	s_movk_i32 s12, 0x7fff
	v_add3_u32 v10, v9, v10, s12
	v_cmp_o_f32_e32 vcc, v9, v9
	v_mov_b32_e32 v11, 0x7fc0
	v_cndmask_b32_sdwa v10, v11, v10, vcc dst_sel:DWORD dst_unused:UNUSED_PAD src0_sel:DWORD src1_sel:WORD_1
	v_mov_b32_e32 v11, s19
	v_add_co_u32_e32 v0, vcc, s18, v0
	v_addc_co_u32_e32 v1, vcc, v11, v1, vcc
	global_store_short v[0:1], v10, off
.LBB110_18:
	s_or_b64 exec, exec, s[10:11]
	s_movk_i32 s10, 0x700
	v_cmp_gt_u32_e32 vcc, s10, v4
	s_and_b64 exec, exec, vcc
	s_cbranch_execz .LBB110_74
; %bb.19:
	s_and_saveexec_b64 s[10:11], s[0:1]
	s_cbranch_execz .LBB110_21
; %bb.20:
	v_add_u32_e32 v0, v2, v3
	v_lshl_add_u32 v0, v0, 2, 0
	ds_read_b32 v8, v0 offset:16
	ds_read_b32 v9, v0 offset:1072
.LBB110_21:
	s_or_b64 exec, exec, s[10:11]
	s_waitcnt lgkmcnt(1)
	ds_bpermute_b32 v0, v5, v8
	s_waitcnt lgkmcnt(1)
	ds_bpermute_b32 v1, v5, v9
	s_waitcnt lgkmcnt(1)
	v_add_f32_e32 v0, v8, v0
	s_waitcnt lgkmcnt(0)
	v_add_f32_e32 v1, v9, v1
	ds_bpermute_b32 v8, v6, v0
	ds_bpermute_b32 v9, v6, v1
	s_waitcnt lgkmcnt(1)
	v_add_f32_e32 v0, v0, v8
	s_waitcnt lgkmcnt(0)
	v_add_f32_e32 v1, v1, v9
	ds_bpermute_b32 v8, v7, v0
	ds_bpermute_b32 v9, v7, v1
	s_waitcnt lgkmcnt(1)
	v_add_f32_e32 v0, v0, v8
	s_waitcnt lgkmcnt(0)
	v_add_f32_e32 v1, v1, v9
	s_and_saveexec_b64 s[10:11], s[2:3]
	s_cbranch_execz .LBB110_26
; %bb.22:
	s_andn2_b64 vcc, exec, s[8:9]
	s_cbranch_vccnz .LBB110_24
; %bb.23:
	v_bfe_u32 v8, v0, 16, 1
	s_movk_i32 s12, 0x7fff
	v_add3_u32 v8, v0, v8, s12
	v_cmp_o_f32_e32 vcc, v0, v0
	v_mov_b32_e32 v9, 0x7fc0
	v_cndmask_b32_sdwa v10, v9, v8, vcc dst_sel:DWORD dst_unused:UNUSED_PAD src0_sel:DWORD src1_sel:WORD_1
	v_mov_b32_e32 v9, s5
	v_add_co_u32_e32 v8, vcc, s4, v2
	v_addc_co_u32_e32 v9, vcc, 0, v9, vcc
	v_lshlrev_b64 v[8:9], 1, v[8:9]
	v_mov_b32_e32 v11, s17
	v_add_co_u32_e32 v8, vcc, s16, v8
	v_addc_co_u32_e32 v9, vcc, v11, v9, vcc
	global_store_short v[8:9], v10, off offset:8
.LBB110_24:
	s_andn2_b64 vcc, exec, s[6:7]
	s_cbranch_vccnz .LBB110_26
; %bb.25:
	v_bfe_u32 v8, v1, 16, 1
	s_movk_i32 s12, 0x7fff
	v_add3_u32 v8, v1, v8, s12
	v_cmp_o_f32_e32 vcc, v1, v1
	v_mov_b32_e32 v9, 0x7fc0
	v_cndmask_b32_sdwa v10, v9, v8, vcc dst_sel:DWORD dst_unused:UNUSED_PAD src0_sel:DWORD src1_sel:WORD_1
	v_mov_b32_e32 v9, s5
	v_add_co_u32_e32 v8, vcc, s4, v2
	v_addc_co_u32_e32 v9, vcc, 0, v9, vcc
	v_lshlrev_b64 v[8:9], 1, v[8:9]
	v_mov_b32_e32 v11, s19
	v_add_co_u32_e32 v8, vcc, s18, v8
	v_addc_co_u32_e32 v9, vcc, v11, v9, vcc
	global_store_short v[8:9], v10, off offset:8
.LBB110_26:
	s_or_b64 exec, exec, s[10:11]
	s_movk_i32 s10, 0x600
	v_cmp_gt_u32_e32 vcc, s10, v4
	s_and_b64 exec, exec, vcc
	s_cbranch_execz .LBB110_74
; %bb.27:
	s_and_saveexec_b64 s[10:11], s[0:1]
	s_cbranch_execz .LBB110_29
; %bb.28:
	v_add_u32_e32 v0, v2, v3
	v_lshl_add_u32 v1, v0, 2, 0
	ds_read_b32 v0, v1 offset:32
	ds_read_b32 v1, v1 offset:1088
.LBB110_29:
	s_or_b64 exec, exec, s[10:11]
	s_waitcnt lgkmcnt(1)
	ds_bpermute_b32 v8, v5, v0
	s_waitcnt lgkmcnt(1)
	ds_bpermute_b32 v9, v5, v1
	s_waitcnt lgkmcnt(1)
	v_add_f32_e32 v0, v0, v8
	s_waitcnt lgkmcnt(0)
	v_add_f32_e32 v1, v1, v9
	ds_bpermute_b32 v8, v6, v0
	ds_bpermute_b32 v9, v6, v1
	s_waitcnt lgkmcnt(1)
	v_add_f32_e32 v0, v0, v8
	s_waitcnt lgkmcnt(0)
	v_add_f32_e32 v1, v1, v9
	ds_bpermute_b32 v8, v7, v0
	ds_bpermute_b32 v9, v7, v1
	s_waitcnt lgkmcnt(1)
	v_add_f32_e32 v0, v0, v8
	s_waitcnt lgkmcnt(0)
	v_add_f32_e32 v1, v1, v9
	s_and_saveexec_b64 s[10:11], s[2:3]
	s_cbranch_execz .LBB110_34
; %bb.30:
	s_andn2_b64 vcc, exec, s[8:9]
	s_cbranch_vccnz .LBB110_32
; %bb.31:
	v_bfe_u32 v8, v0, 16, 1
	s_movk_i32 s12, 0x7fff
	v_add3_u32 v8, v0, v8, s12
	v_cmp_o_f32_e32 vcc, v0, v0
	v_mov_b32_e32 v9, 0x7fc0
	v_cndmask_b32_sdwa v10, v9, v8, vcc dst_sel:DWORD dst_unused:UNUSED_PAD src0_sel:DWORD src1_sel:WORD_1
	v_mov_b32_e32 v9, s5
	v_add_co_u32_e32 v8, vcc, s4, v2
	v_addc_co_u32_e32 v9, vcc, 0, v9, vcc
	v_lshlrev_b64 v[8:9], 1, v[8:9]
	v_mov_b32_e32 v11, s17
	v_add_co_u32_e32 v8, vcc, s16, v8
	v_addc_co_u32_e32 v9, vcc, v11, v9, vcc
	global_store_short v[8:9], v10, off offset:16
.LBB110_32:
	s_andn2_b64 vcc, exec, s[6:7]
	s_cbranch_vccnz .LBB110_34
; %bb.33:
	v_bfe_u32 v8, v1, 16, 1
	s_movk_i32 s12, 0x7fff
	v_add3_u32 v8, v1, v8, s12
	v_cmp_o_f32_e32 vcc, v1, v1
	v_mov_b32_e32 v9, 0x7fc0
	v_cndmask_b32_sdwa v10, v9, v8, vcc dst_sel:DWORD dst_unused:UNUSED_PAD src0_sel:DWORD src1_sel:WORD_1
	v_mov_b32_e32 v9, s5
	v_add_co_u32_e32 v8, vcc, s4, v2
	v_addc_co_u32_e32 v9, vcc, 0, v9, vcc
	v_lshlrev_b64 v[8:9], 1, v[8:9]
	v_mov_b32_e32 v11, s19
	v_add_co_u32_e32 v8, vcc, s18, v8
	v_addc_co_u32_e32 v9, vcc, v11, v9, vcc
	global_store_short v[8:9], v10, off offset:16
.LBB110_34:
	s_or_b64 exec, exec, s[10:11]
	s_movk_i32 s10, 0x500
	v_cmp_gt_u32_e32 vcc, s10, v4
	s_and_b64 exec, exec, vcc
	s_cbranch_execz .LBB110_74
; %bb.35:
	s_and_saveexec_b64 s[10:11], s[0:1]
	s_cbranch_execz .LBB110_37
; %bb.36:
	v_add_u32_e32 v0, v2, v3
	v_lshl_add_u32 v1, v0, 2, 0
	ds_read_b32 v0, v1 offset:48
	ds_read_b32 v1, v1 offset:1104
.LBB110_37:
	s_or_b64 exec, exec, s[10:11]
	s_waitcnt lgkmcnt(1)
	ds_bpermute_b32 v8, v5, v0
	s_waitcnt lgkmcnt(1)
	ds_bpermute_b32 v9, v5, v1
	s_waitcnt lgkmcnt(1)
	v_add_f32_e32 v0, v0, v8
	s_waitcnt lgkmcnt(0)
	v_add_f32_e32 v1, v1, v9
	ds_bpermute_b32 v8, v6, v0
	ds_bpermute_b32 v9, v6, v1
	s_waitcnt lgkmcnt(1)
	v_add_f32_e32 v0, v0, v8
	s_waitcnt lgkmcnt(0)
	v_add_f32_e32 v1, v1, v9
	ds_bpermute_b32 v8, v7, v0
	ds_bpermute_b32 v9, v7, v1
	s_waitcnt lgkmcnt(1)
	v_add_f32_e32 v0, v0, v8
	s_waitcnt lgkmcnt(0)
	v_add_f32_e32 v1, v1, v9
	s_and_saveexec_b64 s[10:11], s[2:3]
	s_cbranch_execz .LBB110_42
; %bb.38:
	s_andn2_b64 vcc, exec, s[8:9]
	s_cbranch_vccnz .LBB110_40
; %bb.39:
	v_bfe_u32 v8, v0, 16, 1
	s_movk_i32 s12, 0x7fff
	v_add3_u32 v8, v0, v8, s12
	v_cmp_o_f32_e32 vcc, v0, v0
	v_mov_b32_e32 v9, 0x7fc0
	v_cndmask_b32_sdwa v10, v9, v8, vcc dst_sel:DWORD dst_unused:UNUSED_PAD src0_sel:DWORD src1_sel:WORD_1
	v_mov_b32_e32 v9, s5
	v_add_co_u32_e32 v8, vcc, s4, v2
	v_addc_co_u32_e32 v9, vcc, 0, v9, vcc
	v_lshlrev_b64 v[8:9], 1, v[8:9]
	v_mov_b32_e32 v11, s17
	v_add_co_u32_e32 v8, vcc, s16, v8
	v_addc_co_u32_e32 v9, vcc, v11, v9, vcc
	global_store_short v[8:9], v10, off offset:24
.LBB110_40:
	s_andn2_b64 vcc, exec, s[6:7]
	s_cbranch_vccnz .LBB110_42
; %bb.41:
	v_bfe_u32 v8, v1, 16, 1
	s_movk_i32 s12, 0x7fff
	v_add3_u32 v8, v1, v8, s12
	v_cmp_o_f32_e32 vcc, v1, v1
	v_mov_b32_e32 v9, 0x7fc0
	v_cndmask_b32_sdwa v10, v9, v8, vcc dst_sel:DWORD dst_unused:UNUSED_PAD src0_sel:DWORD src1_sel:WORD_1
	v_mov_b32_e32 v9, s5
	v_add_co_u32_e32 v8, vcc, s4, v2
	v_addc_co_u32_e32 v9, vcc, 0, v9, vcc
	v_lshlrev_b64 v[8:9], 1, v[8:9]
	v_mov_b32_e32 v11, s19
	v_add_co_u32_e32 v8, vcc, s18, v8
	v_addc_co_u32_e32 v9, vcc, v11, v9, vcc
	global_store_short v[8:9], v10, off offset:24
.LBB110_42:
	s_or_b64 exec, exec, s[10:11]
	s_movk_i32 s10, 0x400
	v_cmp_gt_u32_e32 vcc, s10, v4
	s_and_b64 exec, exec, vcc
	s_cbranch_execz .LBB110_74
; %bb.43:
	s_and_saveexec_b64 s[10:11], s[0:1]
	s_cbranch_execz .LBB110_45
; %bb.44:
	v_add_u32_e32 v0, v2, v3
	v_lshl_add_u32 v1, v0, 2, 0
	ds_read_b32 v0, v1 offset:64
	ds_read_b32 v1, v1 offset:1120
.LBB110_45:
	s_or_b64 exec, exec, s[10:11]
	s_waitcnt lgkmcnt(1)
	ds_bpermute_b32 v8, v5, v0
	s_waitcnt lgkmcnt(1)
	ds_bpermute_b32 v9, v5, v1
	s_waitcnt lgkmcnt(1)
	v_add_f32_e32 v0, v0, v8
	s_waitcnt lgkmcnt(0)
	v_add_f32_e32 v1, v1, v9
	ds_bpermute_b32 v8, v6, v0
	ds_bpermute_b32 v9, v6, v1
	s_waitcnt lgkmcnt(1)
	v_add_f32_e32 v0, v0, v8
	s_waitcnt lgkmcnt(0)
	v_add_f32_e32 v1, v1, v9
	ds_bpermute_b32 v8, v7, v0
	ds_bpermute_b32 v9, v7, v1
	s_waitcnt lgkmcnt(1)
	v_add_f32_e32 v0, v0, v8
	s_waitcnt lgkmcnt(0)
	v_add_f32_e32 v1, v1, v9
	s_and_saveexec_b64 s[10:11], s[2:3]
	s_cbranch_execz .LBB110_50
; %bb.46:
	s_andn2_b64 vcc, exec, s[8:9]
	s_cbranch_vccnz .LBB110_48
; %bb.47:
	v_bfe_u32 v8, v0, 16, 1
	s_movk_i32 s12, 0x7fff
	v_add3_u32 v8, v0, v8, s12
	v_cmp_o_f32_e32 vcc, v0, v0
	v_mov_b32_e32 v9, 0x7fc0
	v_cndmask_b32_sdwa v10, v9, v8, vcc dst_sel:DWORD dst_unused:UNUSED_PAD src0_sel:DWORD src1_sel:WORD_1
	v_mov_b32_e32 v9, s5
	v_add_co_u32_e32 v8, vcc, s4, v2
	v_addc_co_u32_e32 v9, vcc, 0, v9, vcc
	v_lshlrev_b64 v[8:9], 1, v[8:9]
	v_mov_b32_e32 v11, s17
	v_add_co_u32_e32 v8, vcc, s16, v8
	v_addc_co_u32_e32 v9, vcc, v11, v9, vcc
	global_store_short v[8:9], v10, off offset:32
.LBB110_48:
	s_andn2_b64 vcc, exec, s[6:7]
	s_cbranch_vccnz .LBB110_50
; %bb.49:
	v_bfe_u32 v8, v1, 16, 1
	s_movk_i32 s12, 0x7fff
	v_add3_u32 v8, v1, v8, s12
	v_cmp_o_f32_e32 vcc, v1, v1
	v_mov_b32_e32 v9, 0x7fc0
	v_cndmask_b32_sdwa v10, v9, v8, vcc dst_sel:DWORD dst_unused:UNUSED_PAD src0_sel:DWORD src1_sel:WORD_1
	v_mov_b32_e32 v9, s5
	v_add_co_u32_e32 v8, vcc, s4, v2
	v_addc_co_u32_e32 v9, vcc, 0, v9, vcc
	v_lshlrev_b64 v[8:9], 1, v[8:9]
	v_mov_b32_e32 v11, s19
	v_add_co_u32_e32 v8, vcc, s18, v8
	v_addc_co_u32_e32 v9, vcc, v11, v9, vcc
	global_store_short v[8:9], v10, off offset:32
.LBB110_50:
	s_or_b64 exec, exec, s[10:11]
	s_movk_i32 s10, 0x300
	v_cmp_gt_u32_e32 vcc, s10, v4
	s_and_b64 exec, exec, vcc
	s_cbranch_execz .LBB110_74
; %bb.51:
	s_and_saveexec_b64 s[10:11], s[0:1]
	s_cbranch_execz .LBB110_53
; %bb.52:
	v_add_u32_e32 v0, v2, v3
	v_lshl_add_u32 v1, v0, 2, 0
	ds_read_b32 v0, v1 offset:80
	ds_read_b32 v1, v1 offset:1136
.LBB110_53:
	s_or_b64 exec, exec, s[10:11]
	s_waitcnt lgkmcnt(1)
	ds_bpermute_b32 v8, v5, v0
	s_waitcnt lgkmcnt(1)
	ds_bpermute_b32 v9, v5, v1
	s_waitcnt lgkmcnt(1)
	v_add_f32_e32 v0, v0, v8
	s_waitcnt lgkmcnt(0)
	v_add_f32_e32 v1, v1, v9
	ds_bpermute_b32 v8, v6, v0
	ds_bpermute_b32 v9, v6, v1
	s_waitcnt lgkmcnt(1)
	v_add_f32_e32 v0, v0, v8
	s_waitcnt lgkmcnt(0)
	v_add_f32_e32 v1, v1, v9
	ds_bpermute_b32 v8, v7, v0
	ds_bpermute_b32 v9, v7, v1
	s_waitcnt lgkmcnt(1)
	v_add_f32_e32 v0, v0, v8
	s_waitcnt lgkmcnt(0)
	v_add_f32_e32 v1, v1, v9
	s_and_saveexec_b64 s[10:11], s[2:3]
	s_cbranch_execz .LBB110_58
; %bb.54:
	s_andn2_b64 vcc, exec, s[8:9]
	s_cbranch_vccnz .LBB110_56
; %bb.55:
	v_bfe_u32 v8, v0, 16, 1
	s_movk_i32 s12, 0x7fff
	v_add3_u32 v8, v0, v8, s12
	v_cmp_o_f32_e32 vcc, v0, v0
	v_mov_b32_e32 v9, 0x7fc0
	v_cndmask_b32_sdwa v10, v9, v8, vcc dst_sel:DWORD dst_unused:UNUSED_PAD src0_sel:DWORD src1_sel:WORD_1
	v_mov_b32_e32 v9, s5
	v_add_co_u32_e32 v8, vcc, s4, v2
	v_addc_co_u32_e32 v9, vcc, 0, v9, vcc
	v_lshlrev_b64 v[8:9], 1, v[8:9]
	v_mov_b32_e32 v11, s17
	v_add_co_u32_e32 v8, vcc, s16, v8
	v_addc_co_u32_e32 v9, vcc, v11, v9, vcc
	global_store_short v[8:9], v10, off offset:40
.LBB110_56:
	s_andn2_b64 vcc, exec, s[6:7]
	s_cbranch_vccnz .LBB110_58
; %bb.57:
	v_bfe_u32 v8, v1, 16, 1
	s_movk_i32 s12, 0x7fff
	v_add3_u32 v8, v1, v8, s12
	v_cmp_o_f32_e32 vcc, v1, v1
	v_mov_b32_e32 v9, 0x7fc0
	v_cndmask_b32_sdwa v10, v9, v8, vcc dst_sel:DWORD dst_unused:UNUSED_PAD src0_sel:DWORD src1_sel:WORD_1
	v_mov_b32_e32 v9, s5
	v_add_co_u32_e32 v8, vcc, s4, v2
	v_addc_co_u32_e32 v9, vcc, 0, v9, vcc
	v_lshlrev_b64 v[8:9], 1, v[8:9]
	v_mov_b32_e32 v11, s19
	v_add_co_u32_e32 v8, vcc, s18, v8
	v_addc_co_u32_e32 v9, vcc, v11, v9, vcc
	global_store_short v[8:9], v10, off offset:40
.LBB110_58:
	s_or_b64 exec, exec, s[10:11]
	s_movk_i32 s10, 0x200
	v_cmp_gt_u32_e32 vcc, s10, v4
	s_and_b64 exec, exec, vcc
	s_cbranch_execz .LBB110_74
; %bb.59:
	s_and_saveexec_b64 s[10:11], s[0:1]
	s_cbranch_execz .LBB110_61
; %bb.60:
	v_add_u32_e32 v0, v2, v3
	v_lshl_add_u32 v1, v0, 2, 0
	ds_read_b32 v0, v1 offset:96
	ds_read_b32 v1, v1 offset:1152
.LBB110_61:
	s_or_b64 exec, exec, s[10:11]
	s_waitcnt lgkmcnt(1)
	ds_bpermute_b32 v8, v5, v0
	s_waitcnt lgkmcnt(1)
	ds_bpermute_b32 v9, v5, v1
	s_waitcnt lgkmcnt(1)
	v_add_f32_e32 v0, v0, v8
	s_waitcnt lgkmcnt(0)
	v_add_f32_e32 v1, v1, v9
	ds_bpermute_b32 v8, v6, v0
	ds_bpermute_b32 v9, v6, v1
	s_waitcnt lgkmcnt(1)
	v_add_f32_e32 v0, v0, v8
	s_waitcnt lgkmcnt(0)
	v_add_f32_e32 v1, v1, v9
	ds_bpermute_b32 v8, v7, v0
	ds_bpermute_b32 v9, v7, v1
	s_waitcnt lgkmcnt(1)
	v_add_f32_e32 v0, v0, v8
	s_waitcnt lgkmcnt(0)
	v_add_f32_e32 v1, v1, v9
	s_and_saveexec_b64 s[10:11], s[2:3]
	s_cbranch_execz .LBB110_66
; %bb.62:
	s_andn2_b64 vcc, exec, s[8:9]
	s_cbranch_vccnz .LBB110_64
; %bb.63:
	v_bfe_u32 v8, v0, 16, 1
	s_movk_i32 s12, 0x7fff
	v_add3_u32 v8, v0, v8, s12
	v_cmp_o_f32_e32 vcc, v0, v0
	v_mov_b32_e32 v9, 0x7fc0
	v_cndmask_b32_sdwa v10, v9, v8, vcc dst_sel:DWORD dst_unused:UNUSED_PAD src0_sel:DWORD src1_sel:WORD_1
	v_mov_b32_e32 v9, s5
	v_add_co_u32_e32 v8, vcc, s4, v2
	v_addc_co_u32_e32 v9, vcc, 0, v9, vcc
	v_lshlrev_b64 v[8:9], 1, v[8:9]
	v_mov_b32_e32 v11, s17
	v_add_co_u32_e32 v8, vcc, s16, v8
	v_addc_co_u32_e32 v9, vcc, v11, v9, vcc
	global_store_short v[8:9], v10, off offset:48
.LBB110_64:
	s_andn2_b64 vcc, exec, s[6:7]
	s_cbranch_vccnz .LBB110_66
; %bb.65:
	v_bfe_u32 v8, v1, 16, 1
	s_movk_i32 s12, 0x7fff
	v_add3_u32 v8, v1, v8, s12
	v_cmp_o_f32_e32 vcc, v1, v1
	v_mov_b32_e32 v9, 0x7fc0
	v_cndmask_b32_sdwa v10, v9, v8, vcc dst_sel:DWORD dst_unused:UNUSED_PAD src0_sel:DWORD src1_sel:WORD_1
	v_mov_b32_e32 v9, s5
	v_add_co_u32_e32 v8, vcc, s4, v2
	v_addc_co_u32_e32 v9, vcc, 0, v9, vcc
	v_lshlrev_b64 v[8:9], 1, v[8:9]
	v_mov_b32_e32 v11, s19
	v_add_co_u32_e32 v8, vcc, s18, v8
	v_addc_co_u32_e32 v9, vcc, v11, v9, vcc
	global_store_short v[8:9], v10, off offset:48
.LBB110_66:
	s_or_b64 exec, exec, s[10:11]
	s_movk_i32 s10, 0x100
	v_cmp_gt_u32_e32 vcc, s10, v4
	s_and_b64 exec, exec, vcc
	s_cbranch_execz .LBB110_74
; %bb.67:
	s_and_saveexec_b64 s[10:11], s[0:1]
	s_cbranch_execz .LBB110_69
; %bb.68:
	v_add_u32_e32 v0, v2, v3
	v_lshl_add_u32 v1, v0, 2, 0
	ds_read_b32 v0, v1 offset:112
	ds_read_b32 v1, v1 offset:1168
.LBB110_69:
	s_or_b64 exec, exec, s[10:11]
	s_waitcnt lgkmcnt(1)
	ds_bpermute_b32 v3, v5, v0
	s_waitcnt lgkmcnt(1)
	ds_bpermute_b32 v4, v5, v1
	s_waitcnt lgkmcnt(1)
	v_add_f32_e32 v0, v0, v3
	s_waitcnt lgkmcnt(0)
	v_add_f32_e32 v1, v1, v4
	ds_bpermute_b32 v3, v6, v0
	ds_bpermute_b32 v4, v6, v1
	s_waitcnt lgkmcnt(1)
	v_add_f32_e32 v3, v0, v3
	s_waitcnt lgkmcnt(0)
	v_add_f32_e32 v0, v1, v4
	ds_bpermute_b32 v4, v7, v3
	ds_bpermute_b32 v1, v7, v0
	s_and_b64 exec, exec, s[2:3]
	s_cbranch_execz .LBB110_74
; %bb.70:
	s_andn2_b64 vcc, exec, s[8:9]
	s_cbranch_vccnz .LBB110_72
; %bb.71:
	s_waitcnt lgkmcnt(1)
	v_add_f32_e32 v3, v3, v4
	v_bfe_u32 v4, v3, 16, 1
	s_movk_i32 s0, 0x7fff
	v_add3_u32 v4, v3, v4, s0
	v_cmp_o_f32_e32 vcc, v3, v3
	v_mov_b32_e32 v3, 0x7fc0
	v_cndmask_b32_sdwa v5, v3, v4, vcc dst_sel:DWORD dst_unused:UNUSED_PAD src0_sel:DWORD src1_sel:WORD_1
	v_mov_b32_e32 v4, s5
	v_add_co_u32_e32 v3, vcc, s4, v2
	v_addc_co_u32_e32 v4, vcc, 0, v4, vcc
	v_lshlrev_b64 v[3:4], 1, v[3:4]
	v_mov_b32_e32 v6, s17
	v_add_co_u32_e32 v3, vcc, s16, v3
	v_addc_co_u32_e32 v4, vcc, v6, v4, vcc
	global_store_short v[3:4], v5, off offset:56
.LBB110_72:
	s_andn2_b64 vcc, exec, s[6:7]
	s_cbranch_vccnz .LBB110_74
; %bb.73:
	s_waitcnt lgkmcnt(0)
	v_add_f32_e32 v0, v0, v1
	v_bfe_u32 v1, v0, 16, 1
	s_movk_i32 s0, 0x7fff
	v_add3_u32 v1, v0, v1, s0
	v_cmp_o_f32_e32 vcc, v0, v0
	v_mov_b32_e32 v0, 0x7fc0
	v_cndmask_b32_sdwa v3, v0, v1, vcc dst_sel:DWORD dst_unused:UNUSED_PAD src0_sel:DWORD src1_sel:WORD_1
	v_mov_b32_e32 v1, s5
	v_add_co_u32_e32 v0, vcc, s4, v2
	v_addc_co_u32_e32 v1, vcc, 0, v1, vcc
	v_lshlrev_b64 v[0:1], 1, v[0:1]
	v_mov_b32_e32 v2, s19
	v_add_co_u32_e32 v0, vcc, s18, v0
	v_addc_co_u32_e32 v1, vcc, v2, v1, vcc
	global_store_short v[0:1], v3, off offset:56
.LBB110_74:
	s_endpgm
	.section	.rodata,"a",@progbits
	.p2align	6, 0x0
	.amdhsa_kernel _ZN2at6native12_GLOBAL__N_135GammaBetaBackwardCUDAKernelTemplateIN3c108BFloat16EfLj32ELj8ELj64ELb0ELb1ELb0EEEvllPKT_S7_PKT0_SA_PS5_SB_
		.amdhsa_group_segment_fixed_size 0
		.amdhsa_private_segment_fixed_size 0
		.amdhsa_kernarg_size 320
		.amdhsa_user_sgpr_count 6
		.amdhsa_user_sgpr_private_segment_buffer 1
		.amdhsa_user_sgpr_dispatch_ptr 0
		.amdhsa_user_sgpr_queue_ptr 0
		.amdhsa_user_sgpr_kernarg_segment_ptr 1
		.amdhsa_user_sgpr_dispatch_id 0
		.amdhsa_user_sgpr_flat_scratch_init 0
		.amdhsa_user_sgpr_private_segment_size 0
		.amdhsa_uses_dynamic_stack 0
		.amdhsa_system_sgpr_private_segment_wavefront_offset 0
		.amdhsa_system_sgpr_workgroup_id_x 1
		.amdhsa_system_sgpr_workgroup_id_y 1
		.amdhsa_system_sgpr_workgroup_id_z 0
		.amdhsa_system_sgpr_workgroup_info 0
		.amdhsa_system_vgpr_workitem_id 1
		.amdhsa_next_free_vgpr 34
		.amdhsa_next_free_sgpr 32
		.amdhsa_reserve_vcc 1
		.amdhsa_reserve_flat_scratch 0
		.amdhsa_float_round_mode_32 0
		.amdhsa_float_round_mode_16_64 0
		.amdhsa_float_denorm_mode_32 3
		.amdhsa_float_denorm_mode_16_64 3
		.amdhsa_dx10_clamp 1
		.amdhsa_ieee_mode 1
		.amdhsa_fp16_overflow 0
		.amdhsa_exception_fp_ieee_invalid_op 0
		.amdhsa_exception_fp_denorm_src 0
		.amdhsa_exception_fp_ieee_div_zero 0
		.amdhsa_exception_fp_ieee_overflow 0
		.amdhsa_exception_fp_ieee_underflow 0
		.amdhsa_exception_fp_ieee_inexact 0
		.amdhsa_exception_int_div_zero 0
	.end_amdhsa_kernel
	.section	.text._ZN2at6native12_GLOBAL__N_135GammaBetaBackwardCUDAKernelTemplateIN3c108BFloat16EfLj32ELj8ELj64ELb0ELb1ELb0EEEvllPKT_S7_PKT0_SA_PS5_SB_,"axG",@progbits,_ZN2at6native12_GLOBAL__N_135GammaBetaBackwardCUDAKernelTemplateIN3c108BFloat16EfLj32ELj8ELj64ELb0ELb1ELb0EEEvllPKT_S7_PKT0_SA_PS5_SB_,comdat
.Lfunc_end110:
	.size	_ZN2at6native12_GLOBAL__N_135GammaBetaBackwardCUDAKernelTemplateIN3c108BFloat16EfLj32ELj8ELj64ELb0ELb1ELb0EEEvllPKT_S7_PKT0_SA_PS5_SB_, .Lfunc_end110-_ZN2at6native12_GLOBAL__N_135GammaBetaBackwardCUDAKernelTemplateIN3c108BFloat16EfLj32ELj8ELj64ELb0ELb1ELb0EEEvllPKT_S7_PKT0_SA_PS5_SB_
                                        ; -- End function
	.set _ZN2at6native12_GLOBAL__N_135GammaBetaBackwardCUDAKernelTemplateIN3c108BFloat16EfLj32ELj8ELj64ELb0ELb1ELb0EEEvllPKT_S7_PKT0_SA_PS5_SB_.num_vgpr, 34
	.set _ZN2at6native12_GLOBAL__N_135GammaBetaBackwardCUDAKernelTemplateIN3c108BFloat16EfLj32ELj8ELj64ELb0ELb1ELb0EEEvllPKT_S7_PKT0_SA_PS5_SB_.num_agpr, 0
	.set _ZN2at6native12_GLOBAL__N_135GammaBetaBackwardCUDAKernelTemplateIN3c108BFloat16EfLj32ELj8ELj64ELb0ELb1ELb0EEEvllPKT_S7_PKT0_SA_PS5_SB_.numbered_sgpr, 32
	.set _ZN2at6native12_GLOBAL__N_135GammaBetaBackwardCUDAKernelTemplateIN3c108BFloat16EfLj32ELj8ELj64ELb0ELb1ELb0EEEvllPKT_S7_PKT0_SA_PS5_SB_.num_named_barrier, 0
	.set _ZN2at6native12_GLOBAL__N_135GammaBetaBackwardCUDAKernelTemplateIN3c108BFloat16EfLj32ELj8ELj64ELb0ELb1ELb0EEEvllPKT_S7_PKT0_SA_PS5_SB_.private_seg_size, 0
	.set _ZN2at6native12_GLOBAL__N_135GammaBetaBackwardCUDAKernelTemplateIN3c108BFloat16EfLj32ELj8ELj64ELb0ELb1ELb0EEEvllPKT_S7_PKT0_SA_PS5_SB_.uses_vcc, 1
	.set _ZN2at6native12_GLOBAL__N_135GammaBetaBackwardCUDAKernelTemplateIN3c108BFloat16EfLj32ELj8ELj64ELb0ELb1ELb0EEEvllPKT_S7_PKT0_SA_PS5_SB_.uses_flat_scratch, 0
	.set _ZN2at6native12_GLOBAL__N_135GammaBetaBackwardCUDAKernelTemplateIN3c108BFloat16EfLj32ELj8ELj64ELb0ELb1ELb0EEEvllPKT_S7_PKT0_SA_PS5_SB_.has_dyn_sized_stack, 0
	.set _ZN2at6native12_GLOBAL__N_135GammaBetaBackwardCUDAKernelTemplateIN3c108BFloat16EfLj32ELj8ELj64ELb0ELb1ELb0EEEvllPKT_S7_PKT0_SA_PS5_SB_.has_recursion, 0
	.set _ZN2at6native12_GLOBAL__N_135GammaBetaBackwardCUDAKernelTemplateIN3c108BFloat16EfLj32ELj8ELj64ELb0ELb1ELb0EEEvllPKT_S7_PKT0_SA_PS5_SB_.has_indirect_call, 0
	.section	.AMDGPU.csdata,"",@progbits
; Kernel info:
; codeLenInByte = 4100
; TotalNumSgprs: 36
; NumVgprs: 34
; ScratchSize: 0
; MemoryBound: 0
; FloatMode: 240
; IeeeMode: 1
; LDSByteSize: 0 bytes/workgroup (compile time only)
; SGPRBlocks: 4
; VGPRBlocks: 8
; NumSGPRsForWavesPerEU: 36
; NumVGPRsForWavesPerEU: 34
; Occupancy: 7
; WaveLimiterHint : 0
; COMPUTE_PGM_RSRC2:SCRATCH_EN: 0
; COMPUTE_PGM_RSRC2:USER_SGPR: 6
; COMPUTE_PGM_RSRC2:TRAP_HANDLER: 0
; COMPUTE_PGM_RSRC2:TGID_X_EN: 1
; COMPUTE_PGM_RSRC2:TGID_Y_EN: 1
; COMPUTE_PGM_RSRC2:TGID_Z_EN: 0
; COMPUTE_PGM_RSRC2:TIDIG_COMP_CNT: 1
	.section	.text._ZN2at6native12_GLOBAL__N_135GammaBetaBackwardCUDAKernelTemplateIN3c108BFloat16EfLj32ELj8ELj64ELb0ELb0ELb0EEEvllPKT_S7_PKT0_SA_PS5_SB_,"axG",@progbits,_ZN2at6native12_GLOBAL__N_135GammaBetaBackwardCUDAKernelTemplateIN3c108BFloat16EfLj32ELj8ELj64ELb0ELb0ELb0EEEvllPKT_S7_PKT0_SA_PS5_SB_,comdat
	.globl	_ZN2at6native12_GLOBAL__N_135GammaBetaBackwardCUDAKernelTemplateIN3c108BFloat16EfLj32ELj8ELj64ELb0ELb0ELb0EEEvllPKT_S7_PKT0_SA_PS5_SB_ ; -- Begin function _ZN2at6native12_GLOBAL__N_135GammaBetaBackwardCUDAKernelTemplateIN3c108BFloat16EfLj32ELj8ELj64ELb0ELb0ELb0EEEvllPKT_S7_PKT0_SA_PS5_SB_
	.p2align	8
	.type	_ZN2at6native12_GLOBAL__N_135GammaBetaBackwardCUDAKernelTemplateIN3c108BFloat16EfLj32ELj8ELj64ELb0ELb0ELb0EEEvllPKT_S7_PKT0_SA_PS5_SB_,@function
_ZN2at6native12_GLOBAL__N_135GammaBetaBackwardCUDAKernelTemplateIN3c108BFloat16EfLj32ELj8ELj64ELb0ELb0ELb0EEEvllPKT_S7_PKT0_SA_PS5_SB_: ; @_ZN2at6native12_GLOBAL__N_135GammaBetaBackwardCUDAKernelTemplateIN3c108BFloat16EfLj32ELj8ELj64ELb0ELb0ELb0EEEvllPKT_S7_PKT0_SA_PS5_SB_
; %bb.0:
	s_load_dwordx8 s[12:19], s[4:5], 0x0
	s_load_dwordx4 s[20:23], s[4:5], 0x20
	s_lshl_b32 s10, s7, 6
	s_lshl_b32 s33, s6, 5
	s_mov_b32 s11, 0
	v_mov_b32_e32 v4, s10
	s_or_b32 s0, s33, 31
	v_mov_b32_e32 v5, s11
	v_mov_b32_e32 v2, s0
	;; [unrolled: 1-line block ×3, first 2 shown]
	s_waitcnt lgkmcnt(0)
	v_cmp_gt_i64_e64 s[0:1], s[12:13], v[4:5]
	v_cmp_le_i64_e32 vcc, s[14:15], v[2:3]
	v_cndmask_b32_e64 v2, 0, 1, s[0:1]
	v_cmp_ne_u32_e64 s[0:1], 1, v2
	s_cbranch_vccz .LBB111_49
; %bb.1:
	s_and_b64 vcc, exec, s[0:1]
	v_mov_b32_e32 v54, 0
	s_cbranch_vccnz .LBB111_50
; %bb.2:
	v_lshlrev_b32_e32 v21, 3, v1
	v_add_co_u32_e32 v9, vcc, s10, v21
	v_addc_co_u32_e64 v10, s[2:3], 0, 0, vcc
	v_mul_lo_u32 v7, s15, v9
	v_mul_lo_u32 v8, s14, v10
	v_mad_u64_u32 v[5:6], s[2:3], s14, v9, 0
	v_mov_b32_e32 v2, 0
	s_load_dword s7, s[4:5], 0x44
	v_add_u32_e32 v3, s33, v0
	v_mov_b32_e32 v4, v2
	v_add3_u32 v6, v6, v8, v7
	v_cmp_gt_i64_e64 s[2:3], s[14:15], v[3:4]
	v_lshlrev_b64 v[19:20], 1, v[3:4]
	v_lshlrev_b64 v[3:4], 1, v[5:6]
	s_add_u32 s24, s4, 64
	v_mov_b32_e32 v7, s17
	v_add_co_u32_e32 v22, vcc, s16, v3
	s_addc_u32 s25, s5, 0
	s_waitcnt lgkmcnt(0)
	s_lshl_b32 s7, s7, 6
	v_addc_co_u32_e32 v23, vcc, v7, v4, vcc
	s_mul_i32 s8, s15, s7
	s_mul_hi_u32 s9, s14, s7
	v_add_co_u32_e32 v7, vcc, 7, v9
	s_add_i32 s9, s9, s8
	s_mul_i32 s8, s14, s7
	v_addc_co_u32_e32 v8, vcc, 0, v10, vcc
	s_lshl_b64 s[26:27], s[8:9], 1
	v_mul_lo_u32 v12, s15, v7
	v_mul_lo_u32 v13, s14, v8
	v_mad_u64_u32 v[7:8], s[8:9], s14, v7, 0
	v_mov_b32_e32 v11, s19
	v_add_co_u32_e32 v24, vcc, s18, v3
	v_add3_u32 v8, v8, v13, v12
	v_addc_co_u32_e32 v25, vcc, v11, v4, vcc
	v_lshlrev_b64 v[3:4], 1, v[7:8]
	v_mov_b32_e32 v7, s17
	v_add_co_u32_e32 v26, vcc, s16, v3
	v_addc_co_u32_e32 v27, vcc, v7, v4, vcc
	v_add_co_u32_e32 v7, vcc, 6, v9
	v_addc_co_u32_e32 v8, vcc, 0, v10, vcc
	v_mul_lo_u32 v12, s15, v7
	v_mul_lo_u32 v13, s14, v8
	v_mad_u64_u32 v[7:8], s[8:9], s14, v7, 0
	v_add_co_u32_e32 v28, vcc, s18, v3
	v_add3_u32 v8, v8, v13, v12
	v_addc_co_u32_e32 v29, vcc, v11, v4, vcc
	v_lshlrev_b64 v[3:4], 1, v[7:8]
	v_mov_b32_e32 v7, s17
	v_add_co_u32_e32 v30, vcc, s16, v3
	v_addc_co_u32_e32 v31, vcc, v7, v4, vcc
	v_add_co_u32_e32 v7, vcc, 5, v9
	v_addc_co_u32_e32 v8, vcc, 0, v10, vcc
	v_mul_lo_u32 v12, s15, v7
	v_mul_lo_u32 v13, s14, v8
	v_mad_u64_u32 v[7:8], s[8:9], s14, v7, 0
	;; [unrolled: 12-line block ×5, first 2 shown]
	v_add_co_u32_e32 v44, vcc, s18, v3
	v_add3_u32 v8, v8, v10, v9
	v_addc_co_u32_e32 v45, vcc, v11, v4, vcc
	v_lshlrev_b64 v[3:4], 1, v[7:8]
	v_mov_b32_e32 v7, s17
	v_add_co_u32_e32 v46, vcc, s16, v3
	v_addc_co_u32_e32 v47, vcc, v7, v4, vcc
	v_mov_b32_e32 v7, s19
	v_add_co_u32_e32 v48, vcc, s18, v3
	v_addc_co_u32_e32 v49, vcc, v7, v4, vcc
	;; [unrolled: 3-line block ×3, first 2 shown]
	v_lshlrev_b64 v[3:4], 1, v[3:4]
	v_mov_b32_e32 v5, s17
	v_add_co_u32_e32 v50, vcc, s16, v3
	v_addc_co_u32_e32 v51, vcc, v5, v4, vcc
	v_add_co_u32_e32 v52, vcc, s18, v3
	v_mbcnt_lo_u32_b32 v3, -1, 0
	v_mbcnt_hi_u32_b32 v3, -1, v3
	v_mov_b32_e32 v5, s19
	s_add_u32 s28, s10, 63
	v_lshlrev_b32_e32 v3, 2, v3
	v_addc_co_u32_e32 v53, vcc, v5, v4, vcc
	s_addc_u32 s29, 0, 0
	v_and_b32_e32 v55, 0x100, v3
	v_mov_b32_e32 v54, 0
	v_mov_b32_e32 v56, 0
	s_mov_b64 s[30:31], s[10:11]
.LBB111_3:                              ; =>This Inner Loop Header: Depth=1
	v_mov_b32_e32 v3, s12
	v_mov_b32_e32 v4, s13
	v_cmp_ge_i64_e32 vcc, s[28:29], v[3:4]
	v_mov_b32_e32 v3, s29
	v_add_co_u32_e64 v57, s[8:9], s28, v21
	v_addc_co_u32_e64 v58, s[8:9], 0, v3, s[8:9]
	s_mov_b64 s[8:9], -1
	s_and_b64 vcc, exec, vcc
                                        ; implicit-def: $vgpr3_vgpr4_vgpr5_vgpr6_vgpr7_vgpr8_vgpr9_vgpr10
                                        ; implicit-def: $vgpr59
                                        ; implicit-def: $vgpr11_vgpr12_vgpr13_vgpr14_vgpr15_vgpr16_vgpr17_vgpr18
                                        ; implicit-def: $vgpr4
                                        ; implicit-def: $vgpr3
                                        ; implicit-def: $vgpr5
	s_cbranch_vccz .LBB111_25
; %bb.4:                                ;   in Loop: Header=BB111_3 Depth=1
	s_load_dword s8, s[24:25], 0xc
	v_mov_b32_e32 v59, 0
	v_mov_b32_e32 v60, 0
	s_waitcnt lgkmcnt(0)
	s_and_b32 s8, s8, 0xffff
	v_mad_u32_u24 v3, v1, s8, v0
	v_and_b32_e32 v3, 63, v3
	v_cmp_gt_u32_e32 vcc, 8, v3
	s_and_saveexec_b64 s[8:9], vcc
	s_cbranch_execz .LBB111_8
; %bb.5:                                ;   in Loop: Header=BB111_3 Depth=1
	v_add_co_u32_e32 v3, vcc, v57, v3
	v_addc_co_u32_e32 v4, vcc, 0, v58, vcc
	v_add_co_u32_e32 v3, vcc, 0xffffffc1, v3
	v_addc_co_u32_e32 v4, vcc, -1, v4, vcc
	v_cmp_gt_i64_e32 vcc, s[12:13], v[3:4]
	v_mov_b32_e32 v60, 0
	v_mov_b32_e32 v59, 0
	s_and_saveexec_b64 s[34:35], vcc
	s_cbranch_execz .LBB111_7
; %bb.6:                                ;   in Loop: Header=BB111_3 Depth=1
	v_lshlrev_b64 v[3:4], 2, v[3:4]
	v_mov_b32_e32 v6, s23
	v_add_co_u32_e32 v5, vcc, s22, v3
	v_addc_co_u32_e32 v6, vcc, v6, v4, vcc
	v_mov_b32_e32 v7, s21
	v_add_co_u32_e32 v3, vcc, s20, v3
	v_addc_co_u32_e32 v4, vcc, v7, v4, vcc
	global_load_dword v60, v[3:4], off
	global_load_dword v59, v[5:6], off
.LBB111_7:                              ;   in Loop: Header=BB111_3 Depth=1
	s_or_b64 exec, exec, s[34:35]
.LBB111_8:                              ;   in Loop: Header=BB111_3 Depth=1
	s_or_b64 exec, exec, s[8:9]
	v_add_co_u32_e32 v3, vcc, 0xffffffc1, v57
	v_addc_co_u32_e32 v4, vcc, -1, v58, vcc
	v_mov_b32_e32 v9, v2
	v_cmp_gt_i64_e32 vcc, s[12:13], v[3:4]
	v_mov_b32_e32 v3, v2
	v_mov_b32_e32 v4, v2
	;; [unrolled: 1-line block ×15, first 2 shown]
	s_and_b64 s[34:35], s[2:3], vcc
	v_mov_b32_e32 v9, v8
	v_mov_b32_e32 v8, v7
	;; [unrolled: 1-line block ×7, first 2 shown]
	s_and_saveexec_b64 s[8:9], s[34:35]
	s_cbranch_execz .LBB111_10
; %bb.9:                                ;   in Loop: Header=BB111_3 Depth=1
	v_add_co_u32_e32 v3, vcc, v22, v19
	v_addc_co_u32_e32 v4, vcc, v23, v20, vcc
	global_load_ushort v11, v[3:4], off
	v_add_co_u32_e32 v3, vcc, v24, v19
	v_addc_co_u32_e32 v4, vcc, v25, v20, vcc
	global_load_ushort v18, v[3:4], off
	v_mov_b32_e32 v4, v2
	v_mov_b32_e32 v5, v2
	;; [unrolled: 1-line block ×13, first 2 shown]
	s_waitcnt vmcnt(1)
	v_lshlrev_b32_e32 v3, 16, v11
	s_waitcnt vmcnt(0)
	v_lshlrev_b32_e32 v11, 16, v18
	v_mov_b32_e32 v18, v2
.LBB111_10:                             ;   in Loop: Header=BB111_3 Depth=1
	s_or_b64 exec, exec, s[8:9]
	v_add_co_u32_e32 v61, vcc, 0xffffffc2, v57
	v_addc_co_u32_e32 v62, vcc, -1, v58, vcc
	v_cmp_gt_i64_e32 vcc, s[12:13], v[61:62]
	s_and_b64 s[34:35], s[2:3], vcc
	s_and_saveexec_b64 s[8:9], s[34:35]
	s_cbranch_execz .LBB111_12
; %bb.11:                               ;   in Loop: Header=BB111_3 Depth=1
	v_add_co_u32_e32 v61, vcc, v50, v19
	v_addc_co_u32_e32 v62, vcc, v51, v20, vcc
	global_load_ushort v4, v[61:62], off
	v_add_co_u32_e32 v61, vcc, v52, v19
	v_addc_co_u32_e32 v62, vcc, v53, v20, vcc
	global_load_ushort v12, v[61:62], off
	s_waitcnt vmcnt(1)
	v_lshlrev_b32_e32 v4, 16, v4
	s_waitcnt vmcnt(0)
	v_lshlrev_b32_e32 v12, 16, v12
.LBB111_12:                             ;   in Loop: Header=BB111_3 Depth=1
	s_or_b64 exec, exec, s[8:9]
	v_add_co_u32_e32 v61, vcc, 0xffffffc3, v57
	v_addc_co_u32_e32 v62, vcc, -1, v58, vcc
	v_cmp_gt_i64_e32 vcc, s[12:13], v[61:62]
	s_and_b64 s[34:35], s[2:3], vcc
	s_and_saveexec_b64 s[8:9], s[34:35]
	s_cbranch_execz .LBB111_14
; %bb.13:                               ;   in Loop: Header=BB111_3 Depth=1
	v_add_co_u32_e32 v61, vcc, v46, v19
	v_addc_co_u32_e32 v62, vcc, v47, v20, vcc
	global_load_ushort v5, v[61:62], off
	v_add_co_u32_e32 v61, vcc, v48, v19
	v_addc_co_u32_e32 v62, vcc, v49, v20, vcc
	global_load_ushort v13, v[61:62], off
	s_waitcnt vmcnt(1)
	v_lshlrev_b32_e32 v5, 16, v5
	s_waitcnt vmcnt(0)
	v_lshlrev_b32_e32 v13, 16, v13
.LBB111_14:                             ;   in Loop: Header=BB111_3 Depth=1
	;; [unrolled: 19-line block ×7, first 2 shown]
	s_or_b64 exec, exec, s[8:9]
	s_waitcnt vmcnt(1)
	ds_bpermute_b32 v61, v55, v60
	ds_bpermute_b32 v64, v55, v60 offset:4
	s_waitcnt vmcnt(0)
	ds_bpermute_b32 v62, v55, v59
	ds_bpermute_b32 v65, v55, v59 offset:4
	v_add_f32_e32 v63, v54, v3
	s_waitcnt lgkmcnt(3)
	v_sub_f32_e32 v11, v11, v61
	v_mul_f32_e32 v3, v3, v11
	s_waitcnt lgkmcnt(2)
	v_sub_f32_e32 v11, v12, v64
	ds_bpermute_b32 v12, v55, v60 offset:8
	s_waitcnt lgkmcnt(2)
	v_fma_f32 v3, v3, v62, v56
	v_mul_f32_e32 v11, v4, v11
	s_waitcnt lgkmcnt(1)
	v_fmac_f32_e32 v3, v11, v65
	ds_bpermute_b32 v11, v55, v59 offset:8
	s_waitcnt lgkmcnt(1)
	v_sub_f32_e32 v12, v13, v12
	ds_bpermute_b32 v13, v55, v60 offset:12
	v_mul_f32_e32 v12, v5, v12
	v_add_f32_e32 v4, v4, v63
	s_waitcnt lgkmcnt(1)
	v_fmac_f32_e32 v3, v12, v11
	ds_bpermute_b32 v11, v55, v59 offset:12
	v_add_f32_e32 v4, v5, v4
	s_waitcnt lgkmcnt(1)
	v_sub_f32_e32 v5, v14, v13
	ds_bpermute_b32 v12, v55, v60 offset:16
	v_mul_f32_e32 v5, v6, v5
	s_waitcnt lgkmcnt(1)
	v_fmac_f32_e32 v3, v5, v11
	ds_bpermute_b32 v5, v55, v59 offset:16
	v_add_f32_e32 v4, v6, v4
	s_waitcnt lgkmcnt(1)
	v_sub_f32_e32 v6, v15, v12
	ds_bpermute_b32 v11, v55, v60 offset:20
	v_mul_f32_e32 v6, v7, v6
	;; [unrolled: 8-line block ×3, first 2 shown]
	s_waitcnt lgkmcnt(1)
	v_fmac_f32_e32 v3, v6, v5
	ds_bpermute_b32 v6, v55, v59 offset:24
	v_add_f32_e32 v5, v8, v4
	ds_bpermute_b32 v59, v55, v59 offset:28
	ds_bpermute_b32 v4, v55, v60 offset:28
	s_waitcnt lgkmcnt(3)
	v_sub_f32_e32 v7, v17, v7
	v_mul_f32_e32 v7, v9, v7
	s_waitcnt lgkmcnt(2)
	v_fmac_f32_e32 v3, v7, v6
	v_add_f32_e32 v5, v9, v5
	s_mov_b64 s[8:9], 0
.LBB111_25:                             ;   in Loop: Header=BB111_3 Depth=1
	s_and_b64 vcc, exec, s[8:9]
	s_cbranch_vccz .LBB111_40
; %bb.26:                               ;   in Loop: Header=BB111_3 Depth=1
	s_load_dword s8, s[24:25], 0x0
	s_waitcnt lgkmcnt(0)
	v_mov_b32_e32 v59, 0
	v_mov_b32_e32 v60, 0
	s_cmp_lt_u32 s6, s8
	s_cselect_b32 s8, 12, 18
	s_add_u32 s8, s24, s8
	s_addc_u32 s9, s25, 0
	global_load_ushort v3, v2, s[8:9]
	s_waitcnt vmcnt(0)
	v_mad_u32_u24 v3, v1, v3, v0
	v_and_b32_e32 v3, 63, v3
	v_cmp_gt_u32_e32 vcc, 8, v3
	s_and_saveexec_b64 s[8:9], vcc
	s_cbranch_execz .LBB111_30
; %bb.27:                               ;   in Loop: Header=BB111_3 Depth=1
	v_add_co_u32_e32 v3, vcc, v57, v3
	v_addc_co_u32_e32 v4, vcc, 0, v58, vcc
	v_add_co_u32_e32 v3, vcc, 0xffffffc1, v3
	v_addc_co_u32_e32 v4, vcc, -1, v4, vcc
	v_cmp_gt_i64_e32 vcc, s[12:13], v[3:4]
	v_mov_b32_e32 v60, 0
	v_mov_b32_e32 v59, 0
	s_and_saveexec_b64 s[34:35], vcc
	s_cbranch_execz .LBB111_29
; %bb.28:                               ;   in Loop: Header=BB111_3 Depth=1
	v_lshlrev_b64 v[3:4], 2, v[3:4]
	v_mov_b32_e32 v6, s23
	v_add_co_u32_e32 v5, vcc, s22, v3
	v_addc_co_u32_e32 v6, vcc, v6, v4, vcc
	v_mov_b32_e32 v7, s21
	v_add_co_u32_e32 v3, vcc, s20, v3
	v_addc_co_u32_e32 v4, vcc, v7, v4, vcc
	global_load_dword v60, v[3:4], off
	global_load_dword v59, v[5:6], off
.LBB111_29:                             ;   in Loop: Header=BB111_3 Depth=1
	s_or_b64 exec, exec, s[34:35]
.LBB111_30:                             ;   in Loop: Header=BB111_3 Depth=1
	s_or_b64 exec, exec, s[8:9]
	v_mov_b32_e32 v9, v2
	v_mov_b32_e32 v3, v2
	;; [unrolled: 1-line block ×23, first 2 shown]
	s_and_saveexec_b64 s[8:9], s[2:3]
	s_cbranch_execnz .LBB111_42
; %bb.31:                               ;   in Loop: Header=BB111_3 Depth=1
	s_or_b64 exec, exec, s[8:9]
	s_and_saveexec_b64 s[8:9], s[2:3]
	s_cbranch_execnz .LBB111_43
.LBB111_32:                             ;   in Loop: Header=BB111_3 Depth=1
	s_or_b64 exec, exec, s[8:9]
	s_and_saveexec_b64 s[8:9], s[2:3]
	s_cbranch_execnz .LBB111_44
.LBB111_33:                             ;   in Loop: Header=BB111_3 Depth=1
	s_or_b64 exec, exec, s[8:9]
	s_and_saveexec_b64 s[8:9], s[2:3]
	s_cbranch_execnz .LBB111_45
.LBB111_34:                             ;   in Loop: Header=BB111_3 Depth=1
	s_or_b64 exec, exec, s[8:9]
	s_and_saveexec_b64 s[8:9], s[2:3]
	s_cbranch_execnz .LBB111_46
.LBB111_35:                             ;   in Loop: Header=BB111_3 Depth=1
	s_or_b64 exec, exec, s[8:9]
	s_and_saveexec_b64 s[8:9], s[2:3]
	s_cbranch_execnz .LBB111_47
.LBB111_36:                             ;   in Loop: Header=BB111_3 Depth=1
	s_or_b64 exec, exec, s[8:9]
	s_and_saveexec_b64 s[8:9], s[2:3]
	s_cbranch_execnz .LBB111_48
.LBB111_37:                             ;   in Loop: Header=BB111_3 Depth=1
	s_or_b64 exec, exec, s[8:9]
	s_and_saveexec_b64 s[8:9], s[2:3]
	s_cbranch_execz .LBB111_39
.LBB111_38:                             ;   in Loop: Header=BB111_3 Depth=1
	v_add_co_u32_e32 v57, vcc, v26, v19
	v_addc_co_u32_e32 v58, vcc, v27, v20, vcc
	global_load_ushort v10, v[57:58], off
	v_add_co_u32_e32 v57, vcc, v28, v19
	v_addc_co_u32_e32 v58, vcc, v29, v20, vcc
	global_load_ushort v18, v[57:58], off
	s_waitcnt vmcnt(1)
	v_lshlrev_b32_e32 v10, 16, v10
	s_waitcnt vmcnt(0)
	v_lshlrev_b32_e32 v18, 16, v18
.LBB111_39:                             ;   in Loop: Header=BB111_3 Depth=1
	s_or_b64 exec, exec, s[8:9]
	s_waitcnt vmcnt(1)
	ds_bpermute_b32 v57, v55, v60
	s_waitcnt vmcnt(0)
	ds_bpermute_b32 v58, v55, v59
	ds_bpermute_b32 v61, v55, v60 offset:4
	ds_bpermute_b32 v62, v55, v59 offset:4
	v_add_f32_e32 v54, v54, v3
	s_waitcnt lgkmcnt(3)
	v_sub_f32_e32 v11, v11, v57
	v_mul_f32_e32 v3, v3, v11
	s_waitcnt lgkmcnt(2)
	v_fmac_f32_e32 v56, v3, v58
	s_waitcnt lgkmcnt(1)
	v_sub_f32_e32 v3, v12, v61
	ds_bpermute_b32 v11, v55, v60 offset:8
	v_mul_f32_e32 v3, v4, v3
	s_waitcnt lgkmcnt(1)
	v_fmac_f32_e32 v56, v3, v62
	ds_bpermute_b32 v3, v55, v59 offset:8
	ds_bpermute_b32 v12, v55, v60 offset:12
	s_waitcnt lgkmcnt(2)
	v_sub_f32_e32 v11, v13, v11
	v_mul_f32_e32 v11, v5, v11
	v_add_f32_e32 v4, v4, v54
	s_waitcnt lgkmcnt(1)
	v_fmac_f32_e32 v56, v11, v3
	ds_bpermute_b32 v3, v55, v59 offset:12
	v_add_f32_e32 v4, v5, v4
	s_waitcnt lgkmcnt(1)
	v_sub_f32_e32 v5, v14, v12
	ds_bpermute_b32 v11, v55, v60 offset:16
	v_mul_f32_e32 v5, v6, v5
	s_waitcnt lgkmcnt(1)
	v_fmac_f32_e32 v56, v5, v3
	ds_bpermute_b32 v3, v55, v59 offset:16
	v_add_f32_e32 v4, v6, v4
	s_waitcnt lgkmcnt(1)
	v_sub_f32_e32 v5, v15, v11
	ds_bpermute_b32 v6, v55, v60 offset:20
	v_mul_f32_e32 v5, v7, v5
	;; [unrolled: 8-line block ×3, first 2 shown]
	s_waitcnt lgkmcnt(1)
	v_fmac_f32_e32 v56, v5, v3
	ds_bpermute_b32 v5, v55, v59 offset:24
	v_add_f32_e32 v3, v8, v4
	ds_bpermute_b32 v59, v55, v59 offset:28
	ds_bpermute_b32 v4, v55, v60 offset:28
	s_waitcnt lgkmcnt(3)
	v_sub_f32_e32 v6, v17, v6
	v_mul_f32_e32 v6, v9, v6
	s_waitcnt lgkmcnt(2)
	v_fmac_f32_e32 v56, v6, v5
	v_add_f32_e32 v5, v9, v3
	v_mov_b32_e32 v3, v56
.LBB111_40:                             ;   in Loop: Header=BB111_3 Depth=1
	s_waitcnt lgkmcnt(0)
	v_sub_f32_e32 v4, v18, v4
	v_mul_f32_e32 v4, v10, v4
	v_fmac_f32_e32 v3, v4, v59
	v_mov_b32_e32 v4, s27
	v_add_co_u32_e32 v22, vcc, s26, v22
	v_addc_co_u32_e32 v23, vcc, v23, v4, vcc
	v_add_co_u32_e32 v24, vcc, s26, v24
	v_addc_co_u32_e32 v25, vcc, v25, v4, vcc
	;; [unrolled: 2-line block ×15, first 2 shown]
	v_add_co_u32_e32 v52, vcc, s26, v52
	v_add_f32_e32 v54, v5, v10
	s_add_u32 s30, s30, s7
	v_addc_co_u32_e32 v53, vcc, v53, v4, vcc
	v_mov_b32_e32 v4, s12
	s_addc_u32 s31, s31, 0
	v_mov_b32_e32 v5, s13
	v_cmp_lt_i64_e32 vcc, s[30:31], v[4:5]
	s_add_u32 s28, s28, s7
	s_addc_u32 s29, s29, 0
	s_cbranch_vccz .LBB111_50
; %bb.41:                               ;   in Loop: Header=BB111_3 Depth=1
	v_mov_b32_e32 v56, v3
	s_branch .LBB111_3
.LBB111_42:                             ;   in Loop: Header=BB111_3 Depth=1
	v_add_co_u32_e32 v3, vcc, v22, v19
	v_addc_co_u32_e32 v4, vcc, v23, v20, vcc
	global_load_ushort v11, v[3:4], off
	v_add_co_u32_e32 v3, vcc, v24, v19
	v_addc_co_u32_e32 v4, vcc, v25, v20, vcc
	global_load_ushort v18, v[3:4], off
	v_mov_b32_e32 v4, v2
	v_mov_b32_e32 v5, v2
	;; [unrolled: 1-line block ×13, first 2 shown]
	s_waitcnt vmcnt(1)
	v_lshlrev_b32_e32 v3, 16, v11
	s_waitcnt vmcnt(0)
	v_lshlrev_b32_e32 v11, 16, v18
	v_mov_b32_e32 v18, v2
	s_or_b64 exec, exec, s[8:9]
	s_and_saveexec_b64 s[8:9], s[2:3]
	s_cbranch_execz .LBB111_32
.LBB111_43:                             ;   in Loop: Header=BB111_3 Depth=1
	v_add_co_u32_e32 v57, vcc, v50, v19
	v_addc_co_u32_e32 v58, vcc, v51, v20, vcc
	global_load_ushort v4, v[57:58], off
	v_add_co_u32_e32 v57, vcc, v52, v19
	v_addc_co_u32_e32 v58, vcc, v53, v20, vcc
	global_load_ushort v12, v[57:58], off
	s_waitcnt vmcnt(1)
	v_lshlrev_b32_e32 v4, 16, v4
	s_waitcnt vmcnt(0)
	v_lshlrev_b32_e32 v12, 16, v12
	s_or_b64 exec, exec, s[8:9]
	s_and_saveexec_b64 s[8:9], s[2:3]
	s_cbranch_execz .LBB111_33
.LBB111_44:                             ;   in Loop: Header=BB111_3 Depth=1
	v_add_co_u32_e32 v57, vcc, v46, v19
	v_addc_co_u32_e32 v58, vcc, v47, v20, vcc
	global_load_ushort v5, v[57:58], off
	v_add_co_u32_e32 v57, vcc, v48, v19
	v_addc_co_u32_e32 v58, vcc, v49, v20, vcc
	global_load_ushort v13, v[57:58], off
	s_waitcnt vmcnt(1)
	v_lshlrev_b32_e32 v5, 16, v5
	s_waitcnt vmcnt(0)
	v_lshlrev_b32_e32 v13, 16, v13
	s_or_b64 exec, exec, s[8:9]
	s_and_saveexec_b64 s[8:9], s[2:3]
	s_cbranch_execz .LBB111_34
.LBB111_45:                             ;   in Loop: Header=BB111_3 Depth=1
	v_add_co_u32_e32 v57, vcc, v42, v19
	v_addc_co_u32_e32 v58, vcc, v43, v20, vcc
	global_load_ushort v6, v[57:58], off
	v_add_co_u32_e32 v57, vcc, v44, v19
	v_addc_co_u32_e32 v58, vcc, v45, v20, vcc
	global_load_ushort v14, v[57:58], off
	s_waitcnt vmcnt(1)
	v_lshlrev_b32_e32 v6, 16, v6
	s_waitcnt vmcnt(0)
	v_lshlrev_b32_e32 v14, 16, v14
	s_or_b64 exec, exec, s[8:9]
	s_and_saveexec_b64 s[8:9], s[2:3]
	s_cbranch_execz .LBB111_35
.LBB111_46:                             ;   in Loop: Header=BB111_3 Depth=1
	v_add_co_u32_e32 v57, vcc, v38, v19
	v_addc_co_u32_e32 v58, vcc, v39, v20, vcc
	global_load_ushort v7, v[57:58], off
	v_add_co_u32_e32 v57, vcc, v40, v19
	v_addc_co_u32_e32 v58, vcc, v41, v20, vcc
	global_load_ushort v15, v[57:58], off
	s_waitcnt vmcnt(1)
	v_lshlrev_b32_e32 v7, 16, v7
	s_waitcnt vmcnt(0)
	v_lshlrev_b32_e32 v15, 16, v15
	s_or_b64 exec, exec, s[8:9]
	s_and_saveexec_b64 s[8:9], s[2:3]
	s_cbranch_execz .LBB111_36
.LBB111_47:                             ;   in Loop: Header=BB111_3 Depth=1
	v_add_co_u32_e32 v57, vcc, v34, v19
	v_addc_co_u32_e32 v58, vcc, v35, v20, vcc
	global_load_ushort v8, v[57:58], off
	v_add_co_u32_e32 v57, vcc, v36, v19
	v_addc_co_u32_e32 v58, vcc, v37, v20, vcc
	global_load_ushort v16, v[57:58], off
	s_waitcnt vmcnt(1)
	v_lshlrev_b32_e32 v8, 16, v8
	s_waitcnt vmcnt(0)
	v_lshlrev_b32_e32 v16, 16, v16
	s_or_b64 exec, exec, s[8:9]
	s_and_saveexec_b64 s[8:9], s[2:3]
	s_cbranch_execz .LBB111_37
.LBB111_48:                             ;   in Loop: Header=BB111_3 Depth=1
	v_add_co_u32_e32 v57, vcc, v30, v19
	v_addc_co_u32_e32 v58, vcc, v31, v20, vcc
	global_load_ushort v9, v[57:58], off
	v_add_co_u32_e32 v57, vcc, v32, v19
	v_addc_co_u32_e32 v58, vcc, v33, v20, vcc
	global_load_ushort v17, v[57:58], off
	s_waitcnt vmcnt(1)
	v_lshlrev_b32_e32 v9, 16, v9
	s_waitcnt vmcnt(0)
	v_lshlrev_b32_e32 v17, 16, v17
	s_or_b64 exec, exec, s[8:9]
	s_and_saveexec_b64 s[8:9], s[2:3]
	s_cbranch_execnz .LBB111_38
	s_branch .LBB111_39
.LBB111_49:
                                        ; implicit-def: $vgpr3
                                        ; implicit-def: $vgpr54
	s_branch .LBB111_51
.LBB111_50:
	s_cbranch_execnz .LBB111_83
.LBB111_51:
	v_mov_b32_e32 v3, 0
	s_and_b64 vcc, exec, s[0:1]
	v_mov_b32_e32 v54, 0
	s_cbranch_vccnz .LBB111_83
; %bb.52:
	v_lshlrev_b32_e32 v49, 3, v1
	v_add_co_u32_e32 v8, vcc, s10, v49
	v_addc_co_u32_e64 v9, s[0:1], 0, 0, vcc
	s_load_dword s7, s[4:5], 0x44
	v_mul_lo_u32 v4, s15, v8
	v_mul_lo_u32 v5, s14, v9
	v_mad_u64_u32 v[2:3], s[0:1], s14, v8, 0
	s_add_u32 s2, s4, 64
	s_addc_u32 s3, s5, 0
	v_add3_u32 v3, v3, v5, v4
	s_waitcnt lgkmcnt(0)
	s_lshl_b32 s7, s7, 6
	v_lshlrev_b64 v[4:5], 1, v[2:3]
	s_mul_i32 s0, s15, s7
	s_mul_hi_u32 s1, s14, s7
	v_mov_b32_e32 v6, s17
	v_add_co_u32_e32 v50, vcc, s16, v4
	s_add_i32 s1, s1, s0
	s_mul_i32 s0, s14, s7
	v_addc_co_u32_e32 v51, vcc, v6, v5, vcc
	s_lshl_b64 s[8:9], s[0:1], 1
	v_mov_b32_e32 v6, s19
	v_add_co_u32_e32 v52, vcc, s18, v4
	s_add_u32 s24, s10, 63
	v_addc_co_u32_e32 v53, vcc, v6, v5, vcc
	s_addc_u32 s25, 0, 0
	v_lshlrev_b32_e32 v4, 4, v1
	s_lshl_b64 s[0:1], s[10:11], 1
	v_mov_b32_e32 v5, s1
	v_add_co_u32_e32 v10, vcc, s0, v4
	v_addc_co_u32_e32 v11, vcc, 0, v5, vcc
	v_add_co_u32_e32 v12, vcc, 2, v10
	v_addc_co_u32_e32 v6, vcc, 0, v11, vcc
	v_mov_b32_e32 v4, s16
	v_mul_lo_u32 v14, s14, v6
	v_mov_b32_e32 v6, s18
	v_mov_b32_e32 v5, s17
	;; [unrolled: 1-line block ×3, first 2 shown]
	v_mad_u64_u32 v[19:20], s[0:1], s14, v12, v[4:5]
	v_mul_lo_u32 v15, s15, v12
	v_mad_u64_u32 v[21:22], s[0:1], s14, v12, v[6:7]
	v_add_co_u32_e32 v12, vcc, 4, v10
	v_addc_co_u32_e32 v16, vcc, 0, v11, vcc
	v_mov_b32_e32 v13, s15
	v_add_co_u32_e32 v2, vcc, s14, v2
	v_addc_co_u32_e32 v3, vcc, v3, v13, vcc
	v_mul_lo_u32 v17, s15, v12
	v_mad_u64_u32 v[23:24], s[0:1], s14, v12, v[4:5]
	v_mad_u64_u32 v[25:26], s[0:1], s14, v12, v[6:7]
	v_add_co_u32_e32 v12, vcc, 6, v10
	v_addc_co_u32_e32 v13, vcc, 0, v11, vcc
	v_add3_u32 v20, v15, v20, v14
	v_add3_u32 v22, v15, v22, v14
	v_mul_lo_u32 v13, s14, v13
	v_mul_lo_u32 v14, s15, v12
	v_mad_u64_u32 v[27:28], s[0:1], s14, v12, v[4:5]
	v_mad_u64_u32 v[29:30], s[0:1], s14, v12, v[6:7]
	v_add_co_u32_e32 v12, vcc, 8, v10
	v_mul_lo_u32 v16, s14, v16
	v_addc_co_u32_e32 v15, vcc, 0, v11, vcc
	v_mul_lo_u32 v18, s15, v12
	v_mad_u64_u32 v[31:32], s[0:1], s14, v12, v[4:5]
	v_mad_u64_u32 v[33:34], s[0:1], s14, v12, v[6:7]
	v_add_co_u32_e32 v12, vcc, 10, v10
	v_add3_u32 v28, v14, v28, v13
	v_add3_u32 v30, v14, v30, v13
	v_addc_co_u32_e32 v13, vcc, 0, v11, vcc
	v_mul_lo_u32 v14, s15, v12
	v_mad_u64_u32 v[35:36], s[0:1], s14, v12, v[4:5]
	v_mad_u64_u32 v[37:38], s[0:1], s14, v12, v[6:7]
	v_add_co_u32_e32 v12, vcc, 12, v10
	v_add3_u32 v24, v17, v24, v16
	v_add3_u32 v26, v17, v26, v16
	v_addc_co_u32_e32 v16, vcc, 0, v11, vcc
	v_add_co_u32_e32 v10, vcc, 14, v10
	v_addc_co_u32_e32 v11, vcc, 0, v11, vcc
	v_mad_u64_u32 v[39:40], s[0:1], s14, v12, v[4:5]
	v_mad_u64_u32 v[43:44], s[0:1], s14, v10, v[4:5]
	v_add_co_u32_e32 v4, vcc, 7, v8
	v_addc_co_u32_e32 v5, vcc, 0, v9, vcc
	v_mad_u64_u32 v[41:42], s[0:1], s14, v12, v[6:7]
	v_mad_u64_u32 v[45:46], s[0:1], s14, v10, v[6:7]
	v_mul_lo_u32 v6, s15, v10
	v_mul_lo_u32 v7, s14, v5
	v_mul_lo_u32 v10, s15, v4
	v_mad_u64_u32 v[4:5], s[0:1], s14, v4, 0
	v_mul_lo_u32 v11, s14, v11
	v_mul_lo_u32 v17, s15, v12
	v_add3_u32 v5, v5, v7, v10
	v_lshlrev_b64 v[4:5], 1, v[4:5]
	v_add3_u32 v44, v6, v44, v11
	v_add3_u32 v46, v6, v46, v11
	v_mov_b32_e32 v6, s17
	v_add_co_u32_e32 v55, vcc, s16, v4
	v_addc_co_u32_e32 v56, vcc, v6, v5, vcc
	v_add_co_u32_e32 v6, vcc, 6, v8
	v_addc_co_u32_e32 v7, vcc, 0, v9, vcc
	v_mul_lo_u32 v11, s14, v7
	v_mul_lo_u32 v12, s15, v6
	v_mad_u64_u32 v[6:7], s[0:1], s14, v6, 0
	v_mov_b32_e32 v10, s19
	v_add_co_u32_e32 v57, vcc, s18, v4
	v_add3_u32 v7, v7, v11, v12
	v_addc_co_u32_e32 v58, vcc, v10, v5, vcc
	v_lshlrev_b64 v[4:5], 1, v[6:7]
	v_mov_b32_e32 v6, s17
	v_add_co_u32_e32 v59, vcc, s16, v4
	v_addc_co_u32_e32 v60, vcc, v6, v5, vcc
	v_add_co_u32_e32 v6, vcc, 5, v8
	v_addc_co_u32_e32 v7, vcc, 0, v9, vcc
	v_mul_lo_u32 v11, s14, v7
	v_mul_lo_u32 v12, s15, v6
	v_mad_u64_u32 v[6:7], s[0:1], s14, v6, 0
	v_add_co_u32_e32 v61, vcc, s18, v4
	v_add3_u32 v7, v7, v11, v12
	v_addc_co_u32_e32 v62, vcc, v10, v5, vcc
	v_lshlrev_b64 v[4:5], 1, v[6:7]
	v_mov_b32_e32 v6, s17
	v_add_co_u32_e32 v63, vcc, s16, v4
	v_addc_co_u32_e32 v64, vcc, v6, v5, vcc
	v_add_co_u32_e32 v6, vcc, 4, v8
	v_addc_co_u32_e32 v7, vcc, 0, v9, vcc
	v_mul_lo_u32 v11, s14, v7
	v_mul_lo_u32 v12, s15, v6
	v_mad_u64_u32 v[6:7], s[0:1], s14, v6, 0
	;; [unrolled: 12-line block ×4, first 2 shown]
	v_add_co_u32_e32 v73, vcc, s18, v4
	v_add3_u32 v7, v7, v8, v9
	v_addc_co_u32_e32 v74, vcc, v10, v5, vcc
	v_lshlrev_b64 v[4:5], 1, v[6:7]
	v_mov_b32_e32 v6, s17
	v_add_co_u32_e32 v75, vcc, s16, v4
	v_addc_co_u32_e32 v76, vcc, v6, v5, vcc
	v_mov_b32_e32 v6, s19
	v_add_co_u32_e32 v77, vcc, s18, v4
	v_lshlrev_b64 v[2:3], 1, v[2:3]
	v_addc_co_u32_e32 v78, vcc, v6, v5, vcc
	v_mov_b32_e32 v4, s17
	v_add_co_u32_e32 v79, vcc, s16, v2
	v_addc_co_u32_e32 v80, vcc, v4, v3, vcc
	v_mov_b32_e32 v4, s19
	v_add_co_u32_e32 v81, vcc, s18, v2
	v_mov_b32_e32 v2, 0
	v_mul_lo_u32 v15, s14, v15
	v_mul_lo_u32 v13, s14, v13
	;; [unrolled: 1-line block ×3, first 2 shown]
	v_addc_co_u32_e32 v82, vcc, v4, v3, vcc
	v_add_u32_e32 v3, s33, v0
	v_mov_b32_e32 v4, v2
	v_lshlrev_b64 v[47:48], 1, v[3:4]
	v_mbcnt_lo_u32_b32 v3, -1, 0
	v_mbcnt_hi_u32_b32 v3, -1, v3
	v_lshlrev_b32_e32 v3, 2, v3
	v_add3_u32 v32, v18, v32, v15
	v_add3_u32 v34, v18, v34, v15
	;; [unrolled: 1-line block ×6, first 2 shown]
	v_and_b32_e32 v83, 0x100, v3
	v_mov_b32_e32 v85, 0
	v_mov_b32_e32 v84, 0
.LBB111_53:                             ; =>This Inner Loop Header: Depth=1
	v_mov_b32_e32 v3, s12
	v_mov_b32_e32 v4, s13
	v_cmp_ge_i64_e32 vcc, s[24:25], v[3:4]
	v_mov_b32_e32 v3, s25
	v_add_co_u32_e64 v86, s[0:1], s24, v49
	v_addc_co_u32_e64 v87, s[0:1], 0, v3, s[0:1]
	s_mov_b64 s[0:1], -1
                                        ; implicit-def: $vgpr54
                                        ; implicit-def: $vgpr3
	s_cbranch_vccz .LBB111_75
; %bb.54:                               ;   in Loop: Header=BB111_53 Depth=1
	s_load_dword s0, s[2:3], 0xc
	v_mov_b32_e32 v54, 0
	v_mov_b32_e32 v88, 0
	s_waitcnt lgkmcnt(0)
	s_and_b32 s0, s0, 0xffff
	v_mad_u32_u24 v3, v1, s0, v0
	v_and_b32_e32 v3, 63, v3
	v_cmp_gt_u32_e32 vcc, 8, v3
	s_and_saveexec_b64 s[0:1], vcc
	s_cbranch_execz .LBB111_58
; %bb.55:                               ;   in Loop: Header=BB111_53 Depth=1
	v_add_co_u32_e32 v3, vcc, v86, v3
	v_addc_co_u32_e32 v4, vcc, 0, v87, vcc
	v_add_co_u32_e32 v3, vcc, 0xffffffc1, v3
	v_addc_co_u32_e32 v4, vcc, -1, v4, vcc
	v_cmp_gt_i64_e32 vcc, s[12:13], v[3:4]
	v_mov_b32_e32 v88, 0
	v_mov_b32_e32 v54, 0
	s_and_saveexec_b64 s[16:17], vcc
	s_cbranch_execz .LBB111_57
; %bb.56:                               ;   in Loop: Header=BB111_53 Depth=1
	v_lshlrev_b64 v[3:4], 2, v[3:4]
	v_mov_b32_e32 v6, s23
	v_add_co_u32_e32 v5, vcc, s22, v3
	v_addc_co_u32_e32 v6, vcc, v6, v4, vcc
	v_mov_b32_e32 v7, s21
	v_add_co_u32_e32 v3, vcc, s20, v3
	v_addc_co_u32_e32 v4, vcc, v7, v4, vcc
	global_load_dword v88, v[3:4], off
	global_load_dword v54, v[5:6], off
.LBB111_57:                             ;   in Loop: Header=BB111_53 Depth=1
	s_or_b64 exec, exec, s[16:17]
.LBB111_58:                             ;   in Loop: Header=BB111_53 Depth=1
	s_or_b64 exec, exec, s[0:1]
	v_add_co_u32_e32 v3, vcc, 0xffffffc1, v86
	v_addc_co_u32_e32 v4, vcc, -1, v87, vcc
	v_mov_b32_e32 v9, v2
	v_cmp_gt_i64_e32 vcc, s[12:13], v[3:4]
	v_mov_b32_e32 v3, v2
	v_mov_b32_e32 v4, v2
	;; [unrolled: 1-line block ×22, first 2 shown]
	s_and_saveexec_b64 s[0:1], vcc
	s_cbranch_execz .LBB111_60
; %bb.59:                               ;   in Loop: Header=BB111_53 Depth=1
	v_add_co_u32_e32 v3, vcc, v50, v47
	v_addc_co_u32_e32 v4, vcc, v51, v48, vcc
	global_load_ushort v11, v[3:4], off
	v_add_co_u32_e32 v3, vcc, v52, v47
	v_addc_co_u32_e32 v4, vcc, v53, v48, vcc
	global_load_ushort v18, v[3:4], off
	v_mov_b32_e32 v4, v2
	v_mov_b32_e32 v5, v2
	;; [unrolled: 1-line block ×13, first 2 shown]
	s_waitcnt vmcnt(1)
	v_lshlrev_b32_e32 v3, 16, v11
	s_waitcnt vmcnt(0)
	v_lshlrev_b32_e32 v11, 16, v18
	v_mov_b32_e32 v18, v2
.LBB111_60:                             ;   in Loop: Header=BB111_53 Depth=1
	s_or_b64 exec, exec, s[0:1]
	v_add_co_u32_e32 v89, vcc, 0xffffffc2, v86
	v_addc_co_u32_e32 v90, vcc, -1, v87, vcc
	v_cmp_gt_i64_e32 vcc, s[12:13], v[89:90]
	s_and_saveexec_b64 s[0:1], vcc
	s_cbranch_execz .LBB111_62
; %bb.61:                               ;   in Loop: Header=BB111_53 Depth=1
	v_add_co_u32_e32 v89, vcc, v79, v47
	v_addc_co_u32_e32 v90, vcc, v80, v48, vcc
	global_load_ushort v4, v[89:90], off
	v_add_co_u32_e32 v89, vcc, v81, v47
	v_addc_co_u32_e32 v90, vcc, v82, v48, vcc
	global_load_ushort v12, v[89:90], off
	s_waitcnt vmcnt(1)
	v_lshlrev_b32_e32 v4, 16, v4
	s_waitcnt vmcnt(0)
	v_lshlrev_b32_e32 v12, 16, v12
.LBB111_62:                             ;   in Loop: Header=BB111_53 Depth=1
	s_or_b64 exec, exec, s[0:1]
	v_add_co_u32_e32 v89, vcc, 0xffffffc3, v86
	v_addc_co_u32_e32 v90, vcc, -1, v87, vcc
	v_cmp_gt_i64_e32 vcc, s[12:13], v[89:90]
	s_and_saveexec_b64 s[0:1], vcc
	s_cbranch_execz .LBB111_64
; %bb.63:                               ;   in Loop: Header=BB111_53 Depth=1
	v_add_co_u32_e32 v89, vcc, v75, v47
	v_addc_co_u32_e32 v90, vcc, v76, v48, vcc
	global_load_ushort v5, v[89:90], off
	v_add_co_u32_e32 v89, vcc, v77, v47
	v_addc_co_u32_e32 v90, vcc, v78, v48, vcc
	global_load_ushort v13, v[89:90], off
	s_waitcnt vmcnt(1)
	v_lshlrev_b32_e32 v5, 16, v5
	s_waitcnt vmcnt(0)
	v_lshlrev_b32_e32 v13, 16, v13
.LBB111_64:                             ;   in Loop: Header=BB111_53 Depth=1
	;; [unrolled: 18-line block ×7, first 2 shown]
	s_or_b64 exec, exec, s[0:1]
	s_waitcnt vmcnt(1)
	ds_bpermute_b32 v89, v83, v88
	ds_bpermute_b32 v92, v83, v88 offset:4
	s_waitcnt vmcnt(0)
	ds_bpermute_b32 v90, v83, v54
	ds_bpermute_b32 v93, v83, v54 offset:4
	v_add_f32_e32 v91, v85, v3
	s_waitcnt lgkmcnt(3)
	v_sub_f32_e32 v11, v11, v89
	v_mul_f32_e32 v3, v3, v11
	s_waitcnt lgkmcnt(2)
	v_sub_f32_e32 v11, v12, v92
	ds_bpermute_b32 v12, v83, v88 offset:8
	s_waitcnt lgkmcnt(2)
	v_fma_f32 v3, v3, v90, v84
	v_mul_f32_e32 v11, v4, v11
	s_waitcnt lgkmcnt(1)
	v_fmac_f32_e32 v3, v11, v93
	ds_bpermute_b32 v11, v83, v54 offset:8
	s_waitcnt lgkmcnt(1)
	v_sub_f32_e32 v12, v13, v12
	ds_bpermute_b32 v13, v83, v88 offset:12
	v_mul_f32_e32 v12, v5, v12
	v_add_f32_e32 v4, v4, v91
	s_waitcnt lgkmcnt(1)
	v_fmac_f32_e32 v3, v12, v11
	ds_bpermute_b32 v11, v83, v54 offset:12
	v_add_f32_e32 v4, v5, v4
	s_waitcnt lgkmcnt(1)
	v_sub_f32_e32 v5, v14, v13
	ds_bpermute_b32 v12, v83, v88 offset:16
	v_mul_f32_e32 v5, v6, v5
	s_waitcnt lgkmcnt(1)
	v_fmac_f32_e32 v3, v5, v11
	ds_bpermute_b32 v5, v83, v54 offset:16
	v_add_f32_e32 v4, v6, v4
	s_waitcnt lgkmcnt(1)
	v_sub_f32_e32 v6, v15, v12
	ds_bpermute_b32 v11, v83, v88 offset:20
	v_mul_f32_e32 v6, v7, v6
	s_waitcnt lgkmcnt(1)
	v_fmac_f32_e32 v3, v6, v5
	ds_bpermute_b32 v5, v83, v54 offset:20
	v_add_f32_e32 v4, v7, v4
	ds_bpermute_b32 v7, v83, v88 offset:24
	s_waitcnt lgkmcnt(2)
	v_sub_f32_e32 v6, v16, v11
	v_mul_f32_e32 v6, v8, v6
	s_waitcnt lgkmcnt(1)
	v_fmac_f32_e32 v3, v6, v5
	ds_bpermute_b32 v5, v83, v54 offset:24
	s_waitcnt lgkmcnt(1)
	v_sub_f32_e32 v6, v17, v7
	ds_bpermute_b32 v7, v83, v88 offset:28
	v_add_f32_e32 v4, v8, v4
	ds_bpermute_b32 v8, v83, v54 offset:28
	v_mul_f32_e32 v6, v9, v6
	s_waitcnt lgkmcnt(2)
	v_fmac_f32_e32 v3, v6, v5
	s_waitcnt lgkmcnt(1)
	v_sub_f32_e32 v5, v18, v7
	v_add_f32_e32 v4, v9, v4
	v_mul_f32_e32 v5, v10, v5
	s_waitcnt lgkmcnt(0)
	v_fmac_f32_e32 v3, v5, v8
	v_add_f32_e32 v54, v10, v4
	s_mov_b64 s[0:1], 0
.LBB111_75:                             ;   in Loop: Header=BB111_53 Depth=1
	s_and_b64 vcc, exec, s[0:1]
	s_cbranch_vccz .LBB111_81
; %bb.76:                               ;   in Loop: Header=BB111_53 Depth=1
	s_load_dword s0, s[2:3], 0x0
	v_mov_b32_e32 v5, 0
	v_mov_b32_e32 v6, 0
	s_waitcnt lgkmcnt(0)
	s_cmp_lt_u32 s6, s0
	s_cselect_b32 s0, 12, 18
	s_add_u32 s0, s2, s0
	s_addc_u32 s1, s3, 0
	global_load_ushort v3, v2, s[0:1]
	s_waitcnt vmcnt(0)
	v_mad_u32_u24 v3, v1, v3, v0
	v_and_b32_e32 v3, 63, v3
	v_cmp_gt_u32_e32 vcc, 8, v3
	s_and_saveexec_b64 s[0:1], vcc
	s_cbranch_execz .LBB111_80
; %bb.77:                               ;   in Loop: Header=BB111_53 Depth=1
	v_add_co_u32_e32 v3, vcc, v86, v3
	v_addc_co_u32_e32 v4, vcc, 0, v87, vcc
	v_add_co_u32_e32 v3, vcc, 0xffffffc1, v3
	v_addc_co_u32_e32 v4, vcc, -1, v4, vcc
	v_cmp_gt_i64_e32 vcc, s[12:13], v[3:4]
	v_mov_b32_e32 v6, 0
	v_mov_b32_e32 v5, 0
	s_and_saveexec_b64 s[16:17], vcc
	s_cbranch_execz .LBB111_79
; %bb.78:                               ;   in Loop: Header=BB111_53 Depth=1
	v_lshlrev_b64 v[3:4], 2, v[3:4]
	v_mov_b32_e32 v5, s23
	v_add_co_u32_e32 v7, vcc, s22, v3
	v_addc_co_u32_e32 v8, vcc, v5, v4, vcc
	v_mov_b32_e32 v5, s21
	v_add_co_u32_e32 v3, vcc, s20, v3
	v_addc_co_u32_e32 v4, vcc, v5, v4, vcc
	global_load_dword v6, v[3:4], off
	global_load_dword v5, v[7:8], off
.LBB111_79:                             ;   in Loop: Header=BB111_53 Depth=1
	s_or_b64 exec, exec, s[16:17]
.LBB111_80:                             ;   in Loop: Header=BB111_53 Depth=1
	s_or_b64 exec, exec, s[0:1]
	v_add_co_u32_e32 v3, vcc, v50, v47
	v_addc_co_u32_e32 v4, vcc, v51, v48, vcc
	global_load_ushort v7, v[3:4], off
	v_add_co_u32_e32 v3, vcc, v52, v47
	v_addc_co_u32_e32 v4, vcc, v53, v48, vcc
	global_load_ushort v8, v[3:4], off
	;; [unrolled: 3-line block ×16, first 2 shown]
	s_waitcnt vmcnt(16)
	ds_bpermute_b32 v88, v83, v5
	s_waitcnt vmcnt(15)
	v_lshlrev_b32_e32 v4, 16, v7
	s_waitcnt vmcnt(14)
	v_lshlrev_b32_e32 v7, 16, v8
	;; [unrolled: 2-line block ×13, first 2 shown]
	ds_bpermute_b32 v54, v83, v6
	s_waitcnt vmcnt(2)
	v_lshlrev_b32_e32 v86, 16, v86
	s_waitcnt lgkmcnt(0)
	v_sub_f32_e32 v7, v7, v54
	ds_bpermute_b32 v54, v83, v6 offset:4
	v_mul_f32_e32 v7, v7, v4
	v_fmac_f32_e32 v84, v7, v88
	ds_bpermute_b32 v7, v83, v5 offset:4
	v_add_f32_e32 v4, v85, v4
	s_waitcnt lgkmcnt(1)
	v_sub_f32_e32 v9, v9, v54
	ds_bpermute_b32 v54, v83, v6 offset:8
	v_mul_f32_e32 v9, v9, v8
	s_waitcnt lgkmcnt(1)
	v_fmac_f32_e32 v84, v9, v7
	ds_bpermute_b32 v7, v83, v5 offset:8
	v_add_f32_e32 v4, v4, v8
	s_waitcnt lgkmcnt(1)
	v_sub_f32_e32 v8, v11, v54
	ds_bpermute_b32 v9, v83, v6 offset:12
	v_mul_f32_e32 v8, v8, v10
	s_waitcnt lgkmcnt(1)
	;; [unrolled: 8-line block ×3, first 2 shown]
	v_fmac_f32_e32 v84, v8, v7
	ds_bpermute_b32 v7, v83, v5 offset:16
	s_waitcnt vmcnt(0)
	v_lshlrev_b32_e32 v3, 16, v3
	s_waitcnt lgkmcnt(1)
	v_sub_f32_e32 v8, v15, v9
	ds_bpermute_b32 v9, v83, v6 offset:20
	v_mul_f32_e32 v8, v8, v14
	s_waitcnt lgkmcnt(1)
	v_fmac_f32_e32 v84, v8, v7
	ds_bpermute_b32 v7, v83, v5 offset:20
	v_add_f32_e32 v4, v4, v12
	s_waitcnt lgkmcnt(1)
	v_sub_f32_e32 v8, v17, v9
	ds_bpermute_b32 v9, v83, v6 offset:24
	v_mul_f32_e32 v8, v8, v16
	ds_bpermute_b32 v6, v83, v6 offset:28
	s_waitcnt lgkmcnt(2)
	v_fmac_f32_e32 v84, v8, v7
	ds_bpermute_b32 v7, v83, v5 offset:24
	ds_bpermute_b32 v5, v83, v5 offset:28
	s_waitcnt lgkmcnt(3)
	v_sub_f32_e32 v8, v86, v9
	v_lshlrev_b32_e32 v87, 16, v87
	v_add_f32_e32 v4, v4, v14
	v_mul_f32_e32 v8, v8, v18
	s_waitcnt lgkmcnt(2)
	v_sub_f32_e32 v3, v3, v6
	v_add_f32_e32 v4, v4, v16
	s_waitcnt lgkmcnt(1)
	v_fmac_f32_e32 v84, v8, v7
	v_mul_f32_e32 v3, v3, v87
	v_add_f32_e32 v4, v4, v18
	s_waitcnt lgkmcnt(0)
	v_fmac_f32_e32 v84, v3, v5
	v_add_f32_e32 v54, v4, v87
	v_mov_b32_e32 v3, v84
.LBB111_81:                             ;   in Loop: Header=BB111_53 Depth=1
	v_mov_b32_e32 v6, s9
	v_add_co_u32_e32 v50, vcc, s8, v50
	v_addc_co_u32_e32 v51, vcc, v51, v6, vcc
	v_add_co_u32_e32 v52, vcc, s8, v52
	v_addc_co_u32_e32 v53, vcc, v53, v6, vcc
	;; [unrolled: 2-line block ×28, first 2 shown]
	s_add_u32 s10, s10, s7
	v_add_co_u32_e32 v79, vcc, s8, v79
	v_mov_b32_e32 v4, s12
	s_addc_u32 s11, s11, 0
	v_addc_co_u32_e32 v80, vcc, v80, v6, vcc
	v_mov_b32_e32 v5, s13
	v_cmp_ge_i64_e32 vcc, s[10:11], v[4:5]
	s_add_u32 s24, s24, s7
	v_add_co_u32_e64 v81, s[0:1], s8, v81
	s_addc_u32 s25, s25, 0
	v_addc_co_u32_e64 v82, s[0:1], v82, v6, s[0:1]
	s_cbranch_vccnz .LBB111_83
; %bb.82:                               ;   in Loop: Header=BB111_53 Depth=1
	v_mov_b32_e32 v85, v54
	v_mov_b32_e32 v84, v3
	s_branch .LBB111_53
.LBB111_83:
	v_mad_u32_u24 v2, v1, 33, v0
	v_lshl_add_u32 v4, v2, 2, 0
	ds_write_b32 v4, v3
	ds_write_b32 v4, v54 offset:1056
	v_sub_u32_e32 v3, v2, v1
	s_movk_i32 s0, 0x800
	v_cmp_gt_u32_e32 vcc, s0, v3
	s_waitcnt lgkmcnt(0)
	s_barrier
	s_and_saveexec_b64 s[0:1], vcc
	s_cbranch_execz .LBB111_147
; %bb.84:
	s_load_dwordx4 s[8:11], s[4:5], 0x30
	v_and_b32_e32 v1, 63, v3
	v_lshrrev_b32_e32 v2, 6, v3
	v_cmp_gt_u32_e64 s[0:1], 8, v1
	v_mul_u32_u24_e32 v4, 33, v1
                                        ; implicit-def: $vgpr1
                                        ; implicit-def: $vgpr6
	s_and_saveexec_b64 s[2:3], s[0:1]
	s_cbranch_execz .LBB111_86
; %bb.85:
	v_add_u32_e32 v1, v2, v4
	v_lshl_add_u32 v1, v1, 2, 0
	ds_read_b32 v6, v1
	ds_read_b32 v1, v1 offset:1056
.LBB111_86:
	s_or_b64 exec, exec, s[2:3]
	v_mbcnt_lo_u32_b32 v5, -1, 0
	v_mbcnt_hi_u32_b32 v7, -1, v5
	v_and_b32_e32 v5, 64, v7
	v_add_u32_e32 v8, 64, v5
	v_xor_b32_e32 v5, 4, v7
	v_cmp_lt_i32_e32 vcc, v5, v8
	v_cndmask_b32_e32 v5, v7, v5, vcc
	v_lshlrev_b32_e32 v5, 2, v5
	s_waitcnt lgkmcnt(0)
	ds_bpermute_b32 v9, v5, v6
	ds_bpermute_b32 v10, v5, v1
	v_cmp_eq_u32_e64 s[2:3], 0, v0
	s_mov_b32 s7, 0
	s_lshl_b64 s[4:5], s[6:7], 5
	s_waitcnt lgkmcnt(1)
	v_add_f32_e32 v9, v6, v9
	v_xor_b32_e32 v6, 2, v7
	v_cmp_lt_i32_e32 vcc, v6, v8
	v_cndmask_b32_e32 v6, v7, v6, vcc
	v_lshlrev_b32_e32 v6, 2, v6
	ds_bpermute_b32 v11, v6, v9
	s_waitcnt lgkmcnt(1)
	v_add_f32_e32 v0, v1, v10
	v_xor_b32_e32 v10, 1, v7
	v_cmp_lt_i32_e32 vcc, v10, v8
	v_cndmask_b32_e32 v7, v7, v10, vcc
	s_waitcnt lgkmcnt(0)
	v_add_f32_e32 v1, v9, v11
	ds_bpermute_b32 v9, v6, v0
	v_lshlrev_b32_e32 v7, 2, v7
	ds_bpermute_b32 v8, v7, v1
	s_cmp_lg_u64 s[8:9], 0
	s_cselect_b64 s[12:13], -1, 0
	s_waitcnt lgkmcnt(1)
	v_add_f32_e32 v9, v0, v9
	ds_bpermute_b32 v10, v7, v9
	s_waitcnt lgkmcnt(1)
	v_add_f32_e32 v8, v1, v8
	v_or_b32_e32 v0, s4, v2
	v_mov_b32_e32 v1, s5
	v_cmp_gt_i64_e32 vcc, s[14:15], v[0:1]
	s_cmp_lg_u64 s[10:11], 0
	s_cselect_b64 s[6:7], -1, 0
	s_waitcnt lgkmcnt(0)
	v_add_f32_e32 v9, v9, v10
	s_and_b64 s[18:19], s[2:3], vcc
	s_and_saveexec_b64 s[16:17], s[18:19]
	s_cbranch_execz .LBB111_91
; %bb.87:
	v_lshlrev_b64 v[0:1], 1, v[0:1]
	s_andn2_b64 vcc, exec, s[12:13]
	s_cbranch_vccnz .LBB111_89
; %bb.88:
	v_bfe_u32 v10, v8, 16, 1
	s_movk_i32 s18, 0x7fff
	v_add3_u32 v10, v8, v10, s18
	v_cmp_o_f32_e32 vcc, v8, v8
	v_mov_b32_e32 v11, 0x7fc0
	v_cndmask_b32_sdwa v12, v11, v10, vcc dst_sel:DWORD dst_unused:UNUSED_PAD src0_sel:DWORD src1_sel:WORD_1
	v_mov_b32_e32 v11, s9
	v_add_co_u32_e32 v10, vcc, s8, v0
	v_addc_co_u32_e32 v11, vcc, v11, v1, vcc
	global_store_short v[10:11], v12, off
.LBB111_89:
	s_andn2_b64 vcc, exec, s[6:7]
	s_cbranch_vccnz .LBB111_91
; %bb.90:
	v_bfe_u32 v10, v9, 16, 1
	s_movk_i32 s18, 0x7fff
	v_add3_u32 v10, v9, v10, s18
	v_cmp_o_f32_e32 vcc, v9, v9
	v_mov_b32_e32 v11, 0x7fc0
	v_cndmask_b32_sdwa v10, v11, v10, vcc dst_sel:DWORD dst_unused:UNUSED_PAD src0_sel:DWORD src1_sel:WORD_1
	v_mov_b32_e32 v11, s11
	v_add_co_u32_e32 v0, vcc, s10, v0
	v_addc_co_u32_e32 v1, vcc, v11, v1, vcc
	global_store_short v[0:1], v10, off
.LBB111_91:
	s_or_b64 exec, exec, s[16:17]
	s_movk_i32 s16, 0x700
	v_cmp_gt_u32_e32 vcc, s16, v3
	s_and_b64 exec, exec, vcc
	s_cbranch_execz .LBB111_147
; %bb.92:
	s_and_saveexec_b64 s[16:17], s[0:1]
	s_cbranch_execz .LBB111_94
; %bb.93:
	v_add_u32_e32 v0, v2, v4
	v_lshl_add_u32 v0, v0, 2, 0
	ds_read_b32 v8, v0 offset:16
	ds_read_b32 v9, v0 offset:1072
.LBB111_94:
	s_or_b64 exec, exec, s[16:17]
	s_waitcnt lgkmcnt(1)
	ds_bpermute_b32 v0, v5, v8
	s_waitcnt lgkmcnt(1)
	ds_bpermute_b32 v1, v5, v9
	v_add_u32_e32 v10, 4, v2
	v_mov_b32_e32 v11, s5
	s_waitcnt lgkmcnt(1)
	v_add_f32_e32 v0, v8, v0
	s_waitcnt lgkmcnt(0)
	v_add_f32_e32 v1, v9, v1
	ds_bpermute_b32 v8, v6, v0
	ds_bpermute_b32 v9, v6, v1
	s_waitcnt lgkmcnt(1)
	v_add_f32_e32 v8, v0, v8
	s_waitcnt lgkmcnt(0)
	v_add_f32_e32 v9, v1, v9
	ds_bpermute_b32 v12, v7, v8
	ds_bpermute_b32 v13, v7, v9
	v_add_co_u32_e32 v0, vcc, s4, v10
	v_addc_co_u32_e32 v1, vcc, 0, v11, vcc
	v_cmp_gt_i64_e32 vcc, s[14:15], v[0:1]
	s_waitcnt lgkmcnt(1)
	v_add_f32_e32 v0, v8, v12
	s_waitcnt lgkmcnt(0)
	v_add_f32_e32 v1, v9, v13
	s_and_b64 s[18:19], s[2:3], vcc
	s_and_saveexec_b64 s[16:17], s[18:19]
	s_cbranch_execz .LBB111_99
; %bb.95:
	s_andn2_b64 vcc, exec, s[12:13]
	s_cbranch_vccnz .LBB111_97
; %bb.96:
	v_bfe_u32 v8, v0, 16, 1
	s_movk_i32 s18, 0x7fff
	v_add3_u32 v8, v0, v8, s18
	v_cmp_o_f32_e32 vcc, v0, v0
	v_mov_b32_e32 v9, 0x7fc0
	v_cndmask_b32_sdwa v10, v9, v8, vcc dst_sel:DWORD dst_unused:UNUSED_PAD src0_sel:DWORD src1_sel:WORD_1
	v_mov_b32_e32 v9, s5
	v_add_co_u32_e32 v8, vcc, s4, v2
	v_addc_co_u32_e32 v9, vcc, 0, v9, vcc
	v_lshlrev_b64 v[8:9], 1, v[8:9]
	v_mov_b32_e32 v11, s9
	v_add_co_u32_e32 v8, vcc, s8, v8
	v_addc_co_u32_e32 v9, vcc, v11, v9, vcc
	global_store_short v[8:9], v10, off offset:8
.LBB111_97:
	s_andn2_b64 vcc, exec, s[6:7]
	s_cbranch_vccnz .LBB111_99
; %bb.98:
	v_bfe_u32 v8, v1, 16, 1
	s_movk_i32 s18, 0x7fff
	v_add3_u32 v8, v1, v8, s18
	v_cmp_o_f32_e32 vcc, v1, v1
	v_mov_b32_e32 v9, 0x7fc0
	v_cndmask_b32_sdwa v10, v9, v8, vcc dst_sel:DWORD dst_unused:UNUSED_PAD src0_sel:DWORD src1_sel:WORD_1
	v_mov_b32_e32 v9, s5
	v_add_co_u32_e32 v8, vcc, s4, v2
	v_addc_co_u32_e32 v9, vcc, 0, v9, vcc
	v_lshlrev_b64 v[8:9], 1, v[8:9]
	v_mov_b32_e32 v11, s11
	v_add_co_u32_e32 v8, vcc, s10, v8
	v_addc_co_u32_e32 v9, vcc, v11, v9, vcc
	global_store_short v[8:9], v10, off offset:8
.LBB111_99:
	s_or_b64 exec, exec, s[16:17]
	s_movk_i32 s16, 0x600
	v_cmp_gt_u32_e32 vcc, s16, v3
	s_and_b64 exec, exec, vcc
	s_cbranch_execz .LBB111_147
; %bb.100:
	s_and_saveexec_b64 s[16:17], s[0:1]
	s_cbranch_execz .LBB111_102
; %bb.101:
	v_add_u32_e32 v0, v2, v4
	v_lshl_add_u32 v1, v0, 2, 0
	ds_read_b32 v0, v1 offset:32
	ds_read_b32 v1, v1 offset:1088
.LBB111_102:
	s_or_b64 exec, exec, s[16:17]
	s_waitcnt lgkmcnt(1)
	ds_bpermute_b32 v8, v5, v0
	s_waitcnt lgkmcnt(1)
	ds_bpermute_b32 v9, v5, v1
	v_add_u32_e32 v10, 8, v2
	v_mov_b32_e32 v11, s5
	s_waitcnt lgkmcnt(1)
	v_add_f32_e32 v0, v0, v8
	s_waitcnt lgkmcnt(0)
	v_add_f32_e32 v1, v1, v9
	ds_bpermute_b32 v8, v6, v0
	ds_bpermute_b32 v9, v6, v1
	s_waitcnt lgkmcnt(1)
	v_add_f32_e32 v8, v0, v8
	s_waitcnt lgkmcnt(0)
	v_add_f32_e32 v9, v1, v9
	ds_bpermute_b32 v12, v7, v8
	ds_bpermute_b32 v13, v7, v9
	v_add_co_u32_e32 v0, vcc, s4, v10
	v_addc_co_u32_e32 v1, vcc, 0, v11, vcc
	v_cmp_gt_i64_e32 vcc, s[14:15], v[0:1]
	s_waitcnt lgkmcnt(1)
	v_add_f32_e32 v0, v8, v12
	s_waitcnt lgkmcnt(0)
	v_add_f32_e32 v1, v9, v13
	s_and_b64 s[18:19], s[2:3], vcc
	s_and_saveexec_b64 s[16:17], s[18:19]
	s_cbranch_execz .LBB111_107
; %bb.103:
	s_andn2_b64 vcc, exec, s[12:13]
	s_cbranch_vccnz .LBB111_105
; %bb.104:
	v_bfe_u32 v8, v0, 16, 1
	s_movk_i32 s18, 0x7fff
	v_add3_u32 v8, v0, v8, s18
	v_cmp_o_f32_e32 vcc, v0, v0
	v_mov_b32_e32 v9, 0x7fc0
	v_cndmask_b32_sdwa v10, v9, v8, vcc dst_sel:DWORD dst_unused:UNUSED_PAD src0_sel:DWORD src1_sel:WORD_1
	v_mov_b32_e32 v9, s5
	v_add_co_u32_e32 v8, vcc, s4, v2
	v_addc_co_u32_e32 v9, vcc, 0, v9, vcc
	v_lshlrev_b64 v[8:9], 1, v[8:9]
	v_mov_b32_e32 v11, s9
	v_add_co_u32_e32 v8, vcc, s8, v8
	v_addc_co_u32_e32 v9, vcc, v11, v9, vcc
	global_store_short v[8:9], v10, off offset:16
.LBB111_105:
	s_andn2_b64 vcc, exec, s[6:7]
	s_cbranch_vccnz .LBB111_107
; %bb.106:
	v_bfe_u32 v8, v1, 16, 1
	s_movk_i32 s18, 0x7fff
	v_add3_u32 v8, v1, v8, s18
	v_cmp_o_f32_e32 vcc, v1, v1
	v_mov_b32_e32 v9, 0x7fc0
	v_cndmask_b32_sdwa v10, v9, v8, vcc dst_sel:DWORD dst_unused:UNUSED_PAD src0_sel:DWORD src1_sel:WORD_1
	v_mov_b32_e32 v9, s5
	v_add_co_u32_e32 v8, vcc, s4, v2
	v_addc_co_u32_e32 v9, vcc, 0, v9, vcc
	v_lshlrev_b64 v[8:9], 1, v[8:9]
	v_mov_b32_e32 v11, s11
	v_add_co_u32_e32 v8, vcc, s10, v8
	v_addc_co_u32_e32 v9, vcc, v11, v9, vcc
	global_store_short v[8:9], v10, off offset:16
.LBB111_107:
	s_or_b64 exec, exec, s[16:17]
	s_movk_i32 s16, 0x500
	v_cmp_gt_u32_e32 vcc, s16, v3
	s_and_b64 exec, exec, vcc
	s_cbranch_execz .LBB111_147
; %bb.108:
	s_and_saveexec_b64 s[16:17], s[0:1]
	s_cbranch_execz .LBB111_110
; %bb.109:
	v_add_u32_e32 v0, v2, v4
	v_lshl_add_u32 v1, v0, 2, 0
	ds_read_b32 v0, v1 offset:48
	ds_read_b32 v1, v1 offset:1104
.LBB111_110:
	s_or_b64 exec, exec, s[16:17]
	s_waitcnt lgkmcnt(1)
	ds_bpermute_b32 v8, v5, v0
	s_waitcnt lgkmcnt(1)
	ds_bpermute_b32 v9, v5, v1
	v_add_u32_e32 v10, 12, v2
	v_mov_b32_e32 v11, s5
	s_waitcnt lgkmcnt(1)
	v_add_f32_e32 v0, v0, v8
	s_waitcnt lgkmcnt(0)
	v_add_f32_e32 v1, v1, v9
	ds_bpermute_b32 v8, v6, v0
	ds_bpermute_b32 v9, v6, v1
	s_waitcnt lgkmcnt(1)
	v_add_f32_e32 v8, v0, v8
	s_waitcnt lgkmcnt(0)
	v_add_f32_e32 v9, v1, v9
	ds_bpermute_b32 v12, v7, v8
	ds_bpermute_b32 v13, v7, v9
	v_add_co_u32_e32 v0, vcc, s4, v10
	v_addc_co_u32_e32 v1, vcc, 0, v11, vcc
	v_cmp_gt_i64_e32 vcc, s[14:15], v[0:1]
	s_waitcnt lgkmcnt(1)
	v_add_f32_e32 v0, v8, v12
	s_waitcnt lgkmcnt(0)
	v_add_f32_e32 v1, v9, v13
	s_and_b64 s[18:19], s[2:3], vcc
	s_and_saveexec_b64 s[16:17], s[18:19]
	s_cbranch_execz .LBB111_115
; %bb.111:
	s_andn2_b64 vcc, exec, s[12:13]
	s_cbranch_vccnz .LBB111_113
; %bb.112:
	v_bfe_u32 v8, v0, 16, 1
	s_movk_i32 s18, 0x7fff
	v_add3_u32 v8, v0, v8, s18
	v_cmp_o_f32_e32 vcc, v0, v0
	v_mov_b32_e32 v9, 0x7fc0
	v_cndmask_b32_sdwa v10, v9, v8, vcc dst_sel:DWORD dst_unused:UNUSED_PAD src0_sel:DWORD src1_sel:WORD_1
	v_mov_b32_e32 v9, s5
	v_add_co_u32_e32 v8, vcc, s4, v2
	v_addc_co_u32_e32 v9, vcc, 0, v9, vcc
	v_lshlrev_b64 v[8:9], 1, v[8:9]
	v_mov_b32_e32 v11, s9
	v_add_co_u32_e32 v8, vcc, s8, v8
	v_addc_co_u32_e32 v9, vcc, v11, v9, vcc
	global_store_short v[8:9], v10, off offset:24
.LBB111_113:
	s_andn2_b64 vcc, exec, s[6:7]
	s_cbranch_vccnz .LBB111_115
; %bb.114:
	v_bfe_u32 v8, v1, 16, 1
	s_movk_i32 s18, 0x7fff
	v_add3_u32 v8, v1, v8, s18
	v_cmp_o_f32_e32 vcc, v1, v1
	v_mov_b32_e32 v9, 0x7fc0
	v_cndmask_b32_sdwa v10, v9, v8, vcc dst_sel:DWORD dst_unused:UNUSED_PAD src0_sel:DWORD src1_sel:WORD_1
	v_mov_b32_e32 v9, s5
	v_add_co_u32_e32 v8, vcc, s4, v2
	v_addc_co_u32_e32 v9, vcc, 0, v9, vcc
	v_lshlrev_b64 v[8:9], 1, v[8:9]
	v_mov_b32_e32 v11, s11
	v_add_co_u32_e32 v8, vcc, s10, v8
	v_addc_co_u32_e32 v9, vcc, v11, v9, vcc
	global_store_short v[8:9], v10, off offset:24
.LBB111_115:
	s_or_b64 exec, exec, s[16:17]
	s_movk_i32 s16, 0x400
	v_cmp_gt_u32_e32 vcc, s16, v3
	s_and_b64 exec, exec, vcc
	s_cbranch_execz .LBB111_147
; %bb.116:
	s_and_saveexec_b64 s[16:17], s[0:1]
	s_cbranch_execz .LBB111_118
; %bb.117:
	v_add_u32_e32 v0, v2, v4
	v_lshl_add_u32 v1, v0, 2, 0
	ds_read_b32 v0, v1 offset:64
	ds_read_b32 v1, v1 offset:1120
.LBB111_118:
	s_or_b64 exec, exec, s[16:17]
	s_waitcnt lgkmcnt(1)
	ds_bpermute_b32 v8, v5, v0
	s_waitcnt lgkmcnt(1)
	ds_bpermute_b32 v9, v5, v1
	v_add_u32_e32 v10, 16, v2
	s_waitcnt lgkmcnt(1)
	v_add_f32_e32 v0, v0, v8
	s_waitcnt lgkmcnt(0)
	v_add_f32_e32 v1, v1, v9
	ds_bpermute_b32 v8, v6, v0
	ds_bpermute_b32 v9, v6, v1
	s_waitcnt lgkmcnt(1)
	v_add_f32_e32 v8, v0, v8
	s_waitcnt lgkmcnt(0)
	v_add_f32_e32 v9, v1, v9
	ds_bpermute_b32 v11, v7, v8
	ds_bpermute_b32 v12, v7, v9
	v_mov_b32_e32 v1, s5
	v_or_b32_e32 v0, s4, v10
	v_cmp_gt_i64_e32 vcc, s[14:15], v[0:1]
	s_waitcnt lgkmcnt(1)
	v_add_f32_e32 v0, v8, v11
	s_waitcnt lgkmcnt(0)
	v_add_f32_e32 v1, v9, v12
	s_and_b64 s[18:19], s[2:3], vcc
	s_and_saveexec_b64 s[16:17], s[18:19]
	s_cbranch_execz .LBB111_123
; %bb.119:
	s_andn2_b64 vcc, exec, s[12:13]
	s_cbranch_vccnz .LBB111_121
; %bb.120:
	v_bfe_u32 v8, v0, 16, 1
	s_movk_i32 s18, 0x7fff
	v_add3_u32 v8, v0, v8, s18
	v_cmp_o_f32_e32 vcc, v0, v0
	v_mov_b32_e32 v9, 0x7fc0
	v_cndmask_b32_sdwa v10, v9, v8, vcc dst_sel:DWORD dst_unused:UNUSED_PAD src0_sel:DWORD src1_sel:WORD_1
	v_mov_b32_e32 v9, s5
	v_add_co_u32_e32 v8, vcc, s4, v2
	v_addc_co_u32_e32 v9, vcc, 0, v9, vcc
	v_lshlrev_b64 v[8:9], 1, v[8:9]
	v_mov_b32_e32 v11, s9
	v_add_co_u32_e32 v8, vcc, s8, v8
	v_addc_co_u32_e32 v9, vcc, v11, v9, vcc
	global_store_short v[8:9], v10, off offset:32
.LBB111_121:
	s_andn2_b64 vcc, exec, s[6:7]
	s_cbranch_vccnz .LBB111_123
; %bb.122:
	v_bfe_u32 v8, v1, 16, 1
	s_movk_i32 s18, 0x7fff
	v_add3_u32 v8, v1, v8, s18
	v_cmp_o_f32_e32 vcc, v1, v1
	v_mov_b32_e32 v9, 0x7fc0
	v_cndmask_b32_sdwa v10, v9, v8, vcc dst_sel:DWORD dst_unused:UNUSED_PAD src0_sel:DWORD src1_sel:WORD_1
	v_mov_b32_e32 v9, s5
	v_add_co_u32_e32 v8, vcc, s4, v2
	v_addc_co_u32_e32 v9, vcc, 0, v9, vcc
	v_lshlrev_b64 v[8:9], 1, v[8:9]
	v_mov_b32_e32 v11, s11
	v_add_co_u32_e32 v8, vcc, s10, v8
	v_addc_co_u32_e32 v9, vcc, v11, v9, vcc
	global_store_short v[8:9], v10, off offset:32
.LBB111_123:
	s_or_b64 exec, exec, s[16:17]
	s_movk_i32 s16, 0x300
	v_cmp_gt_u32_e32 vcc, s16, v3
	s_and_b64 exec, exec, vcc
	s_cbranch_execz .LBB111_147
; %bb.124:
	s_and_saveexec_b64 s[16:17], s[0:1]
	s_cbranch_execz .LBB111_126
; %bb.125:
	v_add_u32_e32 v0, v2, v4
	v_lshl_add_u32 v1, v0, 2, 0
	ds_read_b32 v0, v1 offset:80
	ds_read_b32 v1, v1 offset:1136
.LBB111_126:
	s_or_b64 exec, exec, s[16:17]
	s_waitcnt lgkmcnt(1)
	ds_bpermute_b32 v8, v5, v0
	s_waitcnt lgkmcnt(1)
	ds_bpermute_b32 v9, v5, v1
	v_add_u32_e32 v10, 20, v2
	v_mov_b32_e32 v11, s5
	s_waitcnt lgkmcnt(1)
	v_add_f32_e32 v0, v0, v8
	s_waitcnt lgkmcnt(0)
	v_add_f32_e32 v1, v1, v9
	ds_bpermute_b32 v8, v6, v0
	ds_bpermute_b32 v9, v6, v1
	s_waitcnt lgkmcnt(1)
	v_add_f32_e32 v8, v0, v8
	s_waitcnt lgkmcnt(0)
	v_add_f32_e32 v9, v1, v9
	ds_bpermute_b32 v12, v7, v8
	ds_bpermute_b32 v13, v7, v9
	v_add_co_u32_e32 v0, vcc, s4, v10
	v_addc_co_u32_e32 v1, vcc, 0, v11, vcc
	v_cmp_gt_i64_e32 vcc, s[14:15], v[0:1]
	s_waitcnt lgkmcnt(1)
	v_add_f32_e32 v0, v8, v12
	s_waitcnt lgkmcnt(0)
	v_add_f32_e32 v1, v9, v13
	s_and_b64 s[18:19], s[2:3], vcc
	s_and_saveexec_b64 s[16:17], s[18:19]
	s_cbranch_execz .LBB111_131
; %bb.127:
	s_andn2_b64 vcc, exec, s[12:13]
	s_cbranch_vccnz .LBB111_129
; %bb.128:
	v_bfe_u32 v8, v0, 16, 1
	s_movk_i32 s18, 0x7fff
	v_add3_u32 v8, v0, v8, s18
	v_cmp_o_f32_e32 vcc, v0, v0
	v_mov_b32_e32 v9, 0x7fc0
	v_cndmask_b32_sdwa v10, v9, v8, vcc dst_sel:DWORD dst_unused:UNUSED_PAD src0_sel:DWORD src1_sel:WORD_1
	v_mov_b32_e32 v9, s5
	v_add_co_u32_e32 v8, vcc, s4, v2
	v_addc_co_u32_e32 v9, vcc, 0, v9, vcc
	v_lshlrev_b64 v[8:9], 1, v[8:9]
	v_mov_b32_e32 v11, s9
	v_add_co_u32_e32 v8, vcc, s8, v8
	v_addc_co_u32_e32 v9, vcc, v11, v9, vcc
	global_store_short v[8:9], v10, off offset:40
.LBB111_129:
	s_andn2_b64 vcc, exec, s[6:7]
	s_cbranch_vccnz .LBB111_131
; %bb.130:
	v_bfe_u32 v8, v1, 16, 1
	s_movk_i32 s18, 0x7fff
	v_add3_u32 v8, v1, v8, s18
	v_cmp_o_f32_e32 vcc, v1, v1
	v_mov_b32_e32 v9, 0x7fc0
	v_cndmask_b32_sdwa v10, v9, v8, vcc dst_sel:DWORD dst_unused:UNUSED_PAD src0_sel:DWORD src1_sel:WORD_1
	v_mov_b32_e32 v9, s5
	v_add_co_u32_e32 v8, vcc, s4, v2
	v_addc_co_u32_e32 v9, vcc, 0, v9, vcc
	v_lshlrev_b64 v[8:9], 1, v[8:9]
	v_mov_b32_e32 v11, s11
	v_add_co_u32_e32 v8, vcc, s10, v8
	v_addc_co_u32_e32 v9, vcc, v11, v9, vcc
	global_store_short v[8:9], v10, off offset:40
.LBB111_131:
	s_or_b64 exec, exec, s[16:17]
	s_movk_i32 s16, 0x200
	v_cmp_gt_u32_e32 vcc, s16, v3
	s_and_b64 exec, exec, vcc
	s_cbranch_execz .LBB111_147
; %bb.132:
	s_and_saveexec_b64 s[16:17], s[0:1]
	s_cbranch_execz .LBB111_134
; %bb.133:
	v_add_u32_e32 v0, v2, v4
	v_lshl_add_u32 v1, v0, 2, 0
	ds_read_b32 v0, v1 offset:96
	ds_read_b32 v1, v1 offset:1152
.LBB111_134:
	s_or_b64 exec, exec, s[16:17]
	s_waitcnt lgkmcnt(1)
	ds_bpermute_b32 v8, v5, v0
	s_waitcnt lgkmcnt(1)
	ds_bpermute_b32 v9, v5, v1
	v_add_u32_e32 v10, 24, v2
	s_waitcnt lgkmcnt(1)
	v_add_f32_e32 v0, v0, v8
	s_waitcnt lgkmcnt(0)
	v_add_f32_e32 v1, v1, v9
	ds_bpermute_b32 v8, v6, v0
	ds_bpermute_b32 v9, v6, v1
	s_waitcnt lgkmcnt(1)
	v_add_f32_e32 v8, v0, v8
	s_waitcnt lgkmcnt(0)
	v_add_f32_e32 v9, v1, v9
	ds_bpermute_b32 v11, v7, v8
	ds_bpermute_b32 v12, v7, v9
	v_mov_b32_e32 v1, s5
	v_or_b32_e32 v0, s4, v10
	v_cmp_gt_i64_e32 vcc, s[14:15], v[0:1]
	s_waitcnt lgkmcnt(1)
	v_add_f32_e32 v0, v8, v11
	s_waitcnt lgkmcnt(0)
	v_add_f32_e32 v1, v9, v12
	s_and_b64 s[18:19], s[2:3], vcc
	s_and_saveexec_b64 s[16:17], s[18:19]
	s_cbranch_execz .LBB111_139
; %bb.135:
	s_andn2_b64 vcc, exec, s[12:13]
	s_cbranch_vccnz .LBB111_137
; %bb.136:
	v_bfe_u32 v8, v0, 16, 1
	s_movk_i32 s18, 0x7fff
	v_add3_u32 v8, v0, v8, s18
	v_cmp_o_f32_e32 vcc, v0, v0
	v_mov_b32_e32 v9, 0x7fc0
	v_cndmask_b32_sdwa v10, v9, v8, vcc dst_sel:DWORD dst_unused:UNUSED_PAD src0_sel:DWORD src1_sel:WORD_1
	v_mov_b32_e32 v9, s5
	v_add_co_u32_e32 v8, vcc, s4, v2
	v_addc_co_u32_e32 v9, vcc, 0, v9, vcc
	v_lshlrev_b64 v[8:9], 1, v[8:9]
	v_mov_b32_e32 v11, s9
	v_add_co_u32_e32 v8, vcc, s8, v8
	v_addc_co_u32_e32 v9, vcc, v11, v9, vcc
	global_store_short v[8:9], v10, off offset:48
.LBB111_137:
	s_andn2_b64 vcc, exec, s[6:7]
	s_cbranch_vccnz .LBB111_139
; %bb.138:
	v_bfe_u32 v8, v1, 16, 1
	s_movk_i32 s18, 0x7fff
	v_add3_u32 v8, v1, v8, s18
	v_cmp_o_f32_e32 vcc, v1, v1
	v_mov_b32_e32 v9, 0x7fc0
	v_cndmask_b32_sdwa v10, v9, v8, vcc dst_sel:DWORD dst_unused:UNUSED_PAD src0_sel:DWORD src1_sel:WORD_1
	v_mov_b32_e32 v9, s5
	v_add_co_u32_e32 v8, vcc, s4, v2
	v_addc_co_u32_e32 v9, vcc, 0, v9, vcc
	v_lshlrev_b64 v[8:9], 1, v[8:9]
	v_mov_b32_e32 v11, s11
	v_add_co_u32_e32 v8, vcc, s10, v8
	v_addc_co_u32_e32 v9, vcc, v11, v9, vcc
	global_store_short v[8:9], v10, off offset:48
.LBB111_139:
	s_or_b64 exec, exec, s[16:17]
	s_movk_i32 s16, 0x100
	v_cmp_gt_u32_e32 vcc, s16, v3
	s_and_b64 exec, exec, vcc
	s_cbranch_execz .LBB111_147
; %bb.140:
	s_and_saveexec_b64 s[16:17], s[0:1]
	s_cbranch_execz .LBB111_142
; %bb.141:
	v_add_u32_e32 v0, v2, v4
	v_lshl_add_u32 v1, v0, 2, 0
	ds_read_b32 v0, v1 offset:112
	ds_read_b32 v1, v1 offset:1168
.LBB111_142:
	s_or_b64 exec, exec, s[16:17]
	s_waitcnt lgkmcnt(1)
	ds_bpermute_b32 v3, v5, v0
	s_waitcnt lgkmcnt(1)
	ds_bpermute_b32 v4, v5, v1
	v_add_u32_e32 v5, 28, v2
	v_or_b32_e32 v5, s4, v5
	s_waitcnt lgkmcnt(1)
	v_add_f32_e32 v0, v0, v3
	s_waitcnt lgkmcnt(0)
	v_add_f32_e32 v1, v1, v4
	ds_bpermute_b32 v3, v6, v0
	ds_bpermute_b32 v4, v6, v1
	v_mov_b32_e32 v6, s5
	v_cmp_gt_i64_e32 vcc, s[14:15], v[5:6]
	s_waitcnt lgkmcnt(1)
	v_add_f32_e32 v3, v0, v3
	s_waitcnt lgkmcnt(0)
	v_add_f32_e32 v0, v1, v4
	ds_bpermute_b32 v4, v7, v3
	ds_bpermute_b32 v1, v7, v0
	s_and_b64 s[0:1], s[2:3], vcc
	s_and_b64 exec, exec, s[0:1]
	s_cbranch_execz .LBB111_147
; %bb.143:
	s_andn2_b64 vcc, exec, s[12:13]
	s_cbranch_vccnz .LBB111_145
; %bb.144:
	s_waitcnt lgkmcnt(1)
	v_add_f32_e32 v3, v3, v4
	v_bfe_u32 v4, v3, 16, 1
	s_movk_i32 s0, 0x7fff
	v_add3_u32 v4, v3, v4, s0
	v_cmp_o_f32_e32 vcc, v3, v3
	v_mov_b32_e32 v3, 0x7fc0
	v_cndmask_b32_sdwa v5, v3, v4, vcc dst_sel:DWORD dst_unused:UNUSED_PAD src0_sel:DWORD src1_sel:WORD_1
	v_mov_b32_e32 v4, s5
	v_add_co_u32_e32 v3, vcc, s4, v2
	v_addc_co_u32_e32 v4, vcc, 0, v4, vcc
	v_lshlrev_b64 v[3:4], 1, v[3:4]
	v_mov_b32_e32 v6, s9
	v_add_co_u32_e32 v3, vcc, s8, v3
	v_addc_co_u32_e32 v4, vcc, v6, v4, vcc
	global_store_short v[3:4], v5, off offset:56
.LBB111_145:
	s_andn2_b64 vcc, exec, s[6:7]
	s_cbranch_vccnz .LBB111_147
; %bb.146:
	s_waitcnt lgkmcnt(0)
	v_add_f32_e32 v0, v0, v1
	v_bfe_u32 v1, v0, 16, 1
	s_movk_i32 s0, 0x7fff
	v_add3_u32 v1, v0, v1, s0
	v_cmp_o_f32_e32 vcc, v0, v0
	v_mov_b32_e32 v0, 0x7fc0
	v_cndmask_b32_sdwa v3, v0, v1, vcc dst_sel:DWORD dst_unused:UNUSED_PAD src0_sel:DWORD src1_sel:WORD_1
	v_mov_b32_e32 v1, s5
	v_add_co_u32_e32 v0, vcc, s4, v2
	v_addc_co_u32_e32 v1, vcc, 0, v1, vcc
	v_lshlrev_b64 v[0:1], 1, v[0:1]
	v_mov_b32_e32 v2, s11
	v_add_co_u32_e32 v0, vcc, s10, v0
	v_addc_co_u32_e32 v1, vcc, v2, v1, vcc
	global_store_short v[0:1], v3, off offset:56
.LBB111_147:
	s_endpgm
	.section	.rodata,"a",@progbits
	.p2align	6, 0x0
	.amdhsa_kernel _ZN2at6native12_GLOBAL__N_135GammaBetaBackwardCUDAKernelTemplateIN3c108BFloat16EfLj32ELj8ELj64ELb0ELb0ELb0EEEvllPKT_S7_PKT0_SA_PS5_SB_
		.amdhsa_group_segment_fixed_size 0
		.amdhsa_private_segment_fixed_size 0
		.amdhsa_kernarg_size 320
		.amdhsa_user_sgpr_count 6
		.amdhsa_user_sgpr_private_segment_buffer 1
		.amdhsa_user_sgpr_dispatch_ptr 0
		.amdhsa_user_sgpr_queue_ptr 0
		.amdhsa_user_sgpr_kernarg_segment_ptr 1
		.amdhsa_user_sgpr_dispatch_id 0
		.amdhsa_user_sgpr_flat_scratch_init 0
		.amdhsa_user_sgpr_private_segment_size 0
		.amdhsa_uses_dynamic_stack 0
		.amdhsa_system_sgpr_private_segment_wavefront_offset 0
		.amdhsa_system_sgpr_workgroup_id_x 1
		.amdhsa_system_sgpr_workgroup_id_y 1
		.amdhsa_system_sgpr_workgroup_id_z 0
		.amdhsa_system_sgpr_workgroup_info 0
		.amdhsa_system_vgpr_workitem_id 1
		.amdhsa_next_free_vgpr 94
		.amdhsa_next_free_sgpr 36
		.amdhsa_reserve_vcc 1
		.amdhsa_reserve_flat_scratch 0
		.amdhsa_float_round_mode_32 0
		.amdhsa_float_round_mode_16_64 0
		.amdhsa_float_denorm_mode_32 3
		.amdhsa_float_denorm_mode_16_64 3
		.amdhsa_dx10_clamp 1
		.amdhsa_ieee_mode 1
		.amdhsa_fp16_overflow 0
		.amdhsa_exception_fp_ieee_invalid_op 0
		.amdhsa_exception_fp_denorm_src 0
		.amdhsa_exception_fp_ieee_div_zero 0
		.amdhsa_exception_fp_ieee_overflow 0
		.amdhsa_exception_fp_ieee_underflow 0
		.amdhsa_exception_fp_ieee_inexact 0
		.amdhsa_exception_int_div_zero 0
	.end_amdhsa_kernel
	.section	.text._ZN2at6native12_GLOBAL__N_135GammaBetaBackwardCUDAKernelTemplateIN3c108BFloat16EfLj32ELj8ELj64ELb0ELb0ELb0EEEvllPKT_S7_PKT0_SA_PS5_SB_,"axG",@progbits,_ZN2at6native12_GLOBAL__N_135GammaBetaBackwardCUDAKernelTemplateIN3c108BFloat16EfLj32ELj8ELj64ELb0ELb0ELb0EEEvllPKT_S7_PKT0_SA_PS5_SB_,comdat
.Lfunc_end111:
	.size	_ZN2at6native12_GLOBAL__N_135GammaBetaBackwardCUDAKernelTemplateIN3c108BFloat16EfLj32ELj8ELj64ELb0ELb0ELb0EEEvllPKT_S7_PKT0_SA_PS5_SB_, .Lfunc_end111-_ZN2at6native12_GLOBAL__N_135GammaBetaBackwardCUDAKernelTemplateIN3c108BFloat16EfLj32ELj8ELj64ELb0ELb0ELb0EEEvllPKT_S7_PKT0_SA_PS5_SB_
                                        ; -- End function
	.set _ZN2at6native12_GLOBAL__N_135GammaBetaBackwardCUDAKernelTemplateIN3c108BFloat16EfLj32ELj8ELj64ELb0ELb0ELb0EEEvllPKT_S7_PKT0_SA_PS5_SB_.num_vgpr, 94
	.set _ZN2at6native12_GLOBAL__N_135GammaBetaBackwardCUDAKernelTemplateIN3c108BFloat16EfLj32ELj8ELj64ELb0ELb0ELb0EEEvllPKT_S7_PKT0_SA_PS5_SB_.num_agpr, 0
	.set _ZN2at6native12_GLOBAL__N_135GammaBetaBackwardCUDAKernelTemplateIN3c108BFloat16EfLj32ELj8ELj64ELb0ELb0ELb0EEEvllPKT_S7_PKT0_SA_PS5_SB_.numbered_sgpr, 36
	.set _ZN2at6native12_GLOBAL__N_135GammaBetaBackwardCUDAKernelTemplateIN3c108BFloat16EfLj32ELj8ELj64ELb0ELb0ELb0EEEvllPKT_S7_PKT0_SA_PS5_SB_.num_named_barrier, 0
	.set _ZN2at6native12_GLOBAL__N_135GammaBetaBackwardCUDAKernelTemplateIN3c108BFloat16EfLj32ELj8ELj64ELb0ELb0ELb0EEEvllPKT_S7_PKT0_SA_PS5_SB_.private_seg_size, 0
	.set _ZN2at6native12_GLOBAL__N_135GammaBetaBackwardCUDAKernelTemplateIN3c108BFloat16EfLj32ELj8ELj64ELb0ELb0ELb0EEEvllPKT_S7_PKT0_SA_PS5_SB_.uses_vcc, 1
	.set _ZN2at6native12_GLOBAL__N_135GammaBetaBackwardCUDAKernelTemplateIN3c108BFloat16EfLj32ELj8ELj64ELb0ELb0ELb0EEEvllPKT_S7_PKT0_SA_PS5_SB_.uses_flat_scratch, 0
	.set _ZN2at6native12_GLOBAL__N_135GammaBetaBackwardCUDAKernelTemplateIN3c108BFloat16EfLj32ELj8ELj64ELb0ELb0ELb0EEEvllPKT_S7_PKT0_SA_PS5_SB_.has_dyn_sized_stack, 0
	.set _ZN2at6native12_GLOBAL__N_135GammaBetaBackwardCUDAKernelTemplateIN3c108BFloat16EfLj32ELj8ELj64ELb0ELb0ELb0EEEvllPKT_S7_PKT0_SA_PS5_SB_.has_recursion, 0
	.set _ZN2at6native12_GLOBAL__N_135GammaBetaBackwardCUDAKernelTemplateIN3c108BFloat16EfLj32ELj8ELj64ELb0ELb0ELb0EEEvllPKT_S7_PKT0_SA_PS5_SB_.has_indirect_call, 0
	.section	.AMDGPU.csdata,"",@progbits
; Kernel info:
; codeLenInByte = 10088
; TotalNumSgprs: 40
; NumVgprs: 94
; ScratchSize: 0
; MemoryBound: 0
; FloatMode: 240
; IeeeMode: 1
; LDSByteSize: 0 bytes/workgroup (compile time only)
; SGPRBlocks: 4
; VGPRBlocks: 23
; NumSGPRsForWavesPerEU: 40
; NumVGPRsForWavesPerEU: 94
; Occupancy: 2
; WaveLimiterHint : 0
; COMPUTE_PGM_RSRC2:SCRATCH_EN: 0
; COMPUTE_PGM_RSRC2:USER_SGPR: 6
; COMPUTE_PGM_RSRC2:TRAP_HANDLER: 0
; COMPUTE_PGM_RSRC2:TGID_X_EN: 1
; COMPUTE_PGM_RSRC2:TGID_Y_EN: 1
; COMPUTE_PGM_RSRC2:TGID_Z_EN: 0
; COMPUTE_PGM_RSRC2:TIDIG_COMP_CNT: 1
	.section	.text._ZN2at6native12_GLOBAL__N_135GammaBetaBackwardCUDAKernelTemplateIN3c108BFloat16EfLj32ELj16ELj128ELb0ELb1ELb0EEEvllPKT_S7_PKT0_SA_PS5_SB_,"axG",@progbits,_ZN2at6native12_GLOBAL__N_135GammaBetaBackwardCUDAKernelTemplateIN3c108BFloat16EfLj32ELj16ELj128ELb0ELb1ELb0EEEvllPKT_S7_PKT0_SA_PS5_SB_,comdat
	.globl	_ZN2at6native12_GLOBAL__N_135GammaBetaBackwardCUDAKernelTemplateIN3c108BFloat16EfLj32ELj16ELj128ELb0ELb1ELb0EEEvllPKT_S7_PKT0_SA_PS5_SB_ ; -- Begin function _ZN2at6native12_GLOBAL__N_135GammaBetaBackwardCUDAKernelTemplateIN3c108BFloat16EfLj32ELj16ELj128ELb0ELb1ELb0EEEvllPKT_S7_PKT0_SA_PS5_SB_
	.p2align	8
	.type	_ZN2at6native12_GLOBAL__N_135GammaBetaBackwardCUDAKernelTemplateIN3c108BFloat16EfLj32ELj16ELj128ELb0ELb1ELb0EEEvllPKT_S7_PKT0_SA_PS5_SB_,@function
_ZN2at6native12_GLOBAL__N_135GammaBetaBackwardCUDAKernelTemplateIN3c108BFloat16EfLj32ELj16ELj128ELb0ELb1ELb0EEEvllPKT_S7_PKT0_SA_PS5_SB_: ; @_ZN2at6native12_GLOBAL__N_135GammaBetaBackwardCUDAKernelTemplateIN3c108BFloat16EfLj32ELj16ELj128ELb0ELb1ELb0EEEvllPKT_S7_PKT0_SA_PS5_SB_
; %bb.0:
	s_load_dwordx4 s[20:23], s[4:5], 0x0
	s_lshl_b32 s24, s7, 7
	s_mov_b32 s25, 0
	v_mov_b32_e32 v2, s24
	v_mov_b32_e32 v3, s25
	s_waitcnt lgkmcnt(0)
	v_cmp_gt_i64_e32 vcc, s[20:21], v[2:3]
	s_cbranch_vccnz .LBB112_2
; %bb.1:
	s_mov_b64 s[0:1], 0
	s_branch .LBB112_3
.LBB112_2:
	s_mov_b64 s[0:1], -1
.LBB112_3:
	s_load_dwordx4 s[16:19], s[4:5], 0x30
	v_mov_b32_e32 v16, 0
	s_andn2_b64 vcc, exec, s[0:1]
	v_mbcnt_lo_u32_b32 v7, -1, 0
	v_mov_b32_e32 v6, 0
	s_cbranch_vccnz .LBB112_10
; %bb.4:
	s_load_dword s0, s[4:5], 0x4c
	s_load_dword s2, s[4:5], 0x44
	s_load_dwordx8 s[8:15], s[4:5], 0x10
	v_lshlrev_b32_e32 v2, 3, v1
	v_mbcnt_hi_u32_b32 v4, -1, v7
	v_lshlrev_b32_e32 v4, 2, v4
	v_add_co_u32_e32 v2, vcc, s24, v2
	v_and_b32_e32 v8, 0x100, v4
	s_waitcnt lgkmcnt(0)
	s_lshl_b32 s4, s2, 7
	v_addc_co_u32_e64 v4, s[2:3], 0, 0, vcc
	v_mul_lo_u32 v18, s23, v2
	v_mul_lo_u32 v19, s22, v4
	v_mad_u64_u32 v[16:17], s[2:3], s22, v2, 0
	s_and_b32 s0, s0, 0xffff
	v_mad_u32_u24 v3, v1, s0, v0
	v_and_b32_e32 v3, 63, v3
	v_mov_b32_e32 v6, 0
	v_lshl_add_u32 v5, s6, 5, v0
	v_add_co_u32_e32 v2, vcc, v2, v3
	v_add3_u32 v17, v17, v19, v18
	v_cmp_gt_u32_e64 s[0:1], 8, v3
	v_addc_co_u32_e32 v3, vcc, 0, v4, vcc
	v_lshlrev_b64 v[17:18], 1, v[16:17]
	v_lshlrev_b64 v[4:5], 1, v[5:6]
	s_mul_i32 s2, s23, s4
	v_add_co_u32_e32 v17, vcc, v17, v4
	s_mul_hi_u32 s3, s22, s4
	s_mov_b32 s5, 0
	v_addc_co_u32_e32 v18, vcc, v18, v5, vcc
	v_lshlrev_b64 v[4:5], 2, v[2:3]
	s_add_i32 s3, s3, s2
	s_mul_i32 s2, s22, s4
	v_or_b32_e32 v9, 4, v8
	v_or_b32_e32 v10, 8, v8
	v_or_b32_e32 v11, 12, v8
	v_or_b32_e32 v12, 16, v8
	v_or_b32_e32 v13, 20, v8
	v_or_b32_e32 v14, 24, v8
	v_or_b32_e32 v15, 28, v8
	s_lshl_b64 s[26:27], s[4:5], 2
	s_lshl_b64 s[28:29], s[2:3], 1
	;; [unrolled: 1-line block ×3, first 2 shown]
	v_mov_b32_e32 v16, v6
	s_branch .LBB112_7
.LBB112_5:                              ;   in Loop: Header=BB112_7 Depth=1
	s_or_b64 exec, exec, s[30:31]
.LBB112_6:                              ;   in Loop: Header=BB112_7 Depth=1
	s_or_b64 exec, exec, s[2:3]
	v_mov_b32_e32 v21, s11
	v_add_co_u32_e32 v22, vcc, s10, v17
	v_addc_co_u32_e32 v23, vcc, v21, v18, vcc
	global_load_ushort v28, v[22:23], off
	v_mov_b32_e32 v21, s23
	v_add_co_u32_e32 v24, vcc, s22, v22
	v_addc_co_u32_e32 v25, vcc, v23, v21, vcc
	v_mov_b32_e32 v23, s9
	v_add_co_u32_e32 v22, vcc, s8, v17
	v_addc_co_u32_e32 v23, vcc, v23, v18, vcc
	v_add_co_u32_e32 v26, vcc, s22, v22
	global_load_ushort v22, v[22:23], off
	v_addc_co_u32_e32 v27, vcc, v23, v21, vcc
	s_add_u32 s24, s24, s4
	s_addc_u32 s25, s25, 0
	v_add_co_u32_e64 v17, s[2:3], s28, v17
	s_waitcnt vmcnt(1)
	v_lshlrev_b32_e32 v23, 16, v28
	ds_bpermute_b32 v28, v8, v20
	s_waitcnt lgkmcnt(0)
	v_sub_f32_e32 v23, v23, v28
	global_load_ushort v28, v[24:25], off
	s_waitcnt vmcnt(1)
	v_lshlrev_b32_e32 v22, 16, v22
	v_add_f32_e32 v6, v6, v22
	v_mul_f32_e32 v22, v23, v22
	ds_bpermute_b32 v23, v8, v19
	s_waitcnt lgkmcnt(0)
	v_fmac_f32_e32 v16, v22, v23
	v_add_co_u32_e32 v22, vcc, s22, v24
	v_addc_co_u32_e32 v23, vcc, v25, v21, vcc
	global_load_ushort v29, v[22:23], off
	v_add_co_u32_e32 v24, vcc, s22, v26
	global_load_ushort v26, v[26:27], off
	v_addc_co_u32_e32 v25, vcc, v27, v21, vcc
	s_waitcnt vmcnt(2)
	v_lshlrev_b32_e32 v27, 16, v28
	ds_bpermute_b32 v28, v9, v20
	s_waitcnt lgkmcnt(0)
	v_sub_f32_e32 v27, v27, v28
	s_waitcnt vmcnt(0)
	v_lshlrev_b32_e32 v28, 16, v26
	v_mul_f32_e32 v26, v27, v28
	ds_bpermute_b32 v27, v9, v19
	v_add_f32_e32 v6, v6, v28
	s_waitcnt lgkmcnt(0)
	v_fmac_f32_e32 v16, v26, v27
	v_add_co_u32_e32 v26, vcc, s22, v22
	v_addc_co_u32_e32 v27, vcc, v23, v21, vcc
	v_add_co_u32_e32 v22, vcc, s22, v24
	global_load_ushort v24, v[24:25], off
	v_addc_co_u32_e32 v23, vcc, v25, v21, vcc
	v_lshlrev_b32_e32 v25, 16, v29
	ds_bpermute_b32 v29, v10, v20
	global_load_ushort v30, v[26:27], off
	s_waitcnt lgkmcnt(0)
	v_sub_f32_e32 v25, v25, v29
	s_waitcnt vmcnt(1)
	v_lshlrev_b32_e32 v29, 16, v24
	v_mul_f32_e32 v24, v25, v29
	ds_bpermute_b32 v25, v10, v19
	v_add_f32_e32 v6, v6, v29
	s_waitcnt lgkmcnt(0)
	v_fmac_f32_e32 v16, v24, v25
	v_add_co_u32_e32 v24, vcc, s22, v26
	v_addc_co_u32_e32 v25, vcc, v27, v21, vcc
	global_load_ushort v31, v[24:25], off
	v_add_co_u32_e32 v26, vcc, s22, v22
	global_load_ushort v22, v[22:23], off
	v_addc_co_u32_e32 v27, vcc, v23, v21, vcc
	s_waitcnt vmcnt(2)
	v_lshlrev_b32_e32 v23, 16, v30
	ds_bpermute_b32 v30, v11, v20
	s_waitcnt lgkmcnt(0)
	v_sub_f32_e32 v23, v23, v30
	s_waitcnt vmcnt(0)
	v_lshlrev_b32_e32 v30, 16, v22
	v_mul_f32_e32 v22, v23, v30
	ds_bpermute_b32 v23, v11, v19
	v_add_f32_e32 v6, v6, v30
	s_waitcnt lgkmcnt(0)
	v_fmac_f32_e32 v16, v22, v23
	v_add_co_u32_e32 v22, vcc, s22, v24
	v_addc_co_u32_e32 v23, vcc, v25, v21, vcc
	global_load_ushort v32, v[22:23], off
	v_add_co_u32_e32 v24, vcc, s22, v26
	global_load_ushort v26, v[26:27], off
	v_addc_co_u32_e32 v25, vcc, v27, v21, vcc
	v_lshlrev_b32_e32 v27, 16, v31
	ds_bpermute_b32 v31, v12, v20
	s_waitcnt lgkmcnt(0)
	v_sub_f32_e32 v27, v27, v31
	s_waitcnt vmcnt(0)
	v_lshlrev_b32_e32 v31, 16, v26
	v_mul_f32_e32 v26, v27, v31
	ds_bpermute_b32 v27, v12, v19
	v_add_f32_e32 v6, v6, v31
	s_waitcnt lgkmcnt(0)
	v_fmac_f32_e32 v16, v26, v27
	v_add_co_u32_e32 v26, vcc, s22, v22
	v_addc_co_u32_e32 v27, vcc, v23, v21, vcc
	v_add_co_u32_e32 v22, vcc, s22, v24
	global_load_ushort v24, v[24:25], off
	v_addc_co_u32_e32 v23, vcc, v25, v21, vcc
	v_lshlrev_b32_e32 v25, 16, v32
	ds_bpermute_b32 v32, v13, v20
	global_load_ushort v33, v[26:27], off
	s_waitcnt lgkmcnt(0)
	v_sub_f32_e32 v25, v25, v32
	s_waitcnt vmcnt(1)
	v_lshlrev_b32_e32 v32, 16, v24
	v_mul_f32_e32 v24, v25, v32
	ds_bpermute_b32 v25, v13, v19
	v_add_f32_e32 v6, v6, v32
	s_waitcnt lgkmcnt(0)
	v_fmac_f32_e32 v16, v24, v25
	v_add_co_u32_e32 v24, vcc, s22, v26
	v_addc_co_u32_e32 v25, vcc, v27, v21, vcc
	v_add_co_u32_e32 v26, vcc, s22, v22
	v_addc_co_u32_e32 v27, vcc, v23, v21, vcc
	global_load_ushort v21, v[22:23], off
	ds_bpermute_b32 v23, v14, v20
	s_waitcnt vmcnt(1)
	v_lshlrev_b32_e32 v22, 16, v33
	ds_bpermute_b32 v20, v15, v20
	v_add_co_u32_e32 v4, vcc, s26, v4
	s_waitcnt lgkmcnt(1)
	v_sub_f32_e32 v22, v22, v23
	ds_bpermute_b32 v23, v14, v19
	ds_bpermute_b32 v19, v15, v19
	s_waitcnt vmcnt(0)
	v_lshlrev_b32_e32 v21, 16, v21
	v_mul_f32_e32 v22, v22, v21
	s_waitcnt lgkmcnt(1)
	v_fmac_f32_e32 v16, v22, v23
	global_load_ushort v22, v[26:27], off
	global_load_ushort v23, v[24:25], off
	v_add_f32_e32 v6, v6, v21
	s_waitcnt vmcnt(1)
	v_lshlrev_b32_e32 v21, 16, v22
	s_waitcnt vmcnt(0)
	v_lshlrev_b32_e32 v22, 16, v23
	v_sub_f32_e32 v20, v22, v20
	v_mul_f32_e32 v20, v20, v21
	s_waitcnt lgkmcnt(0)
	v_fmac_f32_e32 v16, v20, v19
	v_mov_b32_e32 v19, s27
	v_addc_co_u32_e32 v5, vcc, v5, v19, vcc
	v_add_co_u32_e32 v2, vcc, s4, v2
	v_mov_b32_e32 v19, s20
	v_addc_co_u32_e32 v3, vcc, 0, v3, vcc
	v_mov_b32_e32 v20, s21
	v_cmp_lt_i64_e32 vcc, s[24:25], v[19:20]
	v_add_f32_e32 v6, v6, v21
	v_mov_b32_e32 v21, s29
	v_addc_co_u32_e64 v18, s[2:3], v18, v21, s[2:3]
	s_cbranch_vccz .LBB112_10
.LBB112_7:                              ; =>This Inner Loop Header: Depth=1
	v_mov_b32_e32 v19, 0
	v_mov_b32_e32 v20, 0
	s_and_saveexec_b64 s[2:3], s[0:1]
	s_cbranch_execz .LBB112_6
; %bb.8:                                ;   in Loop: Header=BB112_7 Depth=1
	v_cmp_gt_i64_e32 vcc, s[20:21], v[2:3]
	v_mov_b32_e32 v20, 0
	v_mov_b32_e32 v19, 0
	s_and_saveexec_b64 s[30:31], vcc
	s_cbranch_execz .LBB112_5
; %bb.9:                                ;   in Loop: Header=BB112_7 Depth=1
	v_mov_b32_e32 v19, s15
	v_add_co_u32_e32 v21, vcc, s14, v4
	v_addc_co_u32_e32 v22, vcc, v19, v5, vcc
	v_mov_b32_e32 v19, s13
	v_add_co_u32_e32 v23, vcc, s12, v4
	v_addc_co_u32_e32 v24, vcc, v19, v5, vcc
	global_load_dword v20, v[23:24], off
	global_load_dword v19, v[21:22], off
	s_branch .LBB112_5
.LBB112_10:
	v_mad_u32_u24 v2, v1, 33, v0
	v_sub_u32_e32 v4, v2, v1
	s_movk_i32 s0, 0x800
	v_lshl_add_u32 v3, v2, 2, 0
	v_cmp_gt_u32_e32 vcc, s0, v4
	ds_write_b32 v3, v16
	ds_write_b32 v3, v6 offset:2112
	s_waitcnt lgkmcnt(0)
	s_barrier
	s_and_saveexec_b64 s[0:1], vcc
	s_cbranch_execz .LBB112_42
; %bb.11:
	v_and_b32_e32 v1, 63, v4
	v_lshrrev_b32_e32 v2, 6, v4
	v_cmp_gt_u32_e64 s[0:1], 16, v1
	v_mul_u32_u24_e32 v3, 33, v1
                                        ; implicit-def: $vgpr1
                                        ; implicit-def: $vgpr6
	s_and_saveexec_b64 s[2:3], s[0:1]
	s_cbranch_execz .LBB112_13
; %bb.12:
	v_add_u32_e32 v1, v2, v3
	v_lshl_add_u32 v1, v1, 2, 0
	ds_read_b32 v6, v1
	ds_read_b32 v1, v1 offset:2112
.LBB112_13:
	s_or_b64 exec, exec, s[2:3]
	v_mbcnt_hi_u32_b32 v8, -1, v7
	v_and_b32_e32 v5, 64, v8
	v_add_u32_e32 v9, 64, v5
	v_xor_b32_e32 v5, 8, v8
	v_cmp_lt_i32_e32 vcc, v5, v9
	v_cndmask_b32_e32 v5, v8, v5, vcc
	v_lshlrev_b32_e32 v5, 2, v5
	s_waitcnt lgkmcnt(1)
	ds_bpermute_b32 v7, v5, v6
	s_waitcnt lgkmcnt(1)
	ds_bpermute_b32 v10, v5, v1
	v_cmp_eq_u32_e64 s[2:3], 0, v0
	s_mov_b32 s7, 0
	s_lshl_b64 s[4:5], s[6:7], 5
	s_waitcnt lgkmcnt(1)
	v_add_f32_e32 v7, v6, v7
	v_xor_b32_e32 v6, 4, v8
	v_cmp_lt_i32_e32 vcc, v6, v9
	v_cndmask_b32_e32 v6, v8, v6, vcc
	v_lshlrev_b32_e32 v6, 2, v6
	s_waitcnt lgkmcnt(0)
	v_add_f32_e32 v1, v1, v10
	ds_bpermute_b32 v10, v6, v7
	ds_bpermute_b32 v11, v6, v1
	s_cmp_lg_u64 s[16:17], 0
	s_cselect_b64 s[8:9], -1, 0
	s_cmp_lg_u64 s[18:19], 0
	s_waitcnt lgkmcnt(1)
	v_add_f32_e32 v10, v7, v10
	v_xor_b32_e32 v7, 2, v8
	v_cmp_lt_i32_e32 vcc, v7, v9
	v_cndmask_b32_e32 v7, v8, v7, vcc
	v_lshlrev_b32_e32 v7, 2, v7
	s_waitcnt lgkmcnt(0)
	v_add_f32_e32 v1, v1, v11
	ds_bpermute_b32 v11, v7, v10
	ds_bpermute_b32 v12, v7, v1
	s_cselect_b64 s[6:7], -1, 0
	s_waitcnt lgkmcnt(1)
	v_add_f32_e32 v0, v10, v11
	v_xor_b32_e32 v10, 1, v8
	v_cmp_lt_i32_e32 vcc, v10, v9
	v_cndmask_b32_e32 v8, v8, v10, vcc
	s_waitcnt lgkmcnt(0)
	v_add_f32_e32 v1, v1, v12
	v_lshlrev_b32_e32 v8, 2, v8
	ds_bpermute_b32 v9, v8, v0
	ds_bpermute_b32 v10, v8, v1
	s_waitcnt lgkmcnt(1)
	v_add_f32_e32 v9, v0, v9
	s_waitcnt lgkmcnt(0)
	v_add_f32_e32 v10, v1, v10
	s_and_saveexec_b64 s[10:11], s[2:3]
	s_cbranch_execz .LBB112_18
; %bb.14:
	v_mov_b32_e32 v1, s5
	v_or_b32_e32 v0, s4, v2
	v_lshlrev_b64 v[0:1], 1, v[0:1]
	s_andn2_b64 vcc, exec, s[8:9]
	s_cbranch_vccnz .LBB112_16
; %bb.15:
	v_bfe_u32 v11, v9, 16, 1
	s_movk_i32 s12, 0x7fff
	v_add3_u32 v11, v9, v11, s12
	v_cmp_o_f32_e32 vcc, v9, v9
	v_mov_b32_e32 v12, 0x7fc0
	v_cndmask_b32_sdwa v13, v12, v11, vcc dst_sel:DWORD dst_unused:UNUSED_PAD src0_sel:DWORD src1_sel:WORD_1
	v_mov_b32_e32 v12, s17
	v_add_co_u32_e32 v11, vcc, s16, v0
	v_addc_co_u32_e32 v12, vcc, v12, v1, vcc
	global_store_short v[11:12], v13, off
.LBB112_16:
	s_andn2_b64 vcc, exec, s[6:7]
	s_cbranch_vccnz .LBB112_18
; %bb.17:
	v_bfe_u32 v11, v10, 16, 1
	s_movk_i32 s12, 0x7fff
	v_add3_u32 v11, v10, v11, s12
	v_cmp_o_f32_e32 vcc, v10, v10
	v_mov_b32_e32 v12, 0x7fc0
	v_cndmask_b32_sdwa v11, v12, v11, vcc dst_sel:DWORD dst_unused:UNUSED_PAD src0_sel:DWORD src1_sel:WORD_1
	v_mov_b32_e32 v12, s19
	v_add_co_u32_e32 v0, vcc, s18, v0
	v_addc_co_u32_e32 v1, vcc, v12, v1, vcc
	global_store_short v[0:1], v11, off
.LBB112_18:
	s_or_b64 exec, exec, s[10:11]
	s_movk_i32 s10, 0x600
	v_cmp_gt_u32_e32 vcc, s10, v4
	s_and_b64 exec, exec, vcc
	s_cbranch_execz .LBB112_42
; %bb.19:
	s_and_saveexec_b64 s[10:11], s[0:1]
	s_cbranch_execz .LBB112_21
; %bb.20:
	v_add_u32_e32 v0, v2, v3
	v_lshl_add_u32 v0, v0, 2, 0
	ds_read_b32 v9, v0 offset:32
	ds_read_b32 v10, v0 offset:2144
.LBB112_21:
	s_or_b64 exec, exec, s[10:11]
	s_waitcnt lgkmcnt(1)
	ds_bpermute_b32 v0, v5, v9
	s_waitcnt lgkmcnt(1)
	ds_bpermute_b32 v1, v5, v10
	s_waitcnt lgkmcnt(1)
	v_add_f32_e32 v0, v9, v0
	s_waitcnt lgkmcnt(0)
	v_add_f32_e32 v1, v10, v1
	ds_bpermute_b32 v9, v6, v0
	ds_bpermute_b32 v10, v6, v1
	s_waitcnt lgkmcnt(1)
	v_add_f32_e32 v0, v0, v9
	s_waitcnt lgkmcnt(0)
	v_add_f32_e32 v1, v1, v10
	ds_bpermute_b32 v9, v7, v0
	;; [unrolled: 6-line block ×3, first 2 shown]
	ds_bpermute_b32 v10, v8, v1
	s_waitcnt lgkmcnt(1)
	v_add_f32_e32 v0, v0, v9
	s_waitcnt lgkmcnt(0)
	v_add_f32_e32 v1, v1, v10
	s_and_saveexec_b64 s[10:11], s[2:3]
	s_cbranch_execz .LBB112_26
; %bb.22:
	s_andn2_b64 vcc, exec, s[8:9]
	s_cbranch_vccnz .LBB112_24
; %bb.23:
	v_bfe_u32 v9, v0, 16, 1
	s_movk_i32 s12, 0x7fff
	v_add3_u32 v9, v0, v9, s12
	v_cmp_o_f32_e32 vcc, v0, v0
	v_mov_b32_e32 v10, 0x7fc0
	v_cndmask_b32_sdwa v11, v10, v9, vcc dst_sel:DWORD dst_unused:UNUSED_PAD src0_sel:DWORD src1_sel:WORD_1
	v_mov_b32_e32 v10, s5
	v_add_co_u32_e32 v9, vcc, s4, v2
	v_addc_co_u32_e32 v10, vcc, 0, v10, vcc
	v_lshlrev_b64 v[9:10], 1, v[9:10]
	v_mov_b32_e32 v12, s17
	v_add_co_u32_e32 v9, vcc, s16, v9
	v_addc_co_u32_e32 v10, vcc, v12, v10, vcc
	global_store_short v[9:10], v11, off offset:16
.LBB112_24:
	s_andn2_b64 vcc, exec, s[6:7]
	s_cbranch_vccnz .LBB112_26
; %bb.25:
	v_bfe_u32 v9, v1, 16, 1
	s_movk_i32 s12, 0x7fff
	v_add3_u32 v9, v1, v9, s12
	v_cmp_o_f32_e32 vcc, v1, v1
	v_mov_b32_e32 v10, 0x7fc0
	v_cndmask_b32_sdwa v11, v10, v9, vcc dst_sel:DWORD dst_unused:UNUSED_PAD src0_sel:DWORD src1_sel:WORD_1
	v_mov_b32_e32 v10, s5
	v_add_co_u32_e32 v9, vcc, s4, v2
	v_addc_co_u32_e32 v10, vcc, 0, v10, vcc
	v_lshlrev_b64 v[9:10], 1, v[9:10]
	v_mov_b32_e32 v12, s19
	v_add_co_u32_e32 v9, vcc, s18, v9
	v_addc_co_u32_e32 v10, vcc, v12, v10, vcc
	global_store_short v[9:10], v11, off offset:16
.LBB112_26:
	s_or_b64 exec, exec, s[10:11]
	s_movk_i32 s10, 0x400
	v_cmp_gt_u32_e32 vcc, s10, v4
	s_and_b64 exec, exec, vcc
	s_cbranch_execz .LBB112_42
; %bb.27:
	s_and_saveexec_b64 s[10:11], s[0:1]
	s_cbranch_execz .LBB112_29
; %bb.28:
	v_add_u32_e32 v0, v2, v3
	v_lshl_add_u32 v1, v0, 2, 0
	ds_read_b32 v0, v1 offset:64
	ds_read_b32 v1, v1 offset:2176
.LBB112_29:
	s_or_b64 exec, exec, s[10:11]
	s_waitcnt lgkmcnt(1)
	ds_bpermute_b32 v9, v5, v0
	s_waitcnt lgkmcnt(1)
	ds_bpermute_b32 v10, v5, v1
	s_waitcnt lgkmcnt(1)
	v_add_f32_e32 v0, v0, v9
	s_waitcnt lgkmcnt(0)
	v_add_f32_e32 v1, v1, v10
	ds_bpermute_b32 v9, v6, v0
	ds_bpermute_b32 v10, v6, v1
	s_waitcnt lgkmcnt(1)
	v_add_f32_e32 v0, v0, v9
	s_waitcnt lgkmcnt(0)
	v_add_f32_e32 v1, v1, v10
	ds_bpermute_b32 v9, v7, v0
	;; [unrolled: 6-line block ×3, first 2 shown]
	ds_bpermute_b32 v10, v8, v1
	s_waitcnt lgkmcnt(1)
	v_add_f32_e32 v0, v0, v9
	s_waitcnt lgkmcnt(0)
	v_add_f32_e32 v1, v1, v10
	s_and_saveexec_b64 s[10:11], s[2:3]
	s_cbranch_execz .LBB112_34
; %bb.30:
	s_andn2_b64 vcc, exec, s[8:9]
	s_cbranch_vccnz .LBB112_32
; %bb.31:
	v_bfe_u32 v9, v0, 16, 1
	s_movk_i32 s12, 0x7fff
	v_add3_u32 v9, v0, v9, s12
	v_cmp_o_f32_e32 vcc, v0, v0
	v_mov_b32_e32 v10, 0x7fc0
	v_cndmask_b32_sdwa v11, v10, v9, vcc dst_sel:DWORD dst_unused:UNUSED_PAD src0_sel:DWORD src1_sel:WORD_1
	v_mov_b32_e32 v10, s5
	v_add_co_u32_e32 v9, vcc, s4, v2
	v_addc_co_u32_e32 v10, vcc, 0, v10, vcc
	v_lshlrev_b64 v[9:10], 1, v[9:10]
	v_mov_b32_e32 v12, s17
	v_add_co_u32_e32 v9, vcc, s16, v9
	v_addc_co_u32_e32 v10, vcc, v12, v10, vcc
	global_store_short v[9:10], v11, off offset:32
.LBB112_32:
	s_andn2_b64 vcc, exec, s[6:7]
	s_cbranch_vccnz .LBB112_34
; %bb.33:
	v_bfe_u32 v9, v1, 16, 1
	s_movk_i32 s12, 0x7fff
	v_add3_u32 v9, v1, v9, s12
	v_cmp_o_f32_e32 vcc, v1, v1
	v_mov_b32_e32 v10, 0x7fc0
	v_cndmask_b32_sdwa v11, v10, v9, vcc dst_sel:DWORD dst_unused:UNUSED_PAD src0_sel:DWORD src1_sel:WORD_1
	v_mov_b32_e32 v10, s5
	v_add_co_u32_e32 v9, vcc, s4, v2
	v_addc_co_u32_e32 v10, vcc, 0, v10, vcc
	v_lshlrev_b64 v[9:10], 1, v[9:10]
	v_mov_b32_e32 v12, s19
	v_add_co_u32_e32 v9, vcc, s18, v9
	v_addc_co_u32_e32 v10, vcc, v12, v10, vcc
	global_store_short v[9:10], v11, off offset:32
.LBB112_34:
	s_or_b64 exec, exec, s[10:11]
	s_movk_i32 s10, 0x200
	v_cmp_gt_u32_e32 vcc, s10, v4
	s_and_b64 exec, exec, vcc
	s_cbranch_execz .LBB112_42
; %bb.35:
	s_and_saveexec_b64 s[10:11], s[0:1]
	s_cbranch_execz .LBB112_37
; %bb.36:
	v_add_u32_e32 v0, v2, v3
	v_lshl_add_u32 v1, v0, 2, 0
	ds_read_b32 v0, v1 offset:96
	ds_read_b32 v1, v1 offset:2208
.LBB112_37:
	s_or_b64 exec, exec, s[10:11]
	s_waitcnt lgkmcnt(1)
	ds_bpermute_b32 v3, v5, v0
	s_waitcnt lgkmcnt(1)
	ds_bpermute_b32 v4, v5, v1
	s_waitcnt lgkmcnt(1)
	v_add_f32_e32 v0, v0, v3
	s_waitcnt lgkmcnt(0)
	v_add_f32_e32 v1, v1, v4
	ds_bpermute_b32 v3, v6, v0
	ds_bpermute_b32 v4, v6, v1
	s_waitcnt lgkmcnt(1)
	v_add_f32_e32 v0, v0, v3
	s_waitcnt lgkmcnt(0)
	v_add_f32_e32 v1, v1, v4
	ds_bpermute_b32 v3, v7, v0
	;; [unrolled: 6-line block ×3, first 2 shown]
	ds_bpermute_b32 v1, v8, v0
	s_and_b64 exec, exec, s[2:3]
	s_cbranch_execz .LBB112_42
; %bb.38:
	s_andn2_b64 vcc, exec, s[8:9]
	s_cbranch_vccnz .LBB112_40
; %bb.39:
	s_waitcnt lgkmcnt(1)
	v_add_f32_e32 v3, v3, v4
	v_bfe_u32 v4, v3, 16, 1
	s_movk_i32 s0, 0x7fff
	v_add3_u32 v4, v3, v4, s0
	v_cmp_o_f32_e32 vcc, v3, v3
	v_mov_b32_e32 v3, 0x7fc0
	v_cndmask_b32_sdwa v5, v3, v4, vcc dst_sel:DWORD dst_unused:UNUSED_PAD src0_sel:DWORD src1_sel:WORD_1
	v_mov_b32_e32 v4, s5
	v_add_co_u32_e32 v3, vcc, s4, v2
	v_addc_co_u32_e32 v4, vcc, 0, v4, vcc
	v_lshlrev_b64 v[3:4], 1, v[3:4]
	v_mov_b32_e32 v6, s17
	v_add_co_u32_e32 v3, vcc, s16, v3
	v_addc_co_u32_e32 v4, vcc, v6, v4, vcc
	global_store_short v[3:4], v5, off offset:48
.LBB112_40:
	s_andn2_b64 vcc, exec, s[6:7]
	s_cbranch_vccnz .LBB112_42
; %bb.41:
	s_waitcnt lgkmcnt(0)
	v_add_f32_e32 v0, v0, v1
	v_bfe_u32 v1, v0, 16, 1
	s_movk_i32 s0, 0x7fff
	v_add3_u32 v1, v0, v1, s0
	v_cmp_o_f32_e32 vcc, v0, v0
	v_mov_b32_e32 v0, 0x7fc0
	v_cndmask_b32_sdwa v3, v0, v1, vcc dst_sel:DWORD dst_unused:UNUSED_PAD src0_sel:DWORD src1_sel:WORD_1
	v_mov_b32_e32 v1, s5
	v_add_co_u32_e32 v0, vcc, s4, v2
	v_addc_co_u32_e32 v1, vcc, 0, v1, vcc
	v_lshlrev_b64 v[0:1], 1, v[0:1]
	v_mov_b32_e32 v2, s19
	v_add_co_u32_e32 v0, vcc, s18, v0
	v_addc_co_u32_e32 v1, vcc, v2, v1, vcc
	global_store_short v[0:1], v3, off offset:48
.LBB112_42:
	s_endpgm
	.section	.rodata,"a",@progbits
	.p2align	6, 0x0
	.amdhsa_kernel _ZN2at6native12_GLOBAL__N_135GammaBetaBackwardCUDAKernelTemplateIN3c108BFloat16EfLj32ELj16ELj128ELb0ELb1ELb0EEEvllPKT_S7_PKT0_SA_PS5_SB_
		.amdhsa_group_segment_fixed_size 0
		.amdhsa_private_segment_fixed_size 0
		.amdhsa_kernarg_size 320
		.amdhsa_user_sgpr_count 6
		.amdhsa_user_sgpr_private_segment_buffer 1
		.amdhsa_user_sgpr_dispatch_ptr 0
		.amdhsa_user_sgpr_queue_ptr 0
		.amdhsa_user_sgpr_kernarg_segment_ptr 1
		.amdhsa_user_sgpr_dispatch_id 0
		.amdhsa_user_sgpr_flat_scratch_init 0
		.amdhsa_user_sgpr_private_segment_size 0
		.amdhsa_uses_dynamic_stack 0
		.amdhsa_system_sgpr_private_segment_wavefront_offset 0
		.amdhsa_system_sgpr_workgroup_id_x 1
		.amdhsa_system_sgpr_workgroup_id_y 1
		.amdhsa_system_sgpr_workgroup_id_z 0
		.amdhsa_system_sgpr_workgroup_info 0
		.amdhsa_system_vgpr_workitem_id 1
		.amdhsa_next_free_vgpr 34
		.amdhsa_next_free_sgpr 32
		.amdhsa_reserve_vcc 1
		.amdhsa_reserve_flat_scratch 0
		.amdhsa_float_round_mode_32 0
		.amdhsa_float_round_mode_16_64 0
		.amdhsa_float_denorm_mode_32 3
		.amdhsa_float_denorm_mode_16_64 3
		.amdhsa_dx10_clamp 1
		.amdhsa_ieee_mode 1
		.amdhsa_fp16_overflow 0
		.amdhsa_exception_fp_ieee_invalid_op 0
		.amdhsa_exception_fp_denorm_src 0
		.amdhsa_exception_fp_ieee_div_zero 0
		.amdhsa_exception_fp_ieee_overflow 0
		.amdhsa_exception_fp_ieee_underflow 0
		.amdhsa_exception_fp_ieee_inexact 0
		.amdhsa_exception_int_div_zero 0
	.end_amdhsa_kernel
	.section	.text._ZN2at6native12_GLOBAL__N_135GammaBetaBackwardCUDAKernelTemplateIN3c108BFloat16EfLj32ELj16ELj128ELb0ELb1ELb0EEEvllPKT_S7_PKT0_SA_PS5_SB_,"axG",@progbits,_ZN2at6native12_GLOBAL__N_135GammaBetaBackwardCUDAKernelTemplateIN3c108BFloat16EfLj32ELj16ELj128ELb0ELb1ELb0EEEvllPKT_S7_PKT0_SA_PS5_SB_,comdat
.Lfunc_end112:
	.size	_ZN2at6native12_GLOBAL__N_135GammaBetaBackwardCUDAKernelTemplateIN3c108BFloat16EfLj32ELj16ELj128ELb0ELb1ELb0EEEvllPKT_S7_PKT0_SA_PS5_SB_, .Lfunc_end112-_ZN2at6native12_GLOBAL__N_135GammaBetaBackwardCUDAKernelTemplateIN3c108BFloat16EfLj32ELj16ELj128ELb0ELb1ELb0EEEvllPKT_S7_PKT0_SA_PS5_SB_
                                        ; -- End function
	.set _ZN2at6native12_GLOBAL__N_135GammaBetaBackwardCUDAKernelTemplateIN3c108BFloat16EfLj32ELj16ELj128ELb0ELb1ELb0EEEvllPKT_S7_PKT0_SA_PS5_SB_.num_vgpr, 34
	.set _ZN2at6native12_GLOBAL__N_135GammaBetaBackwardCUDAKernelTemplateIN3c108BFloat16EfLj32ELj16ELj128ELb0ELb1ELb0EEEvllPKT_S7_PKT0_SA_PS5_SB_.num_agpr, 0
	.set _ZN2at6native12_GLOBAL__N_135GammaBetaBackwardCUDAKernelTemplateIN3c108BFloat16EfLj32ELj16ELj128ELb0ELb1ELb0EEEvllPKT_S7_PKT0_SA_PS5_SB_.numbered_sgpr, 32
	.set _ZN2at6native12_GLOBAL__N_135GammaBetaBackwardCUDAKernelTemplateIN3c108BFloat16EfLj32ELj16ELj128ELb0ELb1ELb0EEEvllPKT_S7_PKT0_SA_PS5_SB_.num_named_barrier, 0
	.set _ZN2at6native12_GLOBAL__N_135GammaBetaBackwardCUDAKernelTemplateIN3c108BFloat16EfLj32ELj16ELj128ELb0ELb1ELb0EEEvllPKT_S7_PKT0_SA_PS5_SB_.private_seg_size, 0
	.set _ZN2at6native12_GLOBAL__N_135GammaBetaBackwardCUDAKernelTemplateIN3c108BFloat16EfLj32ELj16ELj128ELb0ELb1ELb0EEEvllPKT_S7_PKT0_SA_PS5_SB_.uses_vcc, 1
	.set _ZN2at6native12_GLOBAL__N_135GammaBetaBackwardCUDAKernelTemplateIN3c108BFloat16EfLj32ELj16ELj128ELb0ELb1ELb0EEEvllPKT_S7_PKT0_SA_PS5_SB_.uses_flat_scratch, 0
	.set _ZN2at6native12_GLOBAL__N_135GammaBetaBackwardCUDAKernelTemplateIN3c108BFloat16EfLj32ELj16ELj128ELb0ELb1ELb0EEEvllPKT_S7_PKT0_SA_PS5_SB_.has_dyn_sized_stack, 0
	.set _ZN2at6native12_GLOBAL__N_135GammaBetaBackwardCUDAKernelTemplateIN3c108BFloat16EfLj32ELj16ELj128ELb0ELb1ELb0EEEvllPKT_S7_PKT0_SA_PS5_SB_.has_recursion, 0
	.set _ZN2at6native12_GLOBAL__N_135GammaBetaBackwardCUDAKernelTemplateIN3c108BFloat16EfLj32ELj16ELj128ELb0ELb1ELb0EEEvllPKT_S7_PKT0_SA_PS5_SB_.has_indirect_call, 0
	.section	.AMDGPU.csdata,"",@progbits
; Kernel info:
; codeLenInByte = 2852
; TotalNumSgprs: 36
; NumVgprs: 34
; ScratchSize: 0
; MemoryBound: 0
; FloatMode: 240
; IeeeMode: 1
; LDSByteSize: 0 bytes/workgroup (compile time only)
; SGPRBlocks: 4
; VGPRBlocks: 8
; NumSGPRsForWavesPerEU: 36
; NumVGPRsForWavesPerEU: 34
; Occupancy: 7
; WaveLimiterHint : 0
; COMPUTE_PGM_RSRC2:SCRATCH_EN: 0
; COMPUTE_PGM_RSRC2:USER_SGPR: 6
; COMPUTE_PGM_RSRC2:TRAP_HANDLER: 0
; COMPUTE_PGM_RSRC2:TGID_X_EN: 1
; COMPUTE_PGM_RSRC2:TGID_Y_EN: 1
; COMPUTE_PGM_RSRC2:TGID_Z_EN: 0
; COMPUTE_PGM_RSRC2:TIDIG_COMP_CNT: 1
	.section	.text._ZN2at6native12_GLOBAL__N_135GammaBetaBackwardCUDAKernelTemplateIN3c108BFloat16EfLj32ELj16ELj128ELb0ELb0ELb0EEEvllPKT_S7_PKT0_SA_PS5_SB_,"axG",@progbits,_ZN2at6native12_GLOBAL__N_135GammaBetaBackwardCUDAKernelTemplateIN3c108BFloat16EfLj32ELj16ELj128ELb0ELb0ELb0EEEvllPKT_S7_PKT0_SA_PS5_SB_,comdat
	.globl	_ZN2at6native12_GLOBAL__N_135GammaBetaBackwardCUDAKernelTemplateIN3c108BFloat16EfLj32ELj16ELj128ELb0ELb0ELb0EEEvllPKT_S7_PKT0_SA_PS5_SB_ ; -- Begin function _ZN2at6native12_GLOBAL__N_135GammaBetaBackwardCUDAKernelTemplateIN3c108BFloat16EfLj32ELj16ELj128ELb0ELb0ELb0EEEvllPKT_S7_PKT0_SA_PS5_SB_
	.p2align	8
	.type	_ZN2at6native12_GLOBAL__N_135GammaBetaBackwardCUDAKernelTemplateIN3c108BFloat16EfLj32ELj16ELj128ELb0ELb0ELb0EEEvllPKT_S7_PKT0_SA_PS5_SB_,@function
_ZN2at6native12_GLOBAL__N_135GammaBetaBackwardCUDAKernelTemplateIN3c108BFloat16EfLj32ELj16ELj128ELb0ELb0ELb0EEEvllPKT_S7_PKT0_SA_PS5_SB_: ; @_ZN2at6native12_GLOBAL__N_135GammaBetaBackwardCUDAKernelTemplateIN3c108BFloat16EfLj32ELj16ELj128ELb0ELb0ELb0EEEvllPKT_S7_PKT0_SA_PS5_SB_
; %bb.0:
	s_load_dwordx8 s[12:19], s[4:5], 0x0
	s_load_dwordx4 s[20:23], s[4:5], 0x20
	s_lshl_b32 s10, s7, 7
	s_lshl_b32 s33, s6, 5
	s_mov_b32 s11, 0
	v_mov_b32_e32 v4, s10
	s_or_b32 s0, s33, 31
	v_mov_b32_e32 v5, s11
	v_mov_b32_e32 v2, s0
	;; [unrolled: 1-line block ×3, first 2 shown]
	s_waitcnt lgkmcnt(0)
	v_cmp_gt_i64_e64 s[0:1], s[12:13], v[4:5]
	v_cmp_le_i64_e32 vcc, s[14:15], v[2:3]
	v_cndmask_b32_e64 v2, 0, 1, s[0:1]
	v_cmp_ne_u32_e64 s[0:1], 1, v2
	s_cbranch_vccz .LBB113_49
; %bb.1:
	s_and_b64 vcc, exec, s[0:1]
	v_mov_b32_e32 v54, 0
	s_cbranch_vccnz .LBB113_50
; %bb.2:
	v_lshlrev_b32_e32 v21, 3, v1
	v_add_co_u32_e32 v9, vcc, s10, v21
	v_addc_co_u32_e64 v10, s[2:3], 0, 0, vcc
	v_mul_lo_u32 v7, s15, v9
	v_mul_lo_u32 v8, s14, v10
	v_mad_u64_u32 v[5:6], s[2:3], s14, v9, 0
	v_mov_b32_e32 v2, 0
	s_load_dword s7, s[4:5], 0x44
	v_add_u32_e32 v3, s33, v0
	v_mov_b32_e32 v4, v2
	v_add3_u32 v6, v6, v8, v7
	v_cmp_gt_i64_e64 s[2:3], s[14:15], v[3:4]
	v_lshlrev_b64 v[19:20], 1, v[3:4]
	v_lshlrev_b64 v[3:4], 1, v[5:6]
	s_add_u32 s24, s4, 64
	v_mov_b32_e32 v7, s17
	v_add_co_u32_e32 v22, vcc, s16, v3
	s_addc_u32 s25, s5, 0
	s_waitcnt lgkmcnt(0)
	s_lshl_b32 s7, s7, 7
	v_addc_co_u32_e32 v23, vcc, v7, v4, vcc
	s_mul_i32 s8, s15, s7
	s_mul_hi_u32 s9, s14, s7
	v_add_co_u32_e32 v7, vcc, 7, v9
	s_add_i32 s9, s9, s8
	s_mul_i32 s8, s14, s7
	v_addc_co_u32_e32 v8, vcc, 0, v10, vcc
	s_lshl_b64 s[26:27], s[8:9], 1
	v_mul_lo_u32 v12, s15, v7
	v_mul_lo_u32 v13, s14, v8
	v_mad_u64_u32 v[7:8], s[8:9], s14, v7, 0
	v_mov_b32_e32 v11, s19
	v_add_co_u32_e32 v24, vcc, s18, v3
	v_add3_u32 v8, v8, v13, v12
	v_addc_co_u32_e32 v25, vcc, v11, v4, vcc
	v_lshlrev_b64 v[3:4], 1, v[7:8]
	v_mov_b32_e32 v7, s17
	v_add_co_u32_e32 v26, vcc, s16, v3
	v_addc_co_u32_e32 v27, vcc, v7, v4, vcc
	v_add_co_u32_e32 v7, vcc, 6, v9
	v_addc_co_u32_e32 v8, vcc, 0, v10, vcc
	v_mul_lo_u32 v12, s15, v7
	v_mul_lo_u32 v13, s14, v8
	v_mad_u64_u32 v[7:8], s[8:9], s14, v7, 0
	v_add_co_u32_e32 v28, vcc, s18, v3
	v_add3_u32 v8, v8, v13, v12
	v_addc_co_u32_e32 v29, vcc, v11, v4, vcc
	v_lshlrev_b64 v[3:4], 1, v[7:8]
	v_mov_b32_e32 v7, s17
	v_add_co_u32_e32 v30, vcc, s16, v3
	v_addc_co_u32_e32 v31, vcc, v7, v4, vcc
	v_add_co_u32_e32 v7, vcc, 5, v9
	v_addc_co_u32_e32 v8, vcc, 0, v10, vcc
	v_mul_lo_u32 v12, s15, v7
	v_mul_lo_u32 v13, s14, v8
	v_mad_u64_u32 v[7:8], s[8:9], s14, v7, 0
	;; [unrolled: 12-line block ×5, first 2 shown]
	v_add_co_u32_e32 v44, vcc, s18, v3
	v_add3_u32 v8, v8, v10, v9
	v_addc_co_u32_e32 v45, vcc, v11, v4, vcc
	v_lshlrev_b64 v[3:4], 1, v[7:8]
	v_mov_b32_e32 v7, s17
	v_add_co_u32_e32 v46, vcc, s16, v3
	v_addc_co_u32_e32 v47, vcc, v7, v4, vcc
	v_mov_b32_e32 v7, s19
	v_add_co_u32_e32 v48, vcc, s18, v3
	v_addc_co_u32_e32 v49, vcc, v7, v4, vcc
	;; [unrolled: 3-line block ×3, first 2 shown]
	v_lshlrev_b64 v[3:4], 1, v[3:4]
	v_mov_b32_e32 v5, s17
	v_add_co_u32_e32 v50, vcc, s16, v3
	v_addc_co_u32_e32 v51, vcc, v5, v4, vcc
	v_add_co_u32_e32 v52, vcc, s18, v3
	v_mbcnt_lo_u32_b32 v3, -1, 0
	v_mbcnt_hi_u32_b32 v3, -1, v3
	v_mov_b32_e32 v5, s19
	s_add_u32 s28, s10, 0x7f
	v_lshlrev_b32_e32 v3, 2, v3
	v_addc_co_u32_e32 v53, vcc, v5, v4, vcc
	s_addc_u32 s29, 0, 0
	v_and_b32_e32 v55, 0x100, v3
	v_mov_b32_e32 v54, 0
	v_mov_b32_e32 v56, 0
	s_mov_b64 s[30:31], s[10:11]
.LBB113_3:                              ; =>This Inner Loop Header: Depth=1
	v_mov_b32_e32 v3, s12
	v_mov_b32_e32 v4, s13
	v_cmp_ge_i64_e32 vcc, s[28:29], v[3:4]
	v_mov_b32_e32 v3, s29
	v_add_co_u32_e64 v57, s[8:9], s28, v21
	v_addc_co_u32_e64 v58, s[8:9], 0, v3, s[8:9]
	s_mov_b64 s[8:9], -1
	s_and_b64 vcc, exec, vcc
                                        ; implicit-def: $vgpr3_vgpr4_vgpr5_vgpr6_vgpr7_vgpr8_vgpr9_vgpr10
                                        ; implicit-def: $vgpr59
                                        ; implicit-def: $vgpr11_vgpr12_vgpr13_vgpr14_vgpr15_vgpr16_vgpr17_vgpr18
                                        ; implicit-def: $vgpr4
                                        ; implicit-def: $vgpr3
                                        ; implicit-def: $vgpr5
	s_cbranch_vccz .LBB113_25
; %bb.4:                                ;   in Loop: Header=BB113_3 Depth=1
	s_load_dword s8, s[24:25], 0xc
	v_mov_b32_e32 v59, 0
	v_mov_b32_e32 v60, 0
	s_waitcnt lgkmcnt(0)
	s_and_b32 s8, s8, 0xffff
	v_mad_u32_u24 v3, v1, s8, v0
	v_and_b32_e32 v3, 63, v3
	v_cmp_gt_u32_e32 vcc, 8, v3
	s_and_saveexec_b64 s[8:9], vcc
	s_cbranch_execz .LBB113_8
; %bb.5:                                ;   in Loop: Header=BB113_3 Depth=1
	v_add_co_u32_e32 v3, vcc, v57, v3
	v_addc_co_u32_e32 v4, vcc, 0, v58, vcc
	v_add_co_u32_e32 v3, vcc, 0xffffff81, v3
	v_addc_co_u32_e32 v4, vcc, -1, v4, vcc
	v_cmp_gt_i64_e32 vcc, s[12:13], v[3:4]
	v_mov_b32_e32 v60, 0
	v_mov_b32_e32 v59, 0
	s_and_saveexec_b64 s[34:35], vcc
	s_cbranch_execz .LBB113_7
; %bb.6:                                ;   in Loop: Header=BB113_3 Depth=1
	v_lshlrev_b64 v[3:4], 2, v[3:4]
	v_mov_b32_e32 v6, s23
	v_add_co_u32_e32 v5, vcc, s22, v3
	v_addc_co_u32_e32 v6, vcc, v6, v4, vcc
	v_mov_b32_e32 v7, s21
	v_add_co_u32_e32 v3, vcc, s20, v3
	v_addc_co_u32_e32 v4, vcc, v7, v4, vcc
	global_load_dword v60, v[3:4], off
	global_load_dword v59, v[5:6], off
.LBB113_7:                              ;   in Loop: Header=BB113_3 Depth=1
	s_or_b64 exec, exec, s[34:35]
.LBB113_8:                              ;   in Loop: Header=BB113_3 Depth=1
	s_or_b64 exec, exec, s[8:9]
	v_add_co_u32_e32 v3, vcc, 0xffffff81, v57
	v_addc_co_u32_e32 v4, vcc, -1, v58, vcc
	v_mov_b32_e32 v9, v2
	v_cmp_gt_i64_e32 vcc, s[12:13], v[3:4]
	v_mov_b32_e32 v3, v2
	v_mov_b32_e32 v4, v2
	v_mov_b32_e32 v5, v2
	v_mov_b32_e32 v6, v2
	v_mov_b32_e32 v7, v2
	v_mov_b32_e32 v8, v2
	v_mov_b32_e32 v18, v9
	v_mov_b32_e32 v17, v8
	v_mov_b32_e32 v16, v7
	v_mov_b32_e32 v15, v6
	v_mov_b32_e32 v14, v5
	v_mov_b32_e32 v13, v4
	v_mov_b32_e32 v12, v3
	v_mov_b32_e32 v11, v2
	v_mov_b32_e32 v10, v9
	s_and_b64 s[34:35], s[2:3], vcc
	v_mov_b32_e32 v9, v8
	v_mov_b32_e32 v8, v7
	;; [unrolled: 1-line block ×7, first 2 shown]
	s_and_saveexec_b64 s[8:9], s[34:35]
	s_cbranch_execz .LBB113_10
; %bb.9:                                ;   in Loop: Header=BB113_3 Depth=1
	v_add_co_u32_e32 v3, vcc, v22, v19
	v_addc_co_u32_e32 v4, vcc, v23, v20, vcc
	global_load_ushort v11, v[3:4], off
	v_add_co_u32_e32 v3, vcc, v24, v19
	v_addc_co_u32_e32 v4, vcc, v25, v20, vcc
	global_load_ushort v18, v[3:4], off
	v_mov_b32_e32 v4, v2
	v_mov_b32_e32 v5, v2
	;; [unrolled: 1-line block ×13, first 2 shown]
	s_waitcnt vmcnt(1)
	v_lshlrev_b32_e32 v3, 16, v11
	s_waitcnt vmcnt(0)
	v_lshlrev_b32_e32 v11, 16, v18
	v_mov_b32_e32 v18, v2
.LBB113_10:                             ;   in Loop: Header=BB113_3 Depth=1
	s_or_b64 exec, exec, s[8:9]
	v_add_co_u32_e32 v61, vcc, 0xffffff82, v57
	v_addc_co_u32_e32 v62, vcc, -1, v58, vcc
	v_cmp_gt_i64_e32 vcc, s[12:13], v[61:62]
	s_and_b64 s[34:35], s[2:3], vcc
	s_and_saveexec_b64 s[8:9], s[34:35]
	s_cbranch_execz .LBB113_12
; %bb.11:                               ;   in Loop: Header=BB113_3 Depth=1
	v_add_co_u32_e32 v61, vcc, v50, v19
	v_addc_co_u32_e32 v62, vcc, v51, v20, vcc
	global_load_ushort v4, v[61:62], off
	v_add_co_u32_e32 v61, vcc, v52, v19
	v_addc_co_u32_e32 v62, vcc, v53, v20, vcc
	global_load_ushort v12, v[61:62], off
	s_waitcnt vmcnt(1)
	v_lshlrev_b32_e32 v4, 16, v4
	s_waitcnt vmcnt(0)
	v_lshlrev_b32_e32 v12, 16, v12
.LBB113_12:                             ;   in Loop: Header=BB113_3 Depth=1
	s_or_b64 exec, exec, s[8:9]
	v_add_co_u32_e32 v61, vcc, 0xffffff83, v57
	v_addc_co_u32_e32 v62, vcc, -1, v58, vcc
	v_cmp_gt_i64_e32 vcc, s[12:13], v[61:62]
	s_and_b64 s[34:35], s[2:3], vcc
	s_and_saveexec_b64 s[8:9], s[34:35]
	s_cbranch_execz .LBB113_14
; %bb.13:                               ;   in Loop: Header=BB113_3 Depth=1
	v_add_co_u32_e32 v61, vcc, v46, v19
	v_addc_co_u32_e32 v62, vcc, v47, v20, vcc
	global_load_ushort v5, v[61:62], off
	v_add_co_u32_e32 v61, vcc, v48, v19
	v_addc_co_u32_e32 v62, vcc, v49, v20, vcc
	global_load_ushort v13, v[61:62], off
	s_waitcnt vmcnt(1)
	v_lshlrev_b32_e32 v5, 16, v5
	s_waitcnt vmcnt(0)
	v_lshlrev_b32_e32 v13, 16, v13
.LBB113_14:                             ;   in Loop: Header=BB113_3 Depth=1
	;; [unrolled: 19-line block ×7, first 2 shown]
	s_or_b64 exec, exec, s[8:9]
	s_waitcnt vmcnt(1)
	ds_bpermute_b32 v61, v55, v60
	ds_bpermute_b32 v64, v55, v60 offset:4
	s_waitcnt vmcnt(0)
	ds_bpermute_b32 v62, v55, v59
	ds_bpermute_b32 v65, v55, v59 offset:4
	v_add_f32_e32 v63, v54, v3
	s_waitcnt lgkmcnt(3)
	v_sub_f32_e32 v11, v11, v61
	v_mul_f32_e32 v3, v3, v11
	s_waitcnt lgkmcnt(2)
	v_sub_f32_e32 v11, v12, v64
	ds_bpermute_b32 v12, v55, v60 offset:8
	s_waitcnt lgkmcnt(2)
	v_fma_f32 v3, v3, v62, v56
	v_mul_f32_e32 v11, v4, v11
	s_waitcnt lgkmcnt(1)
	v_fmac_f32_e32 v3, v11, v65
	ds_bpermute_b32 v11, v55, v59 offset:8
	s_waitcnt lgkmcnt(1)
	v_sub_f32_e32 v12, v13, v12
	ds_bpermute_b32 v13, v55, v60 offset:12
	v_mul_f32_e32 v12, v5, v12
	v_add_f32_e32 v4, v4, v63
	s_waitcnt lgkmcnt(1)
	v_fmac_f32_e32 v3, v12, v11
	ds_bpermute_b32 v11, v55, v59 offset:12
	v_add_f32_e32 v4, v5, v4
	s_waitcnt lgkmcnt(1)
	v_sub_f32_e32 v5, v14, v13
	ds_bpermute_b32 v12, v55, v60 offset:16
	v_mul_f32_e32 v5, v6, v5
	s_waitcnt lgkmcnt(1)
	v_fmac_f32_e32 v3, v5, v11
	ds_bpermute_b32 v5, v55, v59 offset:16
	v_add_f32_e32 v4, v6, v4
	s_waitcnt lgkmcnt(1)
	v_sub_f32_e32 v6, v15, v12
	ds_bpermute_b32 v11, v55, v60 offset:20
	v_mul_f32_e32 v6, v7, v6
	;; [unrolled: 8-line block ×3, first 2 shown]
	s_waitcnt lgkmcnt(1)
	v_fmac_f32_e32 v3, v6, v5
	ds_bpermute_b32 v6, v55, v59 offset:24
	v_add_f32_e32 v5, v8, v4
	ds_bpermute_b32 v59, v55, v59 offset:28
	ds_bpermute_b32 v4, v55, v60 offset:28
	s_waitcnt lgkmcnt(3)
	v_sub_f32_e32 v7, v17, v7
	v_mul_f32_e32 v7, v9, v7
	s_waitcnt lgkmcnt(2)
	v_fmac_f32_e32 v3, v7, v6
	v_add_f32_e32 v5, v9, v5
	s_mov_b64 s[8:9], 0
.LBB113_25:                             ;   in Loop: Header=BB113_3 Depth=1
	s_and_b64 vcc, exec, s[8:9]
	s_cbranch_vccz .LBB113_40
; %bb.26:                               ;   in Loop: Header=BB113_3 Depth=1
	s_load_dword s8, s[24:25], 0x0
	s_waitcnt lgkmcnt(0)
	v_mov_b32_e32 v59, 0
	v_mov_b32_e32 v60, 0
	s_cmp_lt_u32 s6, s8
	s_cselect_b32 s8, 12, 18
	s_add_u32 s8, s24, s8
	s_addc_u32 s9, s25, 0
	global_load_ushort v3, v2, s[8:9]
	s_waitcnt vmcnt(0)
	v_mad_u32_u24 v3, v1, v3, v0
	v_and_b32_e32 v3, 63, v3
	v_cmp_gt_u32_e32 vcc, 8, v3
	s_and_saveexec_b64 s[8:9], vcc
	s_cbranch_execz .LBB113_30
; %bb.27:                               ;   in Loop: Header=BB113_3 Depth=1
	v_add_co_u32_e32 v3, vcc, v57, v3
	v_addc_co_u32_e32 v4, vcc, 0, v58, vcc
	v_add_co_u32_e32 v3, vcc, 0xffffff81, v3
	v_addc_co_u32_e32 v4, vcc, -1, v4, vcc
	v_cmp_gt_i64_e32 vcc, s[12:13], v[3:4]
	v_mov_b32_e32 v60, 0
	v_mov_b32_e32 v59, 0
	s_and_saveexec_b64 s[34:35], vcc
	s_cbranch_execz .LBB113_29
; %bb.28:                               ;   in Loop: Header=BB113_3 Depth=1
	v_lshlrev_b64 v[3:4], 2, v[3:4]
	v_mov_b32_e32 v6, s23
	v_add_co_u32_e32 v5, vcc, s22, v3
	v_addc_co_u32_e32 v6, vcc, v6, v4, vcc
	v_mov_b32_e32 v7, s21
	v_add_co_u32_e32 v3, vcc, s20, v3
	v_addc_co_u32_e32 v4, vcc, v7, v4, vcc
	global_load_dword v60, v[3:4], off
	global_load_dword v59, v[5:6], off
.LBB113_29:                             ;   in Loop: Header=BB113_3 Depth=1
	s_or_b64 exec, exec, s[34:35]
.LBB113_30:                             ;   in Loop: Header=BB113_3 Depth=1
	s_or_b64 exec, exec, s[8:9]
	v_mov_b32_e32 v9, v2
	v_mov_b32_e32 v3, v2
	;; [unrolled: 1-line block ×23, first 2 shown]
	s_and_saveexec_b64 s[8:9], s[2:3]
	s_cbranch_execnz .LBB113_42
; %bb.31:                               ;   in Loop: Header=BB113_3 Depth=1
	s_or_b64 exec, exec, s[8:9]
	s_and_saveexec_b64 s[8:9], s[2:3]
	s_cbranch_execnz .LBB113_43
.LBB113_32:                             ;   in Loop: Header=BB113_3 Depth=1
	s_or_b64 exec, exec, s[8:9]
	s_and_saveexec_b64 s[8:9], s[2:3]
	s_cbranch_execnz .LBB113_44
.LBB113_33:                             ;   in Loop: Header=BB113_3 Depth=1
	s_or_b64 exec, exec, s[8:9]
	s_and_saveexec_b64 s[8:9], s[2:3]
	s_cbranch_execnz .LBB113_45
.LBB113_34:                             ;   in Loop: Header=BB113_3 Depth=1
	s_or_b64 exec, exec, s[8:9]
	s_and_saveexec_b64 s[8:9], s[2:3]
	s_cbranch_execnz .LBB113_46
.LBB113_35:                             ;   in Loop: Header=BB113_3 Depth=1
	s_or_b64 exec, exec, s[8:9]
	s_and_saveexec_b64 s[8:9], s[2:3]
	s_cbranch_execnz .LBB113_47
.LBB113_36:                             ;   in Loop: Header=BB113_3 Depth=1
	s_or_b64 exec, exec, s[8:9]
	s_and_saveexec_b64 s[8:9], s[2:3]
	s_cbranch_execnz .LBB113_48
.LBB113_37:                             ;   in Loop: Header=BB113_3 Depth=1
	s_or_b64 exec, exec, s[8:9]
	s_and_saveexec_b64 s[8:9], s[2:3]
	s_cbranch_execz .LBB113_39
.LBB113_38:                             ;   in Loop: Header=BB113_3 Depth=1
	v_add_co_u32_e32 v57, vcc, v26, v19
	v_addc_co_u32_e32 v58, vcc, v27, v20, vcc
	global_load_ushort v10, v[57:58], off
	v_add_co_u32_e32 v57, vcc, v28, v19
	v_addc_co_u32_e32 v58, vcc, v29, v20, vcc
	global_load_ushort v18, v[57:58], off
	s_waitcnt vmcnt(1)
	v_lshlrev_b32_e32 v10, 16, v10
	s_waitcnt vmcnt(0)
	v_lshlrev_b32_e32 v18, 16, v18
.LBB113_39:                             ;   in Loop: Header=BB113_3 Depth=1
	s_or_b64 exec, exec, s[8:9]
	s_waitcnt vmcnt(1)
	ds_bpermute_b32 v57, v55, v60
	s_waitcnt vmcnt(0)
	ds_bpermute_b32 v58, v55, v59
	ds_bpermute_b32 v61, v55, v60 offset:4
	ds_bpermute_b32 v62, v55, v59 offset:4
	v_add_f32_e32 v54, v54, v3
	s_waitcnt lgkmcnt(3)
	v_sub_f32_e32 v11, v11, v57
	v_mul_f32_e32 v3, v3, v11
	s_waitcnt lgkmcnt(2)
	v_fmac_f32_e32 v56, v3, v58
	s_waitcnt lgkmcnt(1)
	v_sub_f32_e32 v3, v12, v61
	ds_bpermute_b32 v11, v55, v60 offset:8
	v_mul_f32_e32 v3, v4, v3
	s_waitcnt lgkmcnt(1)
	v_fmac_f32_e32 v56, v3, v62
	ds_bpermute_b32 v3, v55, v59 offset:8
	ds_bpermute_b32 v12, v55, v60 offset:12
	s_waitcnt lgkmcnt(2)
	v_sub_f32_e32 v11, v13, v11
	v_mul_f32_e32 v11, v5, v11
	v_add_f32_e32 v4, v4, v54
	s_waitcnt lgkmcnt(1)
	v_fmac_f32_e32 v56, v11, v3
	ds_bpermute_b32 v3, v55, v59 offset:12
	v_add_f32_e32 v4, v5, v4
	s_waitcnt lgkmcnt(1)
	v_sub_f32_e32 v5, v14, v12
	ds_bpermute_b32 v11, v55, v60 offset:16
	v_mul_f32_e32 v5, v6, v5
	s_waitcnt lgkmcnt(1)
	v_fmac_f32_e32 v56, v5, v3
	ds_bpermute_b32 v3, v55, v59 offset:16
	v_add_f32_e32 v4, v6, v4
	s_waitcnt lgkmcnt(1)
	v_sub_f32_e32 v5, v15, v11
	ds_bpermute_b32 v6, v55, v60 offset:20
	v_mul_f32_e32 v5, v7, v5
	;; [unrolled: 8-line block ×3, first 2 shown]
	s_waitcnt lgkmcnt(1)
	v_fmac_f32_e32 v56, v5, v3
	ds_bpermute_b32 v5, v55, v59 offset:24
	v_add_f32_e32 v3, v8, v4
	ds_bpermute_b32 v59, v55, v59 offset:28
	ds_bpermute_b32 v4, v55, v60 offset:28
	s_waitcnt lgkmcnt(3)
	v_sub_f32_e32 v6, v17, v6
	v_mul_f32_e32 v6, v9, v6
	s_waitcnt lgkmcnt(2)
	v_fmac_f32_e32 v56, v6, v5
	v_add_f32_e32 v5, v9, v3
	v_mov_b32_e32 v3, v56
.LBB113_40:                             ;   in Loop: Header=BB113_3 Depth=1
	s_waitcnt lgkmcnt(0)
	v_sub_f32_e32 v4, v18, v4
	v_mul_f32_e32 v4, v10, v4
	v_fmac_f32_e32 v3, v4, v59
	v_mov_b32_e32 v4, s27
	v_add_co_u32_e32 v22, vcc, s26, v22
	v_addc_co_u32_e32 v23, vcc, v23, v4, vcc
	v_add_co_u32_e32 v24, vcc, s26, v24
	v_addc_co_u32_e32 v25, vcc, v25, v4, vcc
	v_add_co_u32_e32 v26, vcc, s26, v26
	v_addc_co_u32_e32 v27, vcc, v27, v4, vcc
	v_add_co_u32_e32 v28, vcc, s26, v28
	v_addc_co_u32_e32 v29, vcc, v29, v4, vcc
	v_add_co_u32_e32 v30, vcc, s26, v30
	v_addc_co_u32_e32 v31, vcc, v31, v4, vcc
	v_add_co_u32_e32 v32, vcc, s26, v32
	v_addc_co_u32_e32 v33, vcc, v33, v4, vcc
	v_add_co_u32_e32 v34, vcc, s26, v34
	v_addc_co_u32_e32 v35, vcc, v35, v4, vcc
	v_add_co_u32_e32 v36, vcc, s26, v36
	v_addc_co_u32_e32 v37, vcc, v37, v4, vcc
	v_add_co_u32_e32 v38, vcc, s26, v38
	v_addc_co_u32_e32 v39, vcc, v39, v4, vcc
	v_add_co_u32_e32 v40, vcc, s26, v40
	v_addc_co_u32_e32 v41, vcc, v41, v4, vcc
	v_add_co_u32_e32 v42, vcc, s26, v42
	v_addc_co_u32_e32 v43, vcc, v43, v4, vcc
	v_add_co_u32_e32 v44, vcc, s26, v44
	v_addc_co_u32_e32 v45, vcc, v45, v4, vcc
	v_add_co_u32_e32 v46, vcc, s26, v46
	v_addc_co_u32_e32 v47, vcc, v47, v4, vcc
	v_add_co_u32_e32 v48, vcc, s26, v48
	v_addc_co_u32_e32 v49, vcc, v49, v4, vcc
	v_add_co_u32_e32 v50, vcc, s26, v50
	v_addc_co_u32_e32 v51, vcc, v51, v4, vcc
	v_add_co_u32_e32 v52, vcc, s26, v52
	v_add_f32_e32 v54, v5, v10
	s_add_u32 s30, s30, s7
	v_addc_co_u32_e32 v53, vcc, v53, v4, vcc
	v_mov_b32_e32 v4, s12
	s_addc_u32 s31, s31, 0
	v_mov_b32_e32 v5, s13
	v_cmp_lt_i64_e32 vcc, s[30:31], v[4:5]
	s_add_u32 s28, s28, s7
	s_addc_u32 s29, s29, 0
	s_cbranch_vccz .LBB113_50
; %bb.41:                               ;   in Loop: Header=BB113_3 Depth=1
	v_mov_b32_e32 v56, v3
	s_branch .LBB113_3
.LBB113_42:                             ;   in Loop: Header=BB113_3 Depth=1
	v_add_co_u32_e32 v3, vcc, v22, v19
	v_addc_co_u32_e32 v4, vcc, v23, v20, vcc
	global_load_ushort v11, v[3:4], off
	v_add_co_u32_e32 v3, vcc, v24, v19
	v_addc_co_u32_e32 v4, vcc, v25, v20, vcc
	global_load_ushort v18, v[3:4], off
	v_mov_b32_e32 v4, v2
	v_mov_b32_e32 v5, v2
	;; [unrolled: 1-line block ×13, first 2 shown]
	s_waitcnt vmcnt(1)
	v_lshlrev_b32_e32 v3, 16, v11
	s_waitcnt vmcnt(0)
	v_lshlrev_b32_e32 v11, 16, v18
	v_mov_b32_e32 v18, v2
	s_or_b64 exec, exec, s[8:9]
	s_and_saveexec_b64 s[8:9], s[2:3]
	s_cbranch_execz .LBB113_32
.LBB113_43:                             ;   in Loop: Header=BB113_3 Depth=1
	v_add_co_u32_e32 v57, vcc, v50, v19
	v_addc_co_u32_e32 v58, vcc, v51, v20, vcc
	global_load_ushort v4, v[57:58], off
	v_add_co_u32_e32 v57, vcc, v52, v19
	v_addc_co_u32_e32 v58, vcc, v53, v20, vcc
	global_load_ushort v12, v[57:58], off
	s_waitcnt vmcnt(1)
	v_lshlrev_b32_e32 v4, 16, v4
	s_waitcnt vmcnt(0)
	v_lshlrev_b32_e32 v12, 16, v12
	s_or_b64 exec, exec, s[8:9]
	s_and_saveexec_b64 s[8:9], s[2:3]
	s_cbranch_execz .LBB113_33
.LBB113_44:                             ;   in Loop: Header=BB113_3 Depth=1
	v_add_co_u32_e32 v57, vcc, v46, v19
	v_addc_co_u32_e32 v58, vcc, v47, v20, vcc
	global_load_ushort v5, v[57:58], off
	v_add_co_u32_e32 v57, vcc, v48, v19
	v_addc_co_u32_e32 v58, vcc, v49, v20, vcc
	global_load_ushort v13, v[57:58], off
	s_waitcnt vmcnt(1)
	v_lshlrev_b32_e32 v5, 16, v5
	s_waitcnt vmcnt(0)
	v_lshlrev_b32_e32 v13, 16, v13
	s_or_b64 exec, exec, s[8:9]
	s_and_saveexec_b64 s[8:9], s[2:3]
	s_cbranch_execz .LBB113_34
.LBB113_45:                             ;   in Loop: Header=BB113_3 Depth=1
	v_add_co_u32_e32 v57, vcc, v42, v19
	v_addc_co_u32_e32 v58, vcc, v43, v20, vcc
	global_load_ushort v6, v[57:58], off
	v_add_co_u32_e32 v57, vcc, v44, v19
	v_addc_co_u32_e32 v58, vcc, v45, v20, vcc
	global_load_ushort v14, v[57:58], off
	s_waitcnt vmcnt(1)
	v_lshlrev_b32_e32 v6, 16, v6
	s_waitcnt vmcnt(0)
	v_lshlrev_b32_e32 v14, 16, v14
	s_or_b64 exec, exec, s[8:9]
	s_and_saveexec_b64 s[8:9], s[2:3]
	s_cbranch_execz .LBB113_35
.LBB113_46:                             ;   in Loop: Header=BB113_3 Depth=1
	v_add_co_u32_e32 v57, vcc, v38, v19
	v_addc_co_u32_e32 v58, vcc, v39, v20, vcc
	global_load_ushort v7, v[57:58], off
	v_add_co_u32_e32 v57, vcc, v40, v19
	v_addc_co_u32_e32 v58, vcc, v41, v20, vcc
	global_load_ushort v15, v[57:58], off
	s_waitcnt vmcnt(1)
	v_lshlrev_b32_e32 v7, 16, v7
	s_waitcnt vmcnt(0)
	v_lshlrev_b32_e32 v15, 16, v15
	s_or_b64 exec, exec, s[8:9]
	s_and_saveexec_b64 s[8:9], s[2:3]
	s_cbranch_execz .LBB113_36
.LBB113_47:                             ;   in Loop: Header=BB113_3 Depth=1
	v_add_co_u32_e32 v57, vcc, v34, v19
	v_addc_co_u32_e32 v58, vcc, v35, v20, vcc
	global_load_ushort v8, v[57:58], off
	v_add_co_u32_e32 v57, vcc, v36, v19
	v_addc_co_u32_e32 v58, vcc, v37, v20, vcc
	global_load_ushort v16, v[57:58], off
	s_waitcnt vmcnt(1)
	v_lshlrev_b32_e32 v8, 16, v8
	s_waitcnt vmcnt(0)
	v_lshlrev_b32_e32 v16, 16, v16
	s_or_b64 exec, exec, s[8:9]
	s_and_saveexec_b64 s[8:9], s[2:3]
	s_cbranch_execz .LBB113_37
.LBB113_48:                             ;   in Loop: Header=BB113_3 Depth=1
	v_add_co_u32_e32 v57, vcc, v30, v19
	v_addc_co_u32_e32 v58, vcc, v31, v20, vcc
	global_load_ushort v9, v[57:58], off
	v_add_co_u32_e32 v57, vcc, v32, v19
	v_addc_co_u32_e32 v58, vcc, v33, v20, vcc
	global_load_ushort v17, v[57:58], off
	s_waitcnt vmcnt(1)
	v_lshlrev_b32_e32 v9, 16, v9
	s_waitcnt vmcnt(0)
	v_lshlrev_b32_e32 v17, 16, v17
	s_or_b64 exec, exec, s[8:9]
	s_and_saveexec_b64 s[8:9], s[2:3]
	s_cbranch_execnz .LBB113_38
	s_branch .LBB113_39
.LBB113_49:
                                        ; implicit-def: $vgpr3
                                        ; implicit-def: $vgpr54
	s_branch .LBB113_51
.LBB113_50:
	s_cbranch_execnz .LBB113_83
.LBB113_51:
	v_mov_b32_e32 v3, 0
	s_and_b64 vcc, exec, s[0:1]
	v_mov_b32_e32 v54, 0
	s_cbranch_vccnz .LBB113_83
; %bb.52:
	v_lshlrev_b32_e32 v49, 3, v1
	v_add_co_u32_e32 v6, vcc, s10, v49
	v_addc_co_u32_e64 v7, s[0:1], 0, 0, vcc
	s_load_dword s7, s[4:5], 0x44
	v_mul_lo_u32 v2, s15, v6
	v_mul_lo_u32 v3, s14, v7
	v_mad_u64_u32 v[4:5], s[0:1], s14, v6, 0
	s_add_u32 s2, s4, 64
	s_addc_u32 s3, s5, 0
	v_add3_u32 v5, v5, v3, v2
	s_waitcnt lgkmcnt(0)
	s_lshl_b32 s7, s7, 7
	v_lshlrev_b64 v[2:3], 1, v[4:5]
	s_mul_i32 s0, s15, s7
	s_mul_hi_u32 s1, s14, s7
	v_mov_b32_e32 v8, s17
	v_add_co_u32_e32 v50, vcc, s16, v2
	s_add_i32 s1, s1, s0
	s_mul_i32 s0, s14, s7
	v_addc_co_u32_e32 v51, vcc, v8, v3, vcc
	s_lshl_b64 s[8:9], s[0:1], 1
	v_mov_b32_e32 v8, s19
	v_add_co_u32_e32 v52, vcc, s18, v2
	s_add_u32 s24, s10, 0x7f
	v_addc_co_u32_e32 v53, vcc, v8, v3, vcc
	s_addc_u32 s25, 0, 0
	v_lshlrev_b32_e32 v2, 4, v1
	s_lshl_b64 s[0:1], s[10:11], 1
	v_mov_b32_e32 v3, s1
	v_add_co_u32_e32 v8, vcc, s0, v2
	v_addc_co_u32_e32 v9, vcc, 0, v3, vcc
	v_add_co_u32_e32 v12, vcc, 2, v8
	v_addc_co_u32_e32 v10, vcc, 0, v9, vcc
	v_mov_b32_e32 v2, s16
	v_mul_lo_u32 v14, s14, v10
	v_mov_b32_e32 v10, s18
	v_mov_b32_e32 v3, s17
	;; [unrolled: 1-line block ×3, first 2 shown]
	v_mad_u64_u32 v[19:20], s[0:1], s14, v12, v[2:3]
	v_mul_lo_u32 v15, s15, v12
	v_mad_u64_u32 v[21:22], s[0:1], s14, v12, v[10:11]
	v_add_co_u32_e32 v12, vcc, 4, v8
	v_addc_co_u32_e32 v16, vcc, 0, v9, vcc
	v_mov_b32_e32 v13, s15
	v_add_co_u32_e32 v4, vcc, s14, v4
	v_addc_co_u32_e32 v5, vcc, v5, v13, vcc
	v_mul_lo_u32 v17, s15, v12
	v_mad_u64_u32 v[23:24], s[0:1], s14, v12, v[2:3]
	v_mad_u64_u32 v[25:26], s[0:1], s14, v12, v[10:11]
	v_add_co_u32_e32 v12, vcc, 6, v8
	v_addc_co_u32_e32 v13, vcc, 0, v9, vcc
	v_add3_u32 v20, v15, v20, v14
	v_add3_u32 v22, v15, v22, v14
	v_mul_lo_u32 v13, s14, v13
	v_mul_lo_u32 v14, s15, v12
	v_mad_u64_u32 v[27:28], s[0:1], s14, v12, v[2:3]
	v_mad_u64_u32 v[29:30], s[0:1], s14, v12, v[10:11]
	v_add_co_u32_e32 v12, vcc, 8, v8
	v_mul_lo_u32 v16, s14, v16
	v_addc_co_u32_e32 v15, vcc, 0, v9, vcc
	v_mul_lo_u32 v18, s15, v12
	v_mad_u64_u32 v[31:32], s[0:1], s14, v12, v[2:3]
	v_mad_u64_u32 v[33:34], s[0:1], s14, v12, v[10:11]
	v_add_co_u32_e32 v12, vcc, 10, v8
	v_add3_u32 v28, v14, v28, v13
	v_add3_u32 v30, v14, v30, v13
	v_addc_co_u32_e32 v13, vcc, 0, v9, vcc
	v_mul_lo_u32 v14, s15, v12
	v_mad_u64_u32 v[35:36], s[0:1], s14, v12, v[2:3]
	v_mad_u64_u32 v[37:38], s[0:1], s14, v12, v[10:11]
	v_add_co_u32_e32 v12, vcc, 12, v8
	v_add3_u32 v24, v17, v24, v16
	v_add3_u32 v26, v17, v26, v16
	v_addc_co_u32_e32 v16, vcc, 0, v9, vcc
	v_add_co_u32_e32 v8, vcc, 14, v8
	v_addc_co_u32_e32 v9, vcc, 0, v9, vcc
	v_mad_u64_u32 v[39:40], s[0:1], s14, v12, v[2:3]
	v_mad_u64_u32 v[43:44], s[0:1], s14, v8, v[2:3]
	v_add_co_u32_e32 v2, vcc, 7, v6
	v_addc_co_u32_e32 v3, vcc, 0, v7, vcc
	v_mad_u64_u32 v[41:42], s[0:1], s14, v12, v[10:11]
	v_mad_u64_u32 v[45:46], s[0:1], s14, v8, v[10:11]
	v_mul_lo_u32 v10, s14, v3
	v_mul_lo_u32 v11, s15, v2
	v_mad_u64_u32 v[2:3], s[0:1], s14, v2, 0
	v_mul_lo_u32 v9, s14, v9
	v_mul_lo_u32 v8, s15, v8
	v_add3_u32 v3, v3, v10, v11
	v_lshlrev_b64 v[2:3], 1, v[2:3]
	v_mul_lo_u32 v17, s15, v12
	v_add3_u32 v44, v8, v44, v9
	v_add3_u32 v46, v8, v46, v9
	v_mov_b32_e32 v8, s17
	v_add_co_u32_e32 v55, vcc, s16, v2
	v_addc_co_u32_e32 v56, vcc, v8, v3, vcc
	v_add_co_u32_e32 v8, vcc, 6, v6
	v_addc_co_u32_e32 v9, vcc, 0, v7, vcc
	v_mul_lo_u32 v11, s14, v9
	v_mul_lo_u32 v12, s15, v8
	v_mad_u64_u32 v[8:9], s[0:1], s14, v8, 0
	v_mov_b32_e32 v10, s19
	v_add_co_u32_e32 v57, vcc, s18, v2
	v_add3_u32 v9, v9, v11, v12
	v_addc_co_u32_e32 v58, vcc, v10, v3, vcc
	v_lshlrev_b64 v[2:3], 1, v[8:9]
	v_mov_b32_e32 v8, s17
	v_add_co_u32_e32 v59, vcc, s16, v2
	v_addc_co_u32_e32 v60, vcc, v8, v3, vcc
	v_add_co_u32_e32 v8, vcc, 5, v6
	v_addc_co_u32_e32 v9, vcc, 0, v7, vcc
	v_mul_lo_u32 v11, s14, v9
	v_mul_lo_u32 v12, s15, v8
	v_mad_u64_u32 v[8:9], s[0:1], s14, v8, 0
	v_add_co_u32_e32 v61, vcc, s18, v2
	v_add3_u32 v9, v9, v11, v12
	v_addc_co_u32_e32 v62, vcc, v10, v3, vcc
	v_lshlrev_b64 v[2:3], 1, v[8:9]
	v_mov_b32_e32 v8, s17
	v_add_co_u32_e32 v63, vcc, s16, v2
	v_addc_co_u32_e32 v64, vcc, v8, v3, vcc
	v_add_co_u32_e32 v8, vcc, 4, v6
	v_addc_co_u32_e32 v9, vcc, 0, v7, vcc
	v_mul_lo_u32 v11, s14, v9
	v_mul_lo_u32 v12, s15, v8
	v_mad_u64_u32 v[8:9], s[0:1], s14, v8, 0
	;; [unrolled: 12-line block ×4, first 2 shown]
	v_mov_b32_e32 v8, s19
	v_add_co_u32_e32 v73, vcc, s18, v2
	v_add3_u32 v7, v7, v9, v10
	v_addc_co_u32_e32 v74, vcc, v8, v3, vcc
	v_lshlrev_b64 v[2:3], 1, v[6:7]
	v_mov_b32_e32 v6, s17
	v_add_co_u32_e32 v75, vcc, s16, v2
	v_addc_co_u32_e32 v76, vcc, v6, v3, vcc
	v_mov_b32_e32 v6, s19
	v_add_co_u32_e32 v77, vcc, s18, v2
	v_addc_co_u32_e32 v78, vcc, v6, v3, vcc
	v_lshlrev_b64 v[2:3], 1, v[4:5]
	v_mov_b32_e32 v4, s17
	v_add_co_u32_e32 v79, vcc, s16, v2
	v_addc_co_u32_e32 v80, vcc, v4, v3, vcc
	v_mov_b32_e32 v4, s19
	v_add_co_u32_e32 v81, vcc, s18, v2
	v_mov_b32_e32 v2, 0
	v_mul_lo_u32 v15, s14, v15
	v_mul_lo_u32 v13, s14, v13
	;; [unrolled: 1-line block ×3, first 2 shown]
	v_addc_co_u32_e32 v82, vcc, v4, v3, vcc
	v_add_u32_e32 v3, s33, v0
	v_mov_b32_e32 v4, v2
	v_lshlrev_b64 v[47:48], 1, v[3:4]
	v_mbcnt_lo_u32_b32 v3, -1, 0
	v_mbcnt_hi_u32_b32 v3, -1, v3
	v_lshlrev_b32_e32 v3, 2, v3
	v_add3_u32 v32, v18, v32, v15
	v_add3_u32 v34, v18, v34, v15
	;; [unrolled: 1-line block ×6, first 2 shown]
	v_and_b32_e32 v83, 0x100, v3
	v_mov_b32_e32 v85, 0
	v_mov_b32_e32 v84, 0
.LBB113_53:                             ; =>This Inner Loop Header: Depth=1
	v_mov_b32_e32 v3, s12
	v_mov_b32_e32 v4, s13
	v_cmp_ge_i64_e32 vcc, s[24:25], v[3:4]
	v_mov_b32_e32 v3, s25
	v_add_co_u32_e64 v86, s[0:1], s24, v49
	v_addc_co_u32_e64 v87, s[0:1], 0, v3, s[0:1]
	s_mov_b64 s[0:1], -1
                                        ; implicit-def: $vgpr54
                                        ; implicit-def: $vgpr3
	s_cbranch_vccz .LBB113_75
; %bb.54:                               ;   in Loop: Header=BB113_53 Depth=1
	s_load_dword s0, s[2:3], 0xc
	v_mov_b32_e32 v54, 0
	v_mov_b32_e32 v88, 0
	s_waitcnt lgkmcnt(0)
	s_and_b32 s0, s0, 0xffff
	v_mad_u32_u24 v3, v1, s0, v0
	v_and_b32_e32 v3, 63, v3
	v_cmp_gt_u32_e32 vcc, 8, v3
	s_and_saveexec_b64 s[0:1], vcc
	s_cbranch_execz .LBB113_58
; %bb.55:                               ;   in Loop: Header=BB113_53 Depth=1
	v_add_co_u32_e32 v3, vcc, v86, v3
	v_addc_co_u32_e32 v4, vcc, 0, v87, vcc
	v_add_co_u32_e32 v3, vcc, 0xffffff81, v3
	v_addc_co_u32_e32 v4, vcc, -1, v4, vcc
	v_cmp_gt_i64_e32 vcc, s[12:13], v[3:4]
	v_mov_b32_e32 v88, 0
	v_mov_b32_e32 v54, 0
	s_and_saveexec_b64 s[16:17], vcc
	s_cbranch_execz .LBB113_57
; %bb.56:                               ;   in Loop: Header=BB113_53 Depth=1
	v_lshlrev_b64 v[3:4], 2, v[3:4]
	v_mov_b32_e32 v6, s23
	v_add_co_u32_e32 v5, vcc, s22, v3
	v_addc_co_u32_e32 v6, vcc, v6, v4, vcc
	v_mov_b32_e32 v7, s21
	v_add_co_u32_e32 v3, vcc, s20, v3
	v_addc_co_u32_e32 v4, vcc, v7, v4, vcc
	global_load_dword v88, v[3:4], off
	global_load_dword v54, v[5:6], off
.LBB113_57:                             ;   in Loop: Header=BB113_53 Depth=1
	s_or_b64 exec, exec, s[16:17]
.LBB113_58:                             ;   in Loop: Header=BB113_53 Depth=1
	s_or_b64 exec, exec, s[0:1]
	v_add_co_u32_e32 v3, vcc, 0xffffff81, v86
	v_addc_co_u32_e32 v4, vcc, -1, v87, vcc
	v_mov_b32_e32 v9, v2
	v_cmp_gt_i64_e32 vcc, s[12:13], v[3:4]
	v_mov_b32_e32 v3, v2
	v_mov_b32_e32 v4, v2
	v_mov_b32_e32 v5, v2
	v_mov_b32_e32 v6, v2
	v_mov_b32_e32 v7, v2
	v_mov_b32_e32 v8, v2
	v_mov_b32_e32 v18, v9
	v_mov_b32_e32 v17, v8
	v_mov_b32_e32 v16, v7
	v_mov_b32_e32 v15, v6
	v_mov_b32_e32 v14, v5
	v_mov_b32_e32 v13, v4
	v_mov_b32_e32 v12, v3
	v_mov_b32_e32 v11, v2
	v_mov_b32_e32 v10, v9
	v_mov_b32_e32 v9, v8
	v_mov_b32_e32 v8, v7
	v_mov_b32_e32 v7, v6
	v_mov_b32_e32 v6, v5
	v_mov_b32_e32 v5, v4
	v_mov_b32_e32 v4, v3
	v_mov_b32_e32 v3, v2
	s_and_saveexec_b64 s[0:1], vcc
	s_cbranch_execz .LBB113_60
; %bb.59:                               ;   in Loop: Header=BB113_53 Depth=1
	v_add_co_u32_e32 v3, vcc, v50, v47
	v_addc_co_u32_e32 v4, vcc, v51, v48, vcc
	global_load_ushort v11, v[3:4], off
	v_add_co_u32_e32 v3, vcc, v52, v47
	v_addc_co_u32_e32 v4, vcc, v53, v48, vcc
	global_load_ushort v18, v[3:4], off
	v_mov_b32_e32 v4, v2
	v_mov_b32_e32 v5, v2
	;; [unrolled: 1-line block ×13, first 2 shown]
	s_waitcnt vmcnt(1)
	v_lshlrev_b32_e32 v3, 16, v11
	s_waitcnt vmcnt(0)
	v_lshlrev_b32_e32 v11, 16, v18
	v_mov_b32_e32 v18, v2
.LBB113_60:                             ;   in Loop: Header=BB113_53 Depth=1
	s_or_b64 exec, exec, s[0:1]
	v_add_co_u32_e32 v89, vcc, 0xffffff82, v86
	v_addc_co_u32_e32 v90, vcc, -1, v87, vcc
	v_cmp_gt_i64_e32 vcc, s[12:13], v[89:90]
	s_and_saveexec_b64 s[0:1], vcc
	s_cbranch_execz .LBB113_62
; %bb.61:                               ;   in Loop: Header=BB113_53 Depth=1
	v_add_co_u32_e32 v89, vcc, v79, v47
	v_addc_co_u32_e32 v90, vcc, v80, v48, vcc
	global_load_ushort v4, v[89:90], off
	v_add_co_u32_e32 v89, vcc, v81, v47
	v_addc_co_u32_e32 v90, vcc, v82, v48, vcc
	global_load_ushort v12, v[89:90], off
	s_waitcnt vmcnt(1)
	v_lshlrev_b32_e32 v4, 16, v4
	s_waitcnt vmcnt(0)
	v_lshlrev_b32_e32 v12, 16, v12
.LBB113_62:                             ;   in Loop: Header=BB113_53 Depth=1
	s_or_b64 exec, exec, s[0:1]
	v_add_co_u32_e32 v89, vcc, 0xffffff83, v86
	v_addc_co_u32_e32 v90, vcc, -1, v87, vcc
	v_cmp_gt_i64_e32 vcc, s[12:13], v[89:90]
	s_and_saveexec_b64 s[0:1], vcc
	s_cbranch_execz .LBB113_64
; %bb.63:                               ;   in Loop: Header=BB113_53 Depth=1
	v_add_co_u32_e32 v89, vcc, v75, v47
	v_addc_co_u32_e32 v90, vcc, v76, v48, vcc
	global_load_ushort v5, v[89:90], off
	v_add_co_u32_e32 v89, vcc, v77, v47
	v_addc_co_u32_e32 v90, vcc, v78, v48, vcc
	global_load_ushort v13, v[89:90], off
	s_waitcnt vmcnt(1)
	v_lshlrev_b32_e32 v5, 16, v5
	s_waitcnt vmcnt(0)
	v_lshlrev_b32_e32 v13, 16, v13
.LBB113_64:                             ;   in Loop: Header=BB113_53 Depth=1
	;; [unrolled: 18-line block ×7, first 2 shown]
	s_or_b64 exec, exec, s[0:1]
	s_waitcnt vmcnt(1)
	ds_bpermute_b32 v89, v83, v88
	ds_bpermute_b32 v92, v83, v88 offset:4
	s_waitcnt vmcnt(0)
	ds_bpermute_b32 v90, v83, v54
	ds_bpermute_b32 v93, v83, v54 offset:4
	v_add_f32_e32 v91, v85, v3
	s_waitcnt lgkmcnt(3)
	v_sub_f32_e32 v11, v11, v89
	v_mul_f32_e32 v3, v3, v11
	s_waitcnt lgkmcnt(2)
	v_sub_f32_e32 v11, v12, v92
	ds_bpermute_b32 v12, v83, v88 offset:8
	s_waitcnt lgkmcnt(2)
	v_fma_f32 v3, v3, v90, v84
	v_mul_f32_e32 v11, v4, v11
	s_waitcnt lgkmcnt(1)
	v_fmac_f32_e32 v3, v11, v93
	ds_bpermute_b32 v11, v83, v54 offset:8
	s_waitcnt lgkmcnt(1)
	v_sub_f32_e32 v12, v13, v12
	ds_bpermute_b32 v13, v83, v88 offset:12
	v_mul_f32_e32 v12, v5, v12
	v_add_f32_e32 v4, v4, v91
	s_waitcnt lgkmcnt(1)
	v_fmac_f32_e32 v3, v12, v11
	ds_bpermute_b32 v11, v83, v54 offset:12
	v_add_f32_e32 v4, v5, v4
	s_waitcnt lgkmcnt(1)
	v_sub_f32_e32 v5, v14, v13
	ds_bpermute_b32 v12, v83, v88 offset:16
	v_mul_f32_e32 v5, v6, v5
	s_waitcnt lgkmcnt(1)
	v_fmac_f32_e32 v3, v5, v11
	ds_bpermute_b32 v5, v83, v54 offset:16
	v_add_f32_e32 v4, v6, v4
	s_waitcnt lgkmcnt(1)
	v_sub_f32_e32 v6, v15, v12
	ds_bpermute_b32 v11, v83, v88 offset:20
	v_mul_f32_e32 v6, v7, v6
	s_waitcnt lgkmcnt(1)
	v_fmac_f32_e32 v3, v6, v5
	ds_bpermute_b32 v5, v83, v54 offset:20
	v_add_f32_e32 v4, v7, v4
	ds_bpermute_b32 v7, v83, v88 offset:24
	s_waitcnt lgkmcnt(2)
	v_sub_f32_e32 v6, v16, v11
	v_mul_f32_e32 v6, v8, v6
	s_waitcnt lgkmcnt(1)
	v_fmac_f32_e32 v3, v6, v5
	ds_bpermute_b32 v5, v83, v54 offset:24
	s_waitcnt lgkmcnt(1)
	v_sub_f32_e32 v6, v17, v7
	ds_bpermute_b32 v7, v83, v88 offset:28
	v_add_f32_e32 v4, v8, v4
	ds_bpermute_b32 v8, v83, v54 offset:28
	v_mul_f32_e32 v6, v9, v6
	s_waitcnt lgkmcnt(2)
	v_fmac_f32_e32 v3, v6, v5
	s_waitcnt lgkmcnt(1)
	v_sub_f32_e32 v5, v18, v7
	v_add_f32_e32 v4, v9, v4
	v_mul_f32_e32 v5, v10, v5
	s_waitcnt lgkmcnt(0)
	v_fmac_f32_e32 v3, v5, v8
	v_add_f32_e32 v54, v10, v4
	s_mov_b64 s[0:1], 0
.LBB113_75:                             ;   in Loop: Header=BB113_53 Depth=1
	s_and_b64 vcc, exec, s[0:1]
	s_cbranch_vccz .LBB113_81
; %bb.76:                               ;   in Loop: Header=BB113_53 Depth=1
	s_load_dword s0, s[2:3], 0x0
	v_mov_b32_e32 v5, 0
	v_mov_b32_e32 v6, 0
	s_waitcnt lgkmcnt(0)
	s_cmp_lt_u32 s6, s0
	s_cselect_b32 s0, 12, 18
	s_add_u32 s0, s2, s0
	s_addc_u32 s1, s3, 0
	global_load_ushort v3, v2, s[0:1]
	s_waitcnt vmcnt(0)
	v_mad_u32_u24 v3, v1, v3, v0
	v_and_b32_e32 v3, 63, v3
	v_cmp_gt_u32_e32 vcc, 8, v3
	s_and_saveexec_b64 s[0:1], vcc
	s_cbranch_execz .LBB113_80
; %bb.77:                               ;   in Loop: Header=BB113_53 Depth=1
	v_add_co_u32_e32 v3, vcc, v86, v3
	v_addc_co_u32_e32 v4, vcc, 0, v87, vcc
	v_add_co_u32_e32 v3, vcc, 0xffffff81, v3
	v_addc_co_u32_e32 v4, vcc, -1, v4, vcc
	v_cmp_gt_i64_e32 vcc, s[12:13], v[3:4]
	v_mov_b32_e32 v6, 0
	v_mov_b32_e32 v5, 0
	s_and_saveexec_b64 s[16:17], vcc
	s_cbranch_execz .LBB113_79
; %bb.78:                               ;   in Loop: Header=BB113_53 Depth=1
	v_lshlrev_b64 v[3:4], 2, v[3:4]
	v_mov_b32_e32 v5, s23
	v_add_co_u32_e32 v7, vcc, s22, v3
	v_addc_co_u32_e32 v8, vcc, v5, v4, vcc
	v_mov_b32_e32 v5, s21
	v_add_co_u32_e32 v3, vcc, s20, v3
	v_addc_co_u32_e32 v4, vcc, v5, v4, vcc
	global_load_dword v6, v[3:4], off
	global_load_dword v5, v[7:8], off
.LBB113_79:                             ;   in Loop: Header=BB113_53 Depth=1
	s_or_b64 exec, exec, s[16:17]
.LBB113_80:                             ;   in Loop: Header=BB113_53 Depth=1
	s_or_b64 exec, exec, s[0:1]
	v_add_co_u32_e32 v3, vcc, v50, v47
	v_addc_co_u32_e32 v4, vcc, v51, v48, vcc
	global_load_ushort v7, v[3:4], off
	v_add_co_u32_e32 v3, vcc, v52, v47
	v_addc_co_u32_e32 v4, vcc, v53, v48, vcc
	global_load_ushort v8, v[3:4], off
	;; [unrolled: 3-line block ×16, first 2 shown]
	s_waitcnt vmcnt(16)
	ds_bpermute_b32 v88, v83, v5
	s_waitcnt vmcnt(15)
	v_lshlrev_b32_e32 v4, 16, v7
	s_waitcnt vmcnt(14)
	v_lshlrev_b32_e32 v7, 16, v8
	s_waitcnt vmcnt(13)
	v_lshlrev_b32_e32 v8, 16, v9
	s_waitcnt vmcnt(12)
	v_lshlrev_b32_e32 v9, 16, v10
	s_waitcnt vmcnt(11)
	v_lshlrev_b32_e32 v10, 16, v11
	s_waitcnt vmcnt(10)
	v_lshlrev_b32_e32 v11, 16, v12
	s_waitcnt vmcnt(9)
	v_lshlrev_b32_e32 v12, 16, v13
	s_waitcnt vmcnt(8)
	v_lshlrev_b32_e32 v13, 16, v14
	s_waitcnt vmcnt(7)
	v_lshlrev_b32_e32 v14, 16, v15
	s_waitcnt vmcnt(6)
	v_lshlrev_b32_e32 v15, 16, v16
	s_waitcnt vmcnt(5)
	v_lshlrev_b32_e32 v16, 16, v17
	s_waitcnt vmcnt(4)
	v_lshlrev_b32_e32 v17, 16, v18
	s_waitcnt vmcnt(3)
	v_lshlrev_b32_e32 v18, 16, v54
	ds_bpermute_b32 v54, v83, v6
	s_waitcnt vmcnt(2)
	v_lshlrev_b32_e32 v86, 16, v86
	s_waitcnt lgkmcnt(0)
	v_sub_f32_e32 v7, v7, v54
	ds_bpermute_b32 v54, v83, v6 offset:4
	v_mul_f32_e32 v7, v7, v4
	v_fmac_f32_e32 v84, v7, v88
	ds_bpermute_b32 v7, v83, v5 offset:4
	v_add_f32_e32 v4, v85, v4
	s_waitcnt lgkmcnt(1)
	v_sub_f32_e32 v9, v9, v54
	ds_bpermute_b32 v54, v83, v6 offset:8
	v_mul_f32_e32 v9, v9, v8
	s_waitcnt lgkmcnt(1)
	v_fmac_f32_e32 v84, v9, v7
	ds_bpermute_b32 v7, v83, v5 offset:8
	v_add_f32_e32 v4, v4, v8
	s_waitcnt lgkmcnt(1)
	v_sub_f32_e32 v8, v11, v54
	ds_bpermute_b32 v9, v83, v6 offset:12
	v_mul_f32_e32 v8, v8, v10
	s_waitcnt lgkmcnt(1)
	;; [unrolled: 8-line block ×3, first 2 shown]
	v_fmac_f32_e32 v84, v8, v7
	ds_bpermute_b32 v7, v83, v5 offset:16
	s_waitcnt vmcnt(0)
	v_lshlrev_b32_e32 v3, 16, v3
	s_waitcnt lgkmcnt(1)
	v_sub_f32_e32 v8, v15, v9
	ds_bpermute_b32 v9, v83, v6 offset:20
	v_mul_f32_e32 v8, v8, v14
	s_waitcnt lgkmcnt(1)
	v_fmac_f32_e32 v84, v8, v7
	ds_bpermute_b32 v7, v83, v5 offset:20
	v_add_f32_e32 v4, v4, v12
	s_waitcnt lgkmcnt(1)
	v_sub_f32_e32 v8, v17, v9
	ds_bpermute_b32 v9, v83, v6 offset:24
	v_mul_f32_e32 v8, v8, v16
	ds_bpermute_b32 v6, v83, v6 offset:28
	s_waitcnt lgkmcnt(2)
	v_fmac_f32_e32 v84, v8, v7
	ds_bpermute_b32 v7, v83, v5 offset:24
	ds_bpermute_b32 v5, v83, v5 offset:28
	s_waitcnt lgkmcnt(3)
	v_sub_f32_e32 v8, v86, v9
	v_lshlrev_b32_e32 v87, 16, v87
	v_add_f32_e32 v4, v4, v14
	v_mul_f32_e32 v8, v8, v18
	s_waitcnt lgkmcnt(2)
	v_sub_f32_e32 v3, v3, v6
	v_add_f32_e32 v4, v4, v16
	s_waitcnt lgkmcnt(1)
	v_fmac_f32_e32 v84, v8, v7
	v_mul_f32_e32 v3, v3, v87
	v_add_f32_e32 v4, v4, v18
	s_waitcnt lgkmcnt(0)
	v_fmac_f32_e32 v84, v3, v5
	v_add_f32_e32 v54, v4, v87
	v_mov_b32_e32 v3, v84
.LBB113_81:                             ;   in Loop: Header=BB113_53 Depth=1
	v_mov_b32_e32 v6, s9
	v_add_co_u32_e32 v50, vcc, s8, v50
	v_addc_co_u32_e32 v51, vcc, v51, v6, vcc
	v_add_co_u32_e32 v52, vcc, s8, v52
	v_addc_co_u32_e32 v53, vcc, v53, v6, vcc
	;; [unrolled: 2-line block ×28, first 2 shown]
	s_add_u32 s10, s10, s7
	v_add_co_u32_e32 v79, vcc, s8, v79
	v_mov_b32_e32 v4, s12
	s_addc_u32 s11, s11, 0
	v_addc_co_u32_e32 v80, vcc, v80, v6, vcc
	v_mov_b32_e32 v5, s13
	v_cmp_ge_i64_e32 vcc, s[10:11], v[4:5]
	s_add_u32 s24, s24, s7
	v_add_co_u32_e64 v81, s[0:1], s8, v81
	s_addc_u32 s25, s25, 0
	v_addc_co_u32_e64 v82, s[0:1], v82, v6, s[0:1]
	s_cbranch_vccnz .LBB113_83
; %bb.82:                               ;   in Loop: Header=BB113_53 Depth=1
	v_mov_b32_e32 v85, v54
	v_mov_b32_e32 v84, v3
	s_branch .LBB113_53
.LBB113_83:
	v_mad_u32_u24 v2, v1, 33, v0
	v_lshl_add_u32 v4, v2, 2, 0
	ds_write_b32 v4, v3
	ds_write_b32 v4, v54 offset:2112
	v_sub_u32_e32 v3, v2, v1
	s_movk_i32 s0, 0x800
	v_cmp_gt_u32_e32 vcc, s0, v3
	s_waitcnt lgkmcnt(0)
	s_barrier
	s_and_saveexec_b64 s[0:1], vcc
	s_cbranch_execz .LBB113_115
; %bb.84:
	s_load_dwordx4 s[8:11], s[4:5], 0x30
	v_and_b32_e32 v1, 63, v3
	v_lshrrev_b32_e32 v2, 6, v3
	v_cmp_gt_u32_e64 s[0:1], 16, v1
	v_mul_u32_u24_e32 v4, 33, v1
                                        ; implicit-def: $vgpr1
                                        ; implicit-def: $vgpr6
	s_and_saveexec_b64 s[2:3], s[0:1]
	s_cbranch_execz .LBB113_86
; %bb.85:
	v_add_u32_e32 v1, v2, v4
	v_lshl_add_u32 v1, v1, 2, 0
	ds_read_b32 v6, v1
	ds_read_b32 v1, v1 offset:2112
.LBB113_86:
	s_or_b64 exec, exec, s[2:3]
	v_mbcnt_lo_u32_b32 v5, -1, 0
	v_mbcnt_hi_u32_b32 v8, -1, v5
	v_and_b32_e32 v5, 64, v8
	v_add_u32_e32 v9, 64, v5
	v_xor_b32_e32 v5, 8, v8
	v_cmp_lt_i32_e32 vcc, v5, v9
	v_cndmask_b32_e32 v5, v8, v5, vcc
	v_lshlrev_b32_e32 v5, 2, v5
	s_waitcnt lgkmcnt(0)
	ds_bpermute_b32 v7, v5, v6
	v_xor_b32_e32 v10, 4, v8
	v_cmp_lt_i32_e32 vcc, v10, v9
	ds_bpermute_b32 v11, v5, v1
	v_cmp_eq_u32_e64 s[2:3], 0, v0
	s_waitcnt lgkmcnt(1)
	v_add_f32_e32 v7, v6, v7
	v_cndmask_b32_e32 v6, v8, v10, vcc
	v_lshlrev_b32_e32 v6, 2, v6
	ds_bpermute_b32 v10, v6, v7
	s_waitcnt lgkmcnt(1)
	v_add_f32_e32 v1, v1, v11
	ds_bpermute_b32 v11, v6, v1
	s_mov_b32 s7, 0
	s_lshl_b64 s[4:5], s[6:7], 5
	s_waitcnt lgkmcnt(1)
	v_add_f32_e32 v10, v7, v10
	v_xor_b32_e32 v7, 2, v8
	v_cmp_lt_i32_e32 vcc, v7, v9
	v_cndmask_b32_e32 v7, v8, v7, vcc
	v_lshlrev_b32_e32 v7, 2, v7
	ds_bpermute_b32 v12, v7, v10
	s_waitcnt lgkmcnt(1)
	v_add_f32_e32 v0, v1, v11
	v_xor_b32_e32 v11, 1, v8
	v_cmp_lt_i32_e32 vcc, v11, v9
	v_cndmask_b32_e32 v8, v8, v11, vcc
	s_waitcnt lgkmcnt(0)
	v_add_f32_e32 v1, v10, v12
	ds_bpermute_b32 v10, v7, v0
	v_lshlrev_b32_e32 v8, 2, v8
	ds_bpermute_b32 v9, v8, v1
	s_cmp_lg_u64 s[8:9], 0
	s_cselect_b64 s[12:13], -1, 0
	s_waitcnt lgkmcnt(1)
	v_add_f32_e32 v10, v0, v10
	ds_bpermute_b32 v11, v8, v10
	s_waitcnt lgkmcnt(1)
	v_add_f32_e32 v9, v1, v9
	v_or_b32_e32 v0, s4, v2
	v_mov_b32_e32 v1, s5
	v_cmp_gt_i64_e32 vcc, s[14:15], v[0:1]
	s_cmp_lg_u64 s[10:11], 0
	s_cselect_b64 s[6:7], -1, 0
	s_waitcnt lgkmcnt(0)
	v_add_f32_e32 v10, v10, v11
	s_and_b64 s[18:19], s[2:3], vcc
	s_and_saveexec_b64 s[16:17], s[18:19]
	s_cbranch_execz .LBB113_91
; %bb.87:
	v_lshlrev_b64 v[0:1], 1, v[0:1]
	s_andn2_b64 vcc, exec, s[12:13]
	s_cbranch_vccnz .LBB113_89
; %bb.88:
	v_bfe_u32 v11, v9, 16, 1
	s_movk_i32 s18, 0x7fff
	v_add3_u32 v11, v9, v11, s18
	v_cmp_o_f32_e32 vcc, v9, v9
	v_mov_b32_e32 v12, 0x7fc0
	v_cndmask_b32_sdwa v13, v12, v11, vcc dst_sel:DWORD dst_unused:UNUSED_PAD src0_sel:DWORD src1_sel:WORD_1
	v_mov_b32_e32 v12, s9
	v_add_co_u32_e32 v11, vcc, s8, v0
	v_addc_co_u32_e32 v12, vcc, v12, v1, vcc
	global_store_short v[11:12], v13, off
.LBB113_89:
	s_andn2_b64 vcc, exec, s[6:7]
	s_cbranch_vccnz .LBB113_91
; %bb.90:
	v_bfe_u32 v11, v10, 16, 1
	s_movk_i32 s18, 0x7fff
	v_add3_u32 v11, v10, v11, s18
	v_cmp_o_f32_e32 vcc, v10, v10
	v_mov_b32_e32 v12, 0x7fc0
	v_cndmask_b32_sdwa v11, v12, v11, vcc dst_sel:DWORD dst_unused:UNUSED_PAD src0_sel:DWORD src1_sel:WORD_1
	v_mov_b32_e32 v12, s11
	v_add_co_u32_e32 v0, vcc, s10, v0
	v_addc_co_u32_e32 v1, vcc, v12, v1, vcc
	global_store_short v[0:1], v11, off
.LBB113_91:
	s_or_b64 exec, exec, s[16:17]
	s_movk_i32 s16, 0x600
	v_cmp_gt_u32_e32 vcc, s16, v3
	s_and_b64 exec, exec, vcc
	s_cbranch_execz .LBB113_115
; %bb.92:
	s_and_saveexec_b64 s[16:17], s[0:1]
	s_cbranch_execz .LBB113_94
; %bb.93:
	v_add_u32_e32 v0, v2, v4
	v_lshl_add_u32 v0, v0, 2, 0
	ds_read_b32 v9, v0 offset:32
	ds_read_b32 v10, v0 offset:2144
.LBB113_94:
	s_or_b64 exec, exec, s[16:17]
	s_waitcnt lgkmcnt(1)
	ds_bpermute_b32 v0, v5, v9
	s_waitcnt lgkmcnt(1)
	ds_bpermute_b32 v1, v5, v10
	v_add_u32_e32 v11, 8, v2
	v_mov_b32_e32 v12, s5
	s_waitcnt lgkmcnt(1)
	v_add_f32_e32 v0, v9, v0
	s_waitcnt lgkmcnt(0)
	v_add_f32_e32 v1, v10, v1
	ds_bpermute_b32 v9, v6, v0
	ds_bpermute_b32 v10, v6, v1
	s_waitcnt lgkmcnt(1)
	v_add_f32_e32 v0, v0, v9
	s_waitcnt lgkmcnt(0)
	v_add_f32_e32 v1, v1, v10
	ds_bpermute_b32 v9, v7, v0
	ds_bpermute_b32 v10, v7, v1
	;; [unrolled: 6-line block ×3, first 2 shown]
	v_add_co_u32_e32 v0, vcc, s4, v11
	v_addc_co_u32_e32 v1, vcc, 0, v12, vcc
	v_cmp_gt_i64_e32 vcc, s[14:15], v[0:1]
	s_waitcnt lgkmcnt(1)
	v_add_f32_e32 v0, v9, v13
	s_waitcnt lgkmcnt(0)
	v_add_f32_e32 v1, v10, v14
	s_and_b64 s[18:19], s[2:3], vcc
	s_and_saveexec_b64 s[16:17], s[18:19]
	s_cbranch_execz .LBB113_99
; %bb.95:
	s_andn2_b64 vcc, exec, s[12:13]
	s_cbranch_vccnz .LBB113_97
; %bb.96:
	v_bfe_u32 v9, v0, 16, 1
	s_movk_i32 s18, 0x7fff
	v_add3_u32 v9, v0, v9, s18
	v_cmp_o_f32_e32 vcc, v0, v0
	v_mov_b32_e32 v10, 0x7fc0
	v_cndmask_b32_sdwa v11, v10, v9, vcc dst_sel:DWORD dst_unused:UNUSED_PAD src0_sel:DWORD src1_sel:WORD_1
	v_mov_b32_e32 v10, s5
	v_add_co_u32_e32 v9, vcc, s4, v2
	v_addc_co_u32_e32 v10, vcc, 0, v10, vcc
	v_lshlrev_b64 v[9:10], 1, v[9:10]
	v_mov_b32_e32 v12, s9
	v_add_co_u32_e32 v9, vcc, s8, v9
	v_addc_co_u32_e32 v10, vcc, v12, v10, vcc
	global_store_short v[9:10], v11, off offset:16
.LBB113_97:
	s_andn2_b64 vcc, exec, s[6:7]
	s_cbranch_vccnz .LBB113_99
; %bb.98:
	v_bfe_u32 v9, v1, 16, 1
	s_movk_i32 s18, 0x7fff
	v_add3_u32 v9, v1, v9, s18
	v_cmp_o_f32_e32 vcc, v1, v1
	v_mov_b32_e32 v10, 0x7fc0
	v_cndmask_b32_sdwa v11, v10, v9, vcc dst_sel:DWORD dst_unused:UNUSED_PAD src0_sel:DWORD src1_sel:WORD_1
	v_mov_b32_e32 v10, s5
	v_add_co_u32_e32 v9, vcc, s4, v2
	v_addc_co_u32_e32 v10, vcc, 0, v10, vcc
	v_lshlrev_b64 v[9:10], 1, v[9:10]
	v_mov_b32_e32 v12, s11
	v_add_co_u32_e32 v9, vcc, s10, v9
	v_addc_co_u32_e32 v10, vcc, v12, v10, vcc
	global_store_short v[9:10], v11, off offset:16
.LBB113_99:
	s_or_b64 exec, exec, s[16:17]
	s_movk_i32 s16, 0x400
	v_cmp_gt_u32_e32 vcc, s16, v3
	s_and_b64 exec, exec, vcc
	s_cbranch_execz .LBB113_115
; %bb.100:
	s_and_saveexec_b64 s[16:17], s[0:1]
	s_cbranch_execz .LBB113_102
; %bb.101:
	v_add_u32_e32 v0, v2, v4
	v_lshl_add_u32 v1, v0, 2, 0
	ds_read_b32 v0, v1 offset:64
	ds_read_b32 v1, v1 offset:2176
.LBB113_102:
	s_or_b64 exec, exec, s[16:17]
	s_waitcnt lgkmcnt(1)
	ds_bpermute_b32 v9, v5, v0
	s_waitcnt lgkmcnt(1)
	ds_bpermute_b32 v10, v5, v1
	v_add_u32_e32 v11, 16, v2
	s_waitcnt lgkmcnt(1)
	v_add_f32_e32 v0, v0, v9
	s_waitcnt lgkmcnt(0)
	v_add_f32_e32 v1, v1, v10
	ds_bpermute_b32 v9, v6, v0
	ds_bpermute_b32 v10, v6, v1
	s_waitcnt lgkmcnt(1)
	v_add_f32_e32 v0, v0, v9
	s_waitcnt lgkmcnt(0)
	v_add_f32_e32 v1, v1, v10
	ds_bpermute_b32 v9, v7, v0
	ds_bpermute_b32 v10, v7, v1
	;; [unrolled: 6-line block ×3, first 2 shown]
	v_mov_b32_e32 v1, s5
	v_or_b32_e32 v0, s4, v11
	v_cmp_gt_i64_e32 vcc, s[14:15], v[0:1]
	s_waitcnt lgkmcnt(1)
	v_add_f32_e32 v0, v9, v12
	s_waitcnt lgkmcnt(0)
	v_add_f32_e32 v1, v10, v13
	s_and_b64 s[18:19], s[2:3], vcc
	s_and_saveexec_b64 s[16:17], s[18:19]
	s_cbranch_execz .LBB113_107
; %bb.103:
	s_andn2_b64 vcc, exec, s[12:13]
	s_cbranch_vccnz .LBB113_105
; %bb.104:
	v_bfe_u32 v9, v0, 16, 1
	s_movk_i32 s18, 0x7fff
	v_add3_u32 v9, v0, v9, s18
	v_cmp_o_f32_e32 vcc, v0, v0
	v_mov_b32_e32 v10, 0x7fc0
	v_cndmask_b32_sdwa v11, v10, v9, vcc dst_sel:DWORD dst_unused:UNUSED_PAD src0_sel:DWORD src1_sel:WORD_1
	v_mov_b32_e32 v10, s5
	v_add_co_u32_e32 v9, vcc, s4, v2
	v_addc_co_u32_e32 v10, vcc, 0, v10, vcc
	v_lshlrev_b64 v[9:10], 1, v[9:10]
	v_mov_b32_e32 v12, s9
	v_add_co_u32_e32 v9, vcc, s8, v9
	v_addc_co_u32_e32 v10, vcc, v12, v10, vcc
	global_store_short v[9:10], v11, off offset:32
.LBB113_105:
	s_andn2_b64 vcc, exec, s[6:7]
	s_cbranch_vccnz .LBB113_107
; %bb.106:
	v_bfe_u32 v9, v1, 16, 1
	s_movk_i32 s18, 0x7fff
	v_add3_u32 v9, v1, v9, s18
	v_cmp_o_f32_e32 vcc, v1, v1
	v_mov_b32_e32 v10, 0x7fc0
	v_cndmask_b32_sdwa v11, v10, v9, vcc dst_sel:DWORD dst_unused:UNUSED_PAD src0_sel:DWORD src1_sel:WORD_1
	v_mov_b32_e32 v10, s5
	v_add_co_u32_e32 v9, vcc, s4, v2
	v_addc_co_u32_e32 v10, vcc, 0, v10, vcc
	v_lshlrev_b64 v[9:10], 1, v[9:10]
	v_mov_b32_e32 v12, s11
	v_add_co_u32_e32 v9, vcc, s10, v9
	v_addc_co_u32_e32 v10, vcc, v12, v10, vcc
	global_store_short v[9:10], v11, off offset:32
.LBB113_107:
	s_or_b64 exec, exec, s[16:17]
	s_movk_i32 s16, 0x200
	v_cmp_gt_u32_e32 vcc, s16, v3
	s_and_b64 exec, exec, vcc
	s_cbranch_execz .LBB113_115
; %bb.108:
	s_and_saveexec_b64 s[16:17], s[0:1]
	s_cbranch_execz .LBB113_110
; %bb.109:
	v_add_u32_e32 v0, v2, v4
	v_lshl_add_u32 v1, v0, 2, 0
	ds_read_b32 v0, v1 offset:96
	ds_read_b32 v1, v1 offset:2208
.LBB113_110:
	s_or_b64 exec, exec, s[16:17]
	s_waitcnt lgkmcnt(1)
	ds_bpermute_b32 v3, v5, v0
	s_waitcnt lgkmcnt(1)
	ds_bpermute_b32 v4, v5, v1
	v_add_u32_e32 v5, 24, v2
	v_or_b32_e32 v5, s4, v5
	s_waitcnt lgkmcnt(1)
	v_add_f32_e32 v0, v0, v3
	s_waitcnt lgkmcnt(0)
	v_add_f32_e32 v1, v1, v4
	ds_bpermute_b32 v3, v6, v0
	ds_bpermute_b32 v4, v6, v1
	v_mov_b32_e32 v6, s5
	v_cmp_gt_i64_e32 vcc, s[14:15], v[5:6]
	s_waitcnt lgkmcnt(1)
	v_add_f32_e32 v0, v0, v3
	s_waitcnt lgkmcnt(0)
	v_add_f32_e32 v1, v1, v4
	ds_bpermute_b32 v3, v7, v0
	ds_bpermute_b32 v4, v7, v1
	s_and_b64 s[0:1], s[2:3], vcc
	s_waitcnt lgkmcnt(1)
	v_add_f32_e32 v3, v0, v3
	s_waitcnt lgkmcnt(0)
	v_add_f32_e32 v0, v1, v4
	ds_bpermute_b32 v4, v8, v3
	ds_bpermute_b32 v1, v8, v0
	s_and_b64 exec, exec, s[0:1]
	s_cbranch_execz .LBB113_115
; %bb.111:
	s_andn2_b64 vcc, exec, s[12:13]
	s_cbranch_vccnz .LBB113_113
; %bb.112:
	s_waitcnt lgkmcnt(1)
	v_add_f32_e32 v3, v3, v4
	v_bfe_u32 v4, v3, 16, 1
	s_movk_i32 s0, 0x7fff
	v_add3_u32 v4, v3, v4, s0
	v_cmp_o_f32_e32 vcc, v3, v3
	v_mov_b32_e32 v3, 0x7fc0
	v_cndmask_b32_sdwa v5, v3, v4, vcc dst_sel:DWORD dst_unused:UNUSED_PAD src0_sel:DWORD src1_sel:WORD_1
	v_mov_b32_e32 v4, s5
	v_add_co_u32_e32 v3, vcc, s4, v2
	v_addc_co_u32_e32 v4, vcc, 0, v4, vcc
	v_lshlrev_b64 v[3:4], 1, v[3:4]
	v_mov_b32_e32 v6, s9
	v_add_co_u32_e32 v3, vcc, s8, v3
	v_addc_co_u32_e32 v4, vcc, v6, v4, vcc
	global_store_short v[3:4], v5, off offset:48
.LBB113_113:
	s_andn2_b64 vcc, exec, s[6:7]
	s_cbranch_vccnz .LBB113_115
; %bb.114:
	s_waitcnt lgkmcnt(0)
	v_add_f32_e32 v0, v0, v1
	v_bfe_u32 v1, v0, 16, 1
	s_movk_i32 s0, 0x7fff
	v_add3_u32 v1, v0, v1, s0
	v_cmp_o_f32_e32 vcc, v0, v0
	v_mov_b32_e32 v0, 0x7fc0
	v_cndmask_b32_sdwa v3, v0, v1, vcc dst_sel:DWORD dst_unused:UNUSED_PAD src0_sel:DWORD src1_sel:WORD_1
	v_mov_b32_e32 v1, s5
	v_add_co_u32_e32 v0, vcc, s4, v2
	v_addc_co_u32_e32 v1, vcc, 0, v1, vcc
	v_lshlrev_b64 v[0:1], 1, v[0:1]
	v_mov_b32_e32 v2, s11
	v_add_co_u32_e32 v0, vcc, s10, v0
	v_addc_co_u32_e32 v1, vcc, v2, v1, vcc
	global_store_short v[0:1], v3, off offset:48
.LBB113_115:
	s_endpgm
	.section	.rodata,"a",@progbits
	.p2align	6, 0x0
	.amdhsa_kernel _ZN2at6native12_GLOBAL__N_135GammaBetaBackwardCUDAKernelTemplateIN3c108BFloat16EfLj32ELj16ELj128ELb0ELb0ELb0EEEvllPKT_S7_PKT0_SA_PS5_SB_
		.amdhsa_group_segment_fixed_size 0
		.amdhsa_private_segment_fixed_size 0
		.amdhsa_kernarg_size 320
		.amdhsa_user_sgpr_count 6
		.amdhsa_user_sgpr_private_segment_buffer 1
		.amdhsa_user_sgpr_dispatch_ptr 0
		.amdhsa_user_sgpr_queue_ptr 0
		.amdhsa_user_sgpr_kernarg_segment_ptr 1
		.amdhsa_user_sgpr_dispatch_id 0
		.amdhsa_user_sgpr_flat_scratch_init 0
		.amdhsa_user_sgpr_private_segment_size 0
		.amdhsa_uses_dynamic_stack 0
		.amdhsa_system_sgpr_private_segment_wavefront_offset 0
		.amdhsa_system_sgpr_workgroup_id_x 1
		.amdhsa_system_sgpr_workgroup_id_y 1
		.amdhsa_system_sgpr_workgroup_id_z 0
		.amdhsa_system_sgpr_workgroup_info 0
		.amdhsa_system_vgpr_workitem_id 1
		.amdhsa_next_free_vgpr 94
		.amdhsa_next_free_sgpr 36
		.amdhsa_reserve_vcc 1
		.amdhsa_reserve_flat_scratch 0
		.amdhsa_float_round_mode_32 0
		.amdhsa_float_round_mode_16_64 0
		.amdhsa_float_denorm_mode_32 3
		.amdhsa_float_denorm_mode_16_64 3
		.amdhsa_dx10_clamp 1
		.amdhsa_ieee_mode 1
		.amdhsa_fp16_overflow 0
		.amdhsa_exception_fp_ieee_invalid_op 0
		.amdhsa_exception_fp_denorm_src 0
		.amdhsa_exception_fp_ieee_div_zero 0
		.amdhsa_exception_fp_ieee_overflow 0
		.amdhsa_exception_fp_ieee_underflow 0
		.amdhsa_exception_fp_ieee_inexact 0
		.amdhsa_exception_int_div_zero 0
	.end_amdhsa_kernel
	.section	.text._ZN2at6native12_GLOBAL__N_135GammaBetaBackwardCUDAKernelTemplateIN3c108BFloat16EfLj32ELj16ELj128ELb0ELb0ELb0EEEvllPKT_S7_PKT0_SA_PS5_SB_,"axG",@progbits,_ZN2at6native12_GLOBAL__N_135GammaBetaBackwardCUDAKernelTemplateIN3c108BFloat16EfLj32ELj16ELj128ELb0ELb0ELb0EEEvllPKT_S7_PKT0_SA_PS5_SB_,comdat
.Lfunc_end113:
	.size	_ZN2at6native12_GLOBAL__N_135GammaBetaBackwardCUDAKernelTemplateIN3c108BFloat16EfLj32ELj16ELj128ELb0ELb0ELb0EEEvllPKT_S7_PKT0_SA_PS5_SB_, .Lfunc_end113-_ZN2at6native12_GLOBAL__N_135GammaBetaBackwardCUDAKernelTemplateIN3c108BFloat16EfLj32ELj16ELj128ELb0ELb0ELb0EEEvllPKT_S7_PKT0_SA_PS5_SB_
                                        ; -- End function
	.set _ZN2at6native12_GLOBAL__N_135GammaBetaBackwardCUDAKernelTemplateIN3c108BFloat16EfLj32ELj16ELj128ELb0ELb0ELb0EEEvllPKT_S7_PKT0_SA_PS5_SB_.num_vgpr, 94
	.set _ZN2at6native12_GLOBAL__N_135GammaBetaBackwardCUDAKernelTemplateIN3c108BFloat16EfLj32ELj16ELj128ELb0ELb0ELb0EEEvllPKT_S7_PKT0_SA_PS5_SB_.num_agpr, 0
	.set _ZN2at6native12_GLOBAL__N_135GammaBetaBackwardCUDAKernelTemplateIN3c108BFloat16EfLj32ELj16ELj128ELb0ELb0ELb0EEEvllPKT_S7_PKT0_SA_PS5_SB_.numbered_sgpr, 36
	.set _ZN2at6native12_GLOBAL__N_135GammaBetaBackwardCUDAKernelTemplateIN3c108BFloat16EfLj32ELj16ELj128ELb0ELb0ELb0EEEvllPKT_S7_PKT0_SA_PS5_SB_.num_named_barrier, 0
	.set _ZN2at6native12_GLOBAL__N_135GammaBetaBackwardCUDAKernelTemplateIN3c108BFloat16EfLj32ELj16ELj128ELb0ELb0ELb0EEEvllPKT_S7_PKT0_SA_PS5_SB_.private_seg_size, 0
	.set _ZN2at6native12_GLOBAL__N_135GammaBetaBackwardCUDAKernelTemplateIN3c108BFloat16EfLj32ELj16ELj128ELb0ELb0ELb0EEEvllPKT_S7_PKT0_SA_PS5_SB_.uses_vcc, 1
	.set _ZN2at6native12_GLOBAL__N_135GammaBetaBackwardCUDAKernelTemplateIN3c108BFloat16EfLj32ELj16ELj128ELb0ELb0ELb0EEEvllPKT_S7_PKT0_SA_PS5_SB_.uses_flat_scratch, 0
	.set _ZN2at6native12_GLOBAL__N_135GammaBetaBackwardCUDAKernelTemplateIN3c108BFloat16EfLj32ELj16ELj128ELb0ELb0ELb0EEEvllPKT_S7_PKT0_SA_PS5_SB_.has_dyn_sized_stack, 0
	.set _ZN2at6native12_GLOBAL__N_135GammaBetaBackwardCUDAKernelTemplateIN3c108BFloat16EfLj32ELj16ELj128ELb0ELb0ELb0EEEvllPKT_S7_PKT0_SA_PS5_SB_.has_recursion, 0
	.set _ZN2at6native12_GLOBAL__N_135GammaBetaBackwardCUDAKernelTemplateIN3c108BFloat16EfLj32ELj16ELj128ELb0ELb0ELb0EEEvllPKT_S7_PKT0_SA_PS5_SB_.has_indirect_call, 0
	.section	.AMDGPU.csdata,"",@progbits
; Kernel info:
; codeLenInByte = 8760
; TotalNumSgprs: 40
; NumVgprs: 94
; ScratchSize: 0
; MemoryBound: 0
; FloatMode: 240
; IeeeMode: 1
; LDSByteSize: 0 bytes/workgroup (compile time only)
; SGPRBlocks: 4
; VGPRBlocks: 23
; NumSGPRsForWavesPerEU: 40
; NumVGPRsForWavesPerEU: 94
; Occupancy: 2
; WaveLimiterHint : 0
; COMPUTE_PGM_RSRC2:SCRATCH_EN: 0
; COMPUTE_PGM_RSRC2:USER_SGPR: 6
; COMPUTE_PGM_RSRC2:TRAP_HANDLER: 0
; COMPUTE_PGM_RSRC2:TGID_X_EN: 1
; COMPUTE_PGM_RSRC2:TGID_Y_EN: 1
; COMPUTE_PGM_RSRC2:TGID_Z_EN: 0
; COMPUTE_PGM_RSRC2:TIDIG_COMP_CNT: 1
	.section	.text._ZN2at6native12_GLOBAL__N_135GammaBetaBackwardCUDAKernelTemplateIN3c108BFloat16EfLj32ELj32ELj256ELb0ELb1ELb0EEEvllPKT_S7_PKT0_SA_PS5_SB_,"axG",@progbits,_ZN2at6native12_GLOBAL__N_135GammaBetaBackwardCUDAKernelTemplateIN3c108BFloat16EfLj32ELj32ELj256ELb0ELb1ELb0EEEvllPKT_S7_PKT0_SA_PS5_SB_,comdat
	.globl	_ZN2at6native12_GLOBAL__N_135GammaBetaBackwardCUDAKernelTemplateIN3c108BFloat16EfLj32ELj32ELj256ELb0ELb1ELb0EEEvllPKT_S7_PKT0_SA_PS5_SB_ ; -- Begin function _ZN2at6native12_GLOBAL__N_135GammaBetaBackwardCUDAKernelTemplateIN3c108BFloat16EfLj32ELj32ELj256ELb0ELb1ELb0EEEvllPKT_S7_PKT0_SA_PS5_SB_
	.p2align	8
	.type	_ZN2at6native12_GLOBAL__N_135GammaBetaBackwardCUDAKernelTemplateIN3c108BFloat16EfLj32ELj32ELj256ELb0ELb1ELb0EEEvllPKT_S7_PKT0_SA_PS5_SB_,@function
_ZN2at6native12_GLOBAL__N_135GammaBetaBackwardCUDAKernelTemplateIN3c108BFloat16EfLj32ELj32ELj256ELb0ELb1ELb0EEEvllPKT_S7_PKT0_SA_PS5_SB_: ; @_ZN2at6native12_GLOBAL__N_135GammaBetaBackwardCUDAKernelTemplateIN3c108BFloat16EfLj32ELj32ELj256ELb0ELb1ELb0EEEvllPKT_S7_PKT0_SA_PS5_SB_
; %bb.0:
	s_load_dwordx4 s[20:23], s[4:5], 0x0
	s_lshl_b32 s24, s7, 8
	s_mov_b32 s25, 0
	v_mov_b32_e32 v2, s24
	v_mov_b32_e32 v3, s25
	s_waitcnt lgkmcnt(0)
	v_cmp_gt_i64_e32 vcc, s[20:21], v[2:3]
	s_cbranch_vccnz .LBB114_2
; %bb.1:
	s_mov_b64 s[0:1], 0
	s_branch .LBB114_3
.LBB114_2:
	s_mov_b64 s[0:1], -1
.LBB114_3:
	s_load_dwordx4 s[16:19], s[4:5], 0x30
	v_mov_b32_e32 v18, 0
	s_andn2_b64 vcc, exec, s[0:1]
	v_mbcnt_lo_u32_b32 v9, -1, 0
	v_mov_b32_e32 v6, 0
	s_cbranch_vccnz .LBB114_10
; %bb.4:
	s_load_dword s0, s[4:5], 0x4c
	s_load_dword s2, s[4:5], 0x44
	s_load_dwordx8 s[8:15], s[4:5], 0x10
	v_lshlrev_b32_e32 v2, 3, v1
	v_mbcnt_hi_u32_b32 v4, -1, v9
	v_lshlrev_b32_e32 v4, 2, v4
	v_add_co_u32_e32 v2, vcc, s24, v2
	v_and_b32_e32 v10, 0x100, v4
	s_waitcnt lgkmcnt(0)
	s_lshl_b32 s4, s2, 8
	v_addc_co_u32_e64 v4, s[2:3], 0, 0, vcc
	v_mul_lo_u32 v18, s23, v2
	v_mul_lo_u32 v19, s22, v4
	v_mad_u64_u32 v[7:8], s[2:3], s22, v2, 0
	s_and_b32 s0, s0, 0xffff
	v_mad_u32_u24 v3, v1, s0, v0
	v_and_b32_e32 v3, 63, v3
	v_mov_b32_e32 v6, 0
	v_lshl_add_u32 v5, s6, 5, v0
	v_add_co_u32_e32 v2, vcc, v2, v3
	v_add3_u32 v8, v8, v19, v18
	v_cmp_gt_u32_e64 s[0:1], 8, v3
	v_addc_co_u32_e32 v3, vcc, 0, v4, vcc
	v_lshlrev_b64 v[7:8], 1, v[7:8]
	v_lshlrev_b64 v[4:5], 1, v[5:6]
	s_mul_i32 s2, s23, s4
	v_add_co_u32_e32 v19, vcc, v7, v4
	s_mul_hi_u32 s3, s22, s4
	s_mov_b32 s5, 0
	v_addc_co_u32_e32 v20, vcc, v8, v5, vcc
	v_lshlrev_b64 v[4:5], 2, v[2:3]
	s_add_i32 s3, s3, s2
	s_mul_i32 s2, s22, s4
	v_or_b32_e32 v11, 4, v10
	v_or_b32_e32 v12, 8, v10
	;; [unrolled: 1-line block ×7, first 2 shown]
	s_lshl_b64 s[26:27], s[4:5], 2
	s_lshl_b64 s[28:29], s[2:3], 1
	;; [unrolled: 1-line block ×3, first 2 shown]
	v_mov_b32_e32 v18, v6
	s_branch .LBB114_7
.LBB114_5:                              ;   in Loop: Header=BB114_7 Depth=1
	s_or_b64 exec, exec, s[30:31]
.LBB114_6:                              ;   in Loop: Header=BB114_7 Depth=1
	s_or_b64 exec, exec, s[2:3]
	v_mov_b32_e32 v7, s11
	v_add_co_u32_e32 v24, vcc, s10, v19
	v_addc_co_u32_e32 v25, vcc, v7, v20, vcc
	global_load_ushort v28, v[24:25], off
	v_mov_b32_e32 v23, s23
	v_add_co_u32_e32 v7, vcc, s22, v24
	v_addc_co_u32_e32 v8, vcc, v25, v23, vcc
	v_mov_b32_e32 v25, s9
	v_add_co_u32_e32 v24, vcc, s8, v19
	v_addc_co_u32_e32 v25, vcc, v25, v20, vcc
	v_add_co_u32_e32 v26, vcc, s22, v24
	global_load_ushort v24, v[24:25], off
	v_addc_co_u32_e32 v27, vcc, v25, v23, vcc
	s_add_u32 s24, s24, s4
	s_addc_u32 s25, s25, 0
	v_add_co_u32_e64 v19, s[2:3], s28, v19
	s_waitcnt vmcnt(1)
	v_lshlrev_b32_e32 v25, 16, v28
	ds_bpermute_b32 v28, v10, v22
	s_waitcnt lgkmcnt(0)
	v_sub_f32_e32 v25, v25, v28
	s_waitcnt vmcnt(0)
	v_lshlrev_b32_e32 v24, 16, v24
	v_add_f32_e32 v6, v6, v24
	v_mul_f32_e32 v24, v25, v24
	ds_bpermute_b32 v25, v10, v21
	s_waitcnt lgkmcnt(0)
	v_fmac_f32_e32 v18, v24, v25
	v_add_co_u32_e32 v24, vcc, s22, v7
	global_load_ushort v7, v[7:8], off
	v_addc_co_u32_e32 v25, vcc, v8, v23, vcc
	global_load_ushort v8, v[26:27], off
	v_add_co_u32_e32 v28, vcc, s22, v26
	ds_bpermute_b32 v26, v11, v22
	v_addc_co_u32_e32 v29, vcc, v27, v23, vcc
	s_waitcnt vmcnt(1)
	v_lshlrev_b32_e32 v7, 16, v7
	s_waitcnt lgkmcnt(0)
	v_sub_f32_e32 v26, v7, v26
	s_waitcnt vmcnt(0)
	v_lshlrev_b32_e32 v7, 16, v8
	v_mul_f32_e32 v8, v26, v7
	ds_bpermute_b32 v26, v11, v21
	v_add_f32_e32 v6, v6, v7
	ds_bpermute_b32 v7, v17, v22
	s_waitcnt lgkmcnt(1)
	v_fmac_f32_e32 v18, v8, v26
	v_add_co_u32_e32 v26, vcc, s22, v24
	v_addc_co_u32_e32 v27, vcc, v25, v23, vcc
	global_load_ushort v8, v[24:25], off
	global_load_ushort v30, v[26:27], off
	v_add_co_u32_e32 v24, vcc, s22, v28
	global_load_ushort v28, v[28:29], off
	v_addc_co_u32_e32 v25, vcc, v29, v23, vcc
	ds_bpermute_b32 v29, v12, v22
	s_waitcnt vmcnt(2)
	v_lshlrev_b32_e32 v8, 16, v8
	s_waitcnt lgkmcnt(0)
	v_sub_f32_e32 v29, v8, v29
	s_waitcnt vmcnt(0)
	v_lshlrev_b32_e32 v8, 16, v28
	v_mul_f32_e32 v28, v29, v8
	ds_bpermute_b32 v29, v12, v21
	v_add_f32_e32 v6, v6, v8
	ds_bpermute_b32 v8, v17, v21
	s_waitcnt lgkmcnt(1)
	v_fmac_f32_e32 v18, v28, v29
	v_add_co_u32_e32 v28, vcc, s22, v26
	v_addc_co_u32_e32 v29, vcc, v27, v23, vcc
	v_add_co_u32_e32 v26, vcc, s22, v24
	global_load_ushort v24, v[24:25], off
	v_addc_co_u32_e32 v27, vcc, v25, v23, vcc
	v_lshlrev_b32_e32 v25, 16, v30
	ds_bpermute_b32 v30, v13, v22
	s_waitcnt lgkmcnt(0)
	v_sub_f32_e32 v25, v25, v30
	ds_bpermute_b32 v30, v13, v21
	s_waitcnt vmcnt(0)
	v_lshlrev_b32_e32 v24, 16, v24
	v_mul_f32_e32 v25, v25, v24
	s_waitcnt lgkmcnt(0)
	v_fmac_f32_e32 v18, v25, v30
	v_add_co_u32_e32 v30, vcc, s22, v28
	v_addc_co_u32_e32 v31, vcc, v29, v23, vcc
	global_load_ushort v25, v[28:29], off
	v_add_co_u32_e32 v28, vcc, s22, v26
	global_load_ushort v26, v[26:27], off
	v_addc_co_u32_e32 v29, vcc, v27, v23, vcc
	ds_bpermute_b32 v27, v14, v22
	v_add_f32_e32 v6, v6, v24
	s_waitcnt vmcnt(1)
	v_lshlrev_b32_e32 v25, 16, v25
	s_waitcnt lgkmcnt(0)
	v_sub_f32_e32 v25, v25, v27
	global_load_ushort v27, v[30:31], off
	s_waitcnt vmcnt(1)
	v_lshlrev_b32_e32 v32, 16, v26
	ds_bpermute_b32 v26, v14, v21
	v_mul_f32_e32 v25, v25, v32
	v_add_f32_e32 v6, v6, v32
	s_waitcnt lgkmcnt(0)
	v_fmac_f32_e32 v18, v25, v26
	v_add_co_u32_e32 v25, vcc, s22, v30
	v_addc_co_u32_e32 v26, vcc, v31, v23, vcc
	v_add_co_u32_e32 v30, vcc, s22, v28
	global_load_ushort v28, v[28:29], off
	v_addc_co_u32_e32 v31, vcc, v29, v23, vcc
	ds_bpermute_b32 v29, v15, v22
	global_load_ushort v33, v[25:26], off
	s_waitcnt vmcnt(2)
	v_lshlrev_b32_e32 v27, 16, v27
	s_waitcnt lgkmcnt(0)
	v_sub_f32_e32 v27, v27, v29
	s_waitcnt vmcnt(1)
	v_lshlrev_b32_e32 v29, 16, v28
	ds_bpermute_b32 v28, v15, v21
	v_mul_f32_e32 v27, v27, v29
	v_add_f32_e32 v6, v6, v29
	s_waitcnt lgkmcnt(0)
	v_fmac_f32_e32 v18, v27, v28
	v_add_co_u32_e32 v27, vcc, s22, v25
	v_addc_co_u32_e32 v28, vcc, v26, v23, vcc
	v_add_co_u32_e32 v25, vcc, s22, v30
	v_addc_co_u32_e32 v26, vcc, v31, v23, vcc
	global_load_ushort v23, v[30:31], off
	s_nop 0
	global_load_ushort v25, v[25:26], off
	s_nop 0
	global_load_ushort v26, v[27:28], off
	ds_bpermute_b32 v31, v16, v22
	s_waitcnt vmcnt(3)
	v_lshlrev_b32_e32 v30, 16, v33
	v_add_co_u32_e32 v4, vcc, s26, v4
	s_waitcnt lgkmcnt(0)
	v_sub_f32_e32 v30, v30, v31
	ds_bpermute_b32 v31, v16, v21
	s_waitcnt vmcnt(2)
	v_lshlrev_b32_e32 v23, 16, v23
	s_waitcnt vmcnt(0)
	v_lshlrev_b32_e32 v22, 16, v26
	v_mul_f32_e32 v30, v30, v23
	v_lshlrev_b32_e32 v21, 16, v25
	v_sub_f32_e32 v7, v22, v7
	s_waitcnt lgkmcnt(0)
	v_fmac_f32_e32 v18, v30, v31
	v_mul_f32_e32 v7, v7, v21
	v_fmac_f32_e32 v18, v7, v8
	v_mov_b32_e32 v7, s27
	v_addc_co_u32_e32 v5, vcc, v5, v7, vcc
	v_add_co_u32_e32 v2, vcc, s4, v2
	v_mov_b32_e32 v7, s20
	v_addc_co_u32_e32 v3, vcc, 0, v3, vcc
	v_mov_b32_e32 v8, s21
	v_add_f32_e32 v6, v6, v23
	v_cmp_lt_i64_e32 vcc, s[24:25], v[7:8]
	v_add_f32_e32 v6, v6, v21
	v_mov_b32_e32 v21, s29
	v_addc_co_u32_e64 v20, s[2:3], v20, v21, s[2:3]
	s_cbranch_vccz .LBB114_10
.LBB114_7:                              ; =>This Inner Loop Header: Depth=1
	v_mov_b32_e32 v21, 0
	v_mov_b32_e32 v22, 0
	s_and_saveexec_b64 s[2:3], s[0:1]
	s_cbranch_execz .LBB114_6
; %bb.8:                                ;   in Loop: Header=BB114_7 Depth=1
	v_cmp_gt_i64_e32 vcc, s[20:21], v[2:3]
	v_mov_b32_e32 v22, 0
	v_mov_b32_e32 v21, 0
	s_and_saveexec_b64 s[30:31], vcc
	s_cbranch_execz .LBB114_5
; %bb.9:                                ;   in Loop: Header=BB114_7 Depth=1
	v_mov_b32_e32 v8, s15
	v_add_co_u32_e32 v7, vcc, s14, v4
	v_addc_co_u32_e32 v8, vcc, v8, v5, vcc
	v_mov_b32_e32 v21, s13
	v_add_co_u32_e32 v23, vcc, s12, v4
	v_addc_co_u32_e32 v24, vcc, v21, v5, vcc
	global_load_dword v22, v[23:24], off
	global_load_dword v21, v[7:8], off
	s_branch .LBB114_5
.LBB114_10:
	v_mad_u32_u24 v2, v1, 33, v0
	v_sub_u32_e32 v4, v2, v1
	s_movk_i32 s0, 0x800
	v_lshl_add_u32 v3, v2, 2, 0
	v_cmp_gt_u32_e32 vcc, s0, v4
	ds_write_b32 v3, v18
	ds_write_b32 v3, v6 offset:4224
	s_waitcnt lgkmcnt(0)
	s_barrier
	s_and_saveexec_b64 s[0:1], vcc
	s_cbranch_execz .LBB114_26
; %bb.11:
	v_and_b32_e32 v1, 63, v4
	v_lshrrev_b32_e32 v2, 6, v4
	v_cmp_gt_u32_e64 s[0:1], 32, v1
	v_mul_u32_u24_e32 v3, 33, v1
                                        ; implicit-def: $vgpr1
                                        ; implicit-def: $vgpr6
	s_and_saveexec_b64 s[2:3], s[0:1]
	s_cbranch_execz .LBB114_13
; %bb.12:
	v_add_u32_e32 v1, v2, v3
	v_lshl_add_u32 v1, v1, 2, 0
	ds_read_b32 v6, v1
	ds_read_b32 v1, v1 offset:4224
.LBB114_13:
	s_or_b64 exec, exec, s[2:3]
	v_mbcnt_hi_u32_b32 v9, -1, v9
	v_and_b32_e32 v5, 64, v9
	v_add_u32_e32 v10, 64, v5
	v_xor_b32_e32 v5, 16, v9
	v_cmp_lt_i32_e32 vcc, v5, v10
	v_cndmask_b32_e32 v5, v9, v5, vcc
	v_lshlrev_b32_e32 v5, 2, v5
	s_waitcnt lgkmcnt(1)
	ds_bpermute_b32 v7, v5, v6
	s_waitcnt lgkmcnt(1)
	ds_bpermute_b32 v8, v5, v1
	v_cmp_eq_u32_e64 s[2:3], 0, v0
	s_mov_b32 s7, 0
	s_lshl_b64 s[4:5], s[6:7], 5
	s_waitcnt lgkmcnt(1)
	v_add_f32_e32 v7, v6, v7
	v_xor_b32_e32 v6, 8, v9
	v_cmp_lt_i32_e32 vcc, v6, v10
	v_cndmask_b32_e32 v6, v9, v6, vcc
	v_lshlrev_b32_e32 v6, 2, v6
	s_waitcnt lgkmcnt(0)
	v_add_f32_e32 v1, v1, v8
	ds_bpermute_b32 v8, v6, v7
	ds_bpermute_b32 v11, v6, v1
	s_cmp_lg_u64 s[16:17], 0
	s_cselect_b64 s[8:9], -1, 0
	s_cmp_lg_u64 s[18:19], 0
	s_waitcnt lgkmcnt(1)
	v_add_f32_e32 v8, v7, v8
	v_xor_b32_e32 v7, 4, v9
	v_cmp_lt_i32_e32 vcc, v7, v10
	v_cndmask_b32_e32 v7, v9, v7, vcc
	v_lshlrev_b32_e32 v7, 2, v7
	s_waitcnt lgkmcnt(0)
	v_add_f32_e32 v1, v1, v11
	ds_bpermute_b32 v11, v7, v8
	ds_bpermute_b32 v12, v7, v1
	s_cselect_b64 s[6:7], -1, 0
	s_waitcnt lgkmcnt(1)
	v_add_f32_e32 v11, v8, v11
	v_xor_b32_e32 v8, 2, v9
	v_cmp_lt_i32_e32 vcc, v8, v10
	v_cndmask_b32_e32 v8, v9, v8, vcc
	v_lshlrev_b32_e32 v8, 2, v8
	s_waitcnt lgkmcnt(0)
	v_add_f32_e32 v1, v1, v12
	ds_bpermute_b32 v12, v8, v11
	ds_bpermute_b32 v13, v8, v1
	s_waitcnt lgkmcnt(1)
	v_add_f32_e32 v0, v11, v12
	v_xor_b32_e32 v11, 1, v9
	v_cmp_lt_i32_e32 vcc, v11, v10
	v_cndmask_b32_e32 v9, v9, v11, vcc
	s_waitcnt lgkmcnt(0)
	v_add_f32_e32 v1, v1, v13
	v_lshlrev_b32_e32 v9, 2, v9
	ds_bpermute_b32 v10, v9, v0
	ds_bpermute_b32 v11, v9, v1
	s_waitcnt lgkmcnt(1)
	v_add_f32_e32 v10, v0, v10
	s_waitcnt lgkmcnt(0)
	v_add_f32_e32 v11, v1, v11
	s_and_saveexec_b64 s[10:11], s[2:3]
	s_cbranch_execz .LBB114_18
; %bb.14:
	v_mov_b32_e32 v1, s5
	v_or_b32_e32 v0, s4, v2
	v_lshlrev_b64 v[0:1], 1, v[0:1]
	s_andn2_b64 vcc, exec, s[8:9]
	s_cbranch_vccnz .LBB114_16
; %bb.15:
	v_bfe_u32 v12, v10, 16, 1
	s_movk_i32 s12, 0x7fff
	v_add3_u32 v12, v10, v12, s12
	v_cmp_o_f32_e32 vcc, v10, v10
	v_mov_b32_e32 v13, 0x7fc0
	v_cndmask_b32_sdwa v14, v13, v12, vcc dst_sel:DWORD dst_unused:UNUSED_PAD src0_sel:DWORD src1_sel:WORD_1
	v_mov_b32_e32 v13, s17
	v_add_co_u32_e32 v12, vcc, s16, v0
	v_addc_co_u32_e32 v13, vcc, v13, v1, vcc
	global_store_short v[12:13], v14, off
.LBB114_16:
	s_andn2_b64 vcc, exec, s[6:7]
	s_cbranch_vccnz .LBB114_18
; %bb.17:
	v_bfe_u32 v12, v11, 16, 1
	s_movk_i32 s12, 0x7fff
	v_add3_u32 v12, v11, v12, s12
	v_cmp_o_f32_e32 vcc, v11, v11
	v_mov_b32_e32 v13, 0x7fc0
	v_cndmask_b32_sdwa v12, v13, v12, vcc dst_sel:DWORD dst_unused:UNUSED_PAD src0_sel:DWORD src1_sel:WORD_1
	v_mov_b32_e32 v13, s19
	v_add_co_u32_e32 v0, vcc, s18, v0
	v_addc_co_u32_e32 v1, vcc, v13, v1, vcc
	global_store_short v[0:1], v12, off
.LBB114_18:
	s_or_b64 exec, exec, s[10:11]
	s_movk_i32 s10, 0x400
	v_cmp_gt_u32_e32 vcc, s10, v4
	s_and_b64 exec, exec, vcc
	s_cbranch_execz .LBB114_26
; %bb.19:
	s_and_saveexec_b64 s[10:11], s[0:1]
	s_cbranch_execz .LBB114_21
; %bb.20:
	v_add_u32_e32 v0, v2, v3
	v_lshl_add_u32 v0, v0, 2, 0
	ds_read_b32 v10, v0 offset:64
	ds_read_b32 v11, v0 offset:4288
.LBB114_21:
	s_or_b64 exec, exec, s[10:11]
	s_waitcnt lgkmcnt(1)
	ds_bpermute_b32 v0, v5, v10
	s_waitcnt lgkmcnt(1)
	ds_bpermute_b32 v1, v5, v11
	s_waitcnt lgkmcnt(1)
	v_add_f32_e32 v0, v10, v0
	s_waitcnt lgkmcnt(0)
	v_add_f32_e32 v1, v11, v1
	ds_bpermute_b32 v3, v6, v0
	ds_bpermute_b32 v4, v6, v1
	s_waitcnt lgkmcnt(1)
	v_add_f32_e32 v0, v0, v3
	s_waitcnt lgkmcnt(0)
	v_add_f32_e32 v1, v1, v4
	ds_bpermute_b32 v3, v7, v0
	;; [unrolled: 6-line block ×4, first 2 shown]
	ds_bpermute_b32 v1, v9, v0
	s_and_b64 exec, exec, s[2:3]
	s_cbranch_execz .LBB114_26
; %bb.22:
	s_andn2_b64 vcc, exec, s[8:9]
	s_cbranch_vccnz .LBB114_24
; %bb.23:
	s_waitcnt lgkmcnt(1)
	v_add_f32_e32 v3, v3, v4
	v_bfe_u32 v4, v3, 16, 1
	s_movk_i32 s0, 0x7fff
	v_add3_u32 v4, v3, v4, s0
	v_cmp_o_f32_e32 vcc, v3, v3
	v_mov_b32_e32 v3, 0x7fc0
	v_cndmask_b32_sdwa v5, v3, v4, vcc dst_sel:DWORD dst_unused:UNUSED_PAD src0_sel:DWORD src1_sel:WORD_1
	v_mov_b32_e32 v4, s5
	v_add_co_u32_e32 v3, vcc, s4, v2
	v_addc_co_u32_e32 v4, vcc, 0, v4, vcc
	v_lshlrev_b64 v[3:4], 1, v[3:4]
	v_mov_b32_e32 v6, s17
	v_add_co_u32_e32 v3, vcc, s16, v3
	v_addc_co_u32_e32 v4, vcc, v6, v4, vcc
	global_store_short v[3:4], v5, off offset:32
.LBB114_24:
	s_andn2_b64 vcc, exec, s[6:7]
	s_cbranch_vccnz .LBB114_26
; %bb.25:
	s_waitcnt lgkmcnt(0)
	v_add_f32_e32 v0, v0, v1
	v_bfe_u32 v1, v0, 16, 1
	s_movk_i32 s0, 0x7fff
	v_add3_u32 v1, v0, v1, s0
	v_cmp_o_f32_e32 vcc, v0, v0
	v_mov_b32_e32 v0, 0x7fc0
	v_cndmask_b32_sdwa v3, v0, v1, vcc dst_sel:DWORD dst_unused:UNUSED_PAD src0_sel:DWORD src1_sel:WORD_1
	v_mov_b32_e32 v1, s5
	v_add_co_u32_e32 v0, vcc, s4, v2
	v_addc_co_u32_e32 v1, vcc, 0, v1, vcc
	v_lshlrev_b64 v[0:1], 1, v[0:1]
	v_mov_b32_e32 v2, s19
	v_add_co_u32_e32 v0, vcc, s18, v0
	v_addc_co_u32_e32 v1, vcc, v2, v1, vcc
	global_store_short v[0:1], v3, off offset:32
.LBB114_26:
	s_endpgm
	.section	.rodata,"a",@progbits
	.p2align	6, 0x0
	.amdhsa_kernel _ZN2at6native12_GLOBAL__N_135GammaBetaBackwardCUDAKernelTemplateIN3c108BFloat16EfLj32ELj32ELj256ELb0ELb1ELb0EEEvllPKT_S7_PKT0_SA_PS5_SB_
		.amdhsa_group_segment_fixed_size 0
		.amdhsa_private_segment_fixed_size 0
		.amdhsa_kernarg_size 320
		.amdhsa_user_sgpr_count 6
		.amdhsa_user_sgpr_private_segment_buffer 1
		.amdhsa_user_sgpr_dispatch_ptr 0
		.amdhsa_user_sgpr_queue_ptr 0
		.amdhsa_user_sgpr_kernarg_segment_ptr 1
		.amdhsa_user_sgpr_dispatch_id 0
		.amdhsa_user_sgpr_flat_scratch_init 0
		.amdhsa_user_sgpr_private_segment_size 0
		.amdhsa_uses_dynamic_stack 0
		.amdhsa_system_sgpr_private_segment_wavefront_offset 0
		.amdhsa_system_sgpr_workgroup_id_x 1
		.amdhsa_system_sgpr_workgroup_id_y 1
		.amdhsa_system_sgpr_workgroup_id_z 0
		.amdhsa_system_sgpr_workgroup_info 0
		.amdhsa_system_vgpr_workitem_id 1
		.amdhsa_next_free_vgpr 34
		.amdhsa_next_free_sgpr 32
		.amdhsa_reserve_vcc 1
		.amdhsa_reserve_flat_scratch 0
		.amdhsa_float_round_mode_32 0
		.amdhsa_float_round_mode_16_64 0
		.amdhsa_float_denorm_mode_32 3
		.amdhsa_float_denorm_mode_16_64 3
		.amdhsa_dx10_clamp 1
		.amdhsa_ieee_mode 1
		.amdhsa_fp16_overflow 0
		.amdhsa_exception_fp_ieee_invalid_op 0
		.amdhsa_exception_fp_denorm_src 0
		.amdhsa_exception_fp_ieee_div_zero 0
		.amdhsa_exception_fp_ieee_overflow 0
		.amdhsa_exception_fp_ieee_underflow 0
		.amdhsa_exception_fp_ieee_inexact 0
		.amdhsa_exception_int_div_zero 0
	.end_amdhsa_kernel
	.section	.text._ZN2at6native12_GLOBAL__N_135GammaBetaBackwardCUDAKernelTemplateIN3c108BFloat16EfLj32ELj32ELj256ELb0ELb1ELb0EEEvllPKT_S7_PKT0_SA_PS5_SB_,"axG",@progbits,_ZN2at6native12_GLOBAL__N_135GammaBetaBackwardCUDAKernelTemplateIN3c108BFloat16EfLj32ELj32ELj256ELb0ELb1ELb0EEEvllPKT_S7_PKT0_SA_PS5_SB_,comdat
.Lfunc_end114:
	.size	_ZN2at6native12_GLOBAL__N_135GammaBetaBackwardCUDAKernelTemplateIN3c108BFloat16EfLj32ELj32ELj256ELb0ELb1ELb0EEEvllPKT_S7_PKT0_SA_PS5_SB_, .Lfunc_end114-_ZN2at6native12_GLOBAL__N_135GammaBetaBackwardCUDAKernelTemplateIN3c108BFloat16EfLj32ELj32ELj256ELb0ELb1ELb0EEEvllPKT_S7_PKT0_SA_PS5_SB_
                                        ; -- End function
	.set _ZN2at6native12_GLOBAL__N_135GammaBetaBackwardCUDAKernelTemplateIN3c108BFloat16EfLj32ELj32ELj256ELb0ELb1ELb0EEEvllPKT_S7_PKT0_SA_PS5_SB_.num_vgpr, 34
	.set _ZN2at6native12_GLOBAL__N_135GammaBetaBackwardCUDAKernelTemplateIN3c108BFloat16EfLj32ELj32ELj256ELb0ELb1ELb0EEEvllPKT_S7_PKT0_SA_PS5_SB_.num_agpr, 0
	.set _ZN2at6native12_GLOBAL__N_135GammaBetaBackwardCUDAKernelTemplateIN3c108BFloat16EfLj32ELj32ELj256ELb0ELb1ELb0EEEvllPKT_S7_PKT0_SA_PS5_SB_.numbered_sgpr, 32
	.set _ZN2at6native12_GLOBAL__N_135GammaBetaBackwardCUDAKernelTemplateIN3c108BFloat16EfLj32ELj32ELj256ELb0ELb1ELb0EEEvllPKT_S7_PKT0_SA_PS5_SB_.num_named_barrier, 0
	.set _ZN2at6native12_GLOBAL__N_135GammaBetaBackwardCUDAKernelTemplateIN3c108BFloat16EfLj32ELj32ELj256ELb0ELb1ELb0EEEvllPKT_S7_PKT0_SA_PS5_SB_.private_seg_size, 0
	.set _ZN2at6native12_GLOBAL__N_135GammaBetaBackwardCUDAKernelTemplateIN3c108BFloat16EfLj32ELj32ELj256ELb0ELb1ELb0EEEvllPKT_S7_PKT0_SA_PS5_SB_.uses_vcc, 1
	.set _ZN2at6native12_GLOBAL__N_135GammaBetaBackwardCUDAKernelTemplateIN3c108BFloat16EfLj32ELj32ELj256ELb0ELb1ELb0EEEvllPKT_S7_PKT0_SA_PS5_SB_.uses_flat_scratch, 0
	.set _ZN2at6native12_GLOBAL__N_135GammaBetaBackwardCUDAKernelTemplateIN3c108BFloat16EfLj32ELj32ELj256ELb0ELb1ELb0EEEvllPKT_S7_PKT0_SA_PS5_SB_.has_dyn_sized_stack, 0
	.set _ZN2at6native12_GLOBAL__N_135GammaBetaBackwardCUDAKernelTemplateIN3c108BFloat16EfLj32ELj32ELj256ELb0ELb1ELb0EEEvllPKT_S7_PKT0_SA_PS5_SB_.has_recursion, 0
	.set _ZN2at6native12_GLOBAL__N_135GammaBetaBackwardCUDAKernelTemplateIN3c108BFloat16EfLj32ELj32ELj256ELb0ELb1ELb0EEEvllPKT_S7_PKT0_SA_PS5_SB_.has_indirect_call, 0
	.section	.AMDGPU.csdata,"",@progbits
; Kernel info:
; codeLenInByte = 2180
; TotalNumSgprs: 36
; NumVgprs: 34
; ScratchSize: 0
; MemoryBound: 0
; FloatMode: 240
; IeeeMode: 1
; LDSByteSize: 0 bytes/workgroup (compile time only)
; SGPRBlocks: 4
; VGPRBlocks: 8
; NumSGPRsForWavesPerEU: 36
; NumVGPRsForWavesPerEU: 34
; Occupancy: 7
; WaveLimiterHint : 0
; COMPUTE_PGM_RSRC2:SCRATCH_EN: 0
; COMPUTE_PGM_RSRC2:USER_SGPR: 6
; COMPUTE_PGM_RSRC2:TRAP_HANDLER: 0
; COMPUTE_PGM_RSRC2:TGID_X_EN: 1
; COMPUTE_PGM_RSRC2:TGID_Y_EN: 1
; COMPUTE_PGM_RSRC2:TGID_Z_EN: 0
; COMPUTE_PGM_RSRC2:TIDIG_COMP_CNT: 1
	.section	.text._ZN2at6native12_GLOBAL__N_135GammaBetaBackwardCUDAKernelTemplateIN3c108BFloat16EfLj32ELj32ELj256ELb0ELb0ELb0EEEvllPKT_S7_PKT0_SA_PS5_SB_,"axG",@progbits,_ZN2at6native12_GLOBAL__N_135GammaBetaBackwardCUDAKernelTemplateIN3c108BFloat16EfLj32ELj32ELj256ELb0ELb0ELb0EEEvllPKT_S7_PKT0_SA_PS5_SB_,comdat
	.globl	_ZN2at6native12_GLOBAL__N_135GammaBetaBackwardCUDAKernelTemplateIN3c108BFloat16EfLj32ELj32ELj256ELb0ELb0ELb0EEEvllPKT_S7_PKT0_SA_PS5_SB_ ; -- Begin function _ZN2at6native12_GLOBAL__N_135GammaBetaBackwardCUDAKernelTemplateIN3c108BFloat16EfLj32ELj32ELj256ELb0ELb0ELb0EEEvllPKT_S7_PKT0_SA_PS5_SB_
	.p2align	8
	.type	_ZN2at6native12_GLOBAL__N_135GammaBetaBackwardCUDAKernelTemplateIN3c108BFloat16EfLj32ELj32ELj256ELb0ELb0ELb0EEEvllPKT_S7_PKT0_SA_PS5_SB_,@function
_ZN2at6native12_GLOBAL__N_135GammaBetaBackwardCUDAKernelTemplateIN3c108BFloat16EfLj32ELj32ELj256ELb0ELb0ELb0EEEvllPKT_S7_PKT0_SA_PS5_SB_: ; @_ZN2at6native12_GLOBAL__N_135GammaBetaBackwardCUDAKernelTemplateIN3c108BFloat16EfLj32ELj32ELj256ELb0ELb0ELb0EEEvllPKT_S7_PKT0_SA_PS5_SB_
; %bb.0:
	s_mov_b64 s[38:39], s[2:3]
	s_mov_b64 s[36:37], s[0:1]
	s_add_u32 s36, s36, s8
	s_load_dwordx8 s[12:19], s[4:5], 0x0
	s_load_dwordx4 s[20:23], s[4:5], 0x20
	s_addc_u32 s37, s37, 0
	s_lshl_b32 s24, s7, 8
	s_lshl_b32 s33, s6, 5
	s_mov_b32 s25, 0
	v_mov_b32_e32 v2, s24
	s_or_b32 s0, s33, 31
	v_mov_b32_e32 v3, s25
	v_mov_b32_e32 v10, s0
	v_mov_b32_e32 v11, 0
	s_waitcnt lgkmcnt(0)
	v_cmp_gt_i64_e64 s[0:1], s[12:13], v[2:3]
	v_cmp_le_i64_e32 vcc, s[14:15], v[10:11]
	v_mov_b32_e32 v61, v0
	v_cndmask_b32_e64 v0, 0, 1, s[0:1]
	v_cmp_ne_u32_e64 s[0:1], 1, v0
	s_cbranch_vccz .LBB115_49
; %bb.1:
	s_and_b64 vcc, exec, s[0:1]
	v_mov_b32_e32 v60, 0
	s_cbranch_vccnz .LBB115_50
; %bb.2:
	v_lshlrev_b32_e32 v0, 3, v1
	v_add_co_u32_e32 v5, vcc, s24, v0
	v_addc_co_u32_e64 v6, s[2:3], 0, 0, vcc
	v_mul_lo_u32 v10, s15, v5
	v_mul_lo_u32 v9, s14, v6
	v_mad_u64_u32 v[3:4], s[2:3], s14, v5, 0
	v_mov_b32_e32 v2, 0
	s_load_dword s7, s[4:5], 0x44
	v_add_u32_e32 v7, s33, v61
	v_mov_b32_e32 v8, v2
	v_add3_u32 v4, v4, v9, v10
	v_cmp_gt_i64_e64 s[2:3], s[14:15], v[7:8]
	v_lshlrev_b64 v[19:20], 1, v[7:8]
	v_lshlrev_b64 v[7:8], 1, v[3:4]
	s_add_u32 s10, s4, 64
	v_mov_b32_e32 v9, s17
	v_add_co_u32_e32 v62, vcc, s16, v7
	s_addc_u32 s11, s5, 0
	s_waitcnt lgkmcnt(0)
	s_lshl_b32 s7, s7, 8
	v_addc_co_u32_e32 v21, vcc, v9, v8, vcc
	s_mul_i32 s8, s15, s7
	s_mul_hi_u32 s9, s14, s7
	v_add_co_u32_e32 v9, vcc, 7, v5
	s_add_i32 s9, s9, s8
	s_mul_i32 s8, s14, s7
	v_addc_co_u32_e32 v10, vcc, 0, v6, vcc
	s_lshl_b64 s[26:27], s[8:9], 1
	v_mul_lo_u32 v12, s15, v9
	v_mul_lo_u32 v13, s14, v10
	v_mad_u64_u32 v[9:10], s[8:9], s14, v9, 0
	v_mov_b32_e32 v11, s19
	v_add_co_u32_e32 v22, vcc, s18, v7
	v_add3_u32 v10, v10, v13, v12
	v_addc_co_u32_e32 v23, vcc, v11, v8, vcc
	v_lshlrev_b64 v[7:8], 1, v[9:10]
	v_mov_b32_e32 v9, s17
	v_add_co_u32_e32 v24, vcc, s16, v7
	v_addc_co_u32_e32 v25, vcc, v9, v8, vcc
	v_add_co_u32_e32 v9, vcc, 6, v5
	v_addc_co_u32_e32 v10, vcc, 0, v6, vcc
	v_mul_lo_u32 v12, s15, v9
	v_mul_lo_u32 v13, s14, v10
	v_mad_u64_u32 v[9:10], s[8:9], s14, v9, 0
	v_add_co_u32_e32 v26, vcc, s18, v7
	v_add3_u32 v10, v10, v13, v12
	v_addc_co_u32_e32 v27, vcc, v11, v8, vcc
	v_lshlrev_b64 v[7:8], 1, v[9:10]
	v_mov_b32_e32 v9, s17
	v_add_co_u32_e32 v28, vcc, s16, v7
	v_addc_co_u32_e32 v29, vcc, v9, v8, vcc
	v_add_co_u32_e32 v9, vcc, 5, v5
	v_addc_co_u32_e32 v10, vcc, 0, v6, vcc
	v_mul_lo_u32 v12, s15, v9
	v_mul_lo_u32 v13, s14, v10
	v_mad_u64_u32 v[9:10], s[8:9], s14, v9, 0
	v_add_co_u32_e32 v30, vcc, s18, v7
	v_add3_u32 v10, v10, v13, v12
	v_addc_co_u32_e32 v31, vcc, v11, v8, vcc
	v_lshlrev_b64 v[7:8], 1, v[9:10]
	v_mov_b32_e32 v9, s17
	v_add_co_u32_e32 v32, vcc, s16, v7
	v_addc_co_u32_e32 v33, vcc, v9, v8, vcc
	v_add_co_u32_e32 v9, vcc, 4, v5
	v_addc_co_u32_e32 v10, vcc, 0, v6, vcc
	v_mul_lo_u32 v12, s15, v9
	v_mul_lo_u32 v13, s14, v10
	v_mad_u64_u32 v[9:10], s[8:9], s14, v9, 0
	v_add_co_u32_e32 v34, vcc, s18, v7
	v_add3_u32 v10, v10, v13, v12
	v_addc_co_u32_e32 v35, vcc, v11, v8, vcc
	v_lshlrev_b64 v[7:8], 1, v[9:10]
	v_mov_b32_e32 v9, s17
	v_add_co_u32_e32 v36, vcc, s16, v7
	v_addc_co_u32_e32 v37, vcc, v9, v8, vcc
	v_add_co_u32_e32 v9, vcc, 3, v5
	v_addc_co_u32_e32 v10, vcc, 0, v6, vcc
	v_mul_lo_u32 v12, s15, v9
	v_mul_lo_u32 v13, s14, v10
	v_mad_u64_u32 v[9:10], s[8:9], s14, v9, 0
	v_add_co_u32_e32 v38, vcc, s18, v7
	v_add3_u32 v10, v10, v13, v12
	v_addc_co_u32_e32 v39, vcc, v11, v8, vcc
	v_lshlrev_b64 v[7:8], 1, v[9:10]
	v_mov_b32_e32 v9, s17
	v_add_co_u32_e32 v40, vcc, s16, v7
	v_addc_co_u32_e32 v41, vcc, v9, v8, vcc
	v_add_co_u32_e32 v5, vcc, 2, v5
	v_addc_co_u32_e32 v6, vcc, 0, v6, vcc
	v_mul_lo_u32 v10, s15, v5
	v_mul_lo_u32 v11, s14, v6
	v_mad_u64_u32 v[5:6], s[8:9], s14, v5, 0
	v_mov_b32_e32 v9, s19
	v_add_co_u32_e32 v42, vcc, s18, v7
	v_add3_u32 v6, v6, v11, v10
	v_lshlrev_b64 v[5:6], 1, v[5:6]
	v_addc_co_u32_e32 v43, vcc, v9, v8, vcc
	v_mov_b32_e32 v7, s17
	v_add_co_u32_e32 v44, vcc, s16, v5
	v_addc_co_u32_e32 v45, vcc, v7, v6, vcc
	v_mov_b32_e32 v7, s19
	v_add_co_u32_e32 v46, vcc, s18, v5
	;; [unrolled: 3-line block ×3, first 2 shown]
	v_addc_co_u32_e32 v4, vcc, v4, v5, vcc
	v_lshlrev_b64 v[3:4], 1, v[3:4]
	v_mov_b32_e32 v5, s17
	v_add_co_u32_e32 v48, vcc, s16, v3
	v_addc_co_u32_e32 v49, vcc, v5, v4, vcc
	v_add_co_u32_e32 v50, vcc, s18, v3
	v_mbcnt_lo_u32_b32 v3, -1, 0
	v_mbcnt_hi_u32_b32 v3, -1, v3
	v_mov_b32_e32 v5, s19
	s_add_u32 s28, s24, 0xff
	v_lshlrev_b32_e32 v3, 2, v3
	v_addc_co_u32_e32 v51, vcc, v5, v4, vcc
	s_addc_u32 s29, 0, 0
	v_and_b32_e32 v52, 0x100, v3
	v_mov_b32_e32 v60, 0
	v_mov_b32_e32 v53, 0
	s_mov_b64 s[30:31], s[24:25]
.LBB115_3:                              ; =>This Inner Loop Header: Depth=1
	v_mov_b32_e32 v3, s12
	v_mov_b32_e32 v4, s13
	v_cmp_ge_i64_e32 vcc, s[28:29], v[3:4]
	v_mov_b32_e32 v3, s29
	v_add_co_u32_e64 v54, s[8:9], s28, v0
	v_addc_co_u32_e64 v55, s[8:9], 0, v3, s[8:9]
	s_mov_b64 s[8:9], -1
	s_and_b64 vcc, exec, vcc
                                        ; implicit-def: $vgpr11_vgpr12_vgpr13_vgpr14_vgpr15_vgpr16_vgpr17_vgpr18
                                        ; implicit-def: $vgpr3_vgpr4_vgpr5_vgpr6_vgpr7_vgpr8_vgpr9_vgpr10
                                        ; implicit-def: $vgpr56
                                        ; implicit-def: $vgpr4
                                        ; implicit-def: $vgpr11
                                        ; implicit-def: $vgpr3
	s_cbranch_vccz .LBB115_25
; %bb.4:                                ;   in Loop: Header=BB115_3 Depth=1
	s_load_dword s8, s[10:11], 0xc
	v_mov_b32_e32 v56, 0
	v_mov_b32_e32 v57, 0
	s_waitcnt lgkmcnt(0)
	s_and_b32 s8, s8, 0xffff
	v_mad_u32_u24 v3, v1, s8, v61
	v_and_b32_e32 v3, 63, v3
	v_cmp_gt_u32_e32 vcc, 8, v3
	s_and_saveexec_b64 s[8:9], vcc
	s_cbranch_execz .LBB115_8
; %bb.5:                                ;   in Loop: Header=BB115_3 Depth=1
	v_add_co_u32_e32 v3, vcc, v54, v3
	v_addc_co_u32_e32 v4, vcc, 0, v55, vcc
	v_add_co_u32_e32 v3, vcc, 0xffffff01, v3
	v_addc_co_u32_e32 v4, vcc, -1, v4, vcc
	v_cmp_gt_i64_e32 vcc, s[12:13], v[3:4]
	v_mov_b32_e32 v57, 0
	v_mov_b32_e32 v56, 0
	s_and_saveexec_b64 s[34:35], vcc
	s_cbranch_execz .LBB115_7
; %bb.6:                                ;   in Loop: Header=BB115_3 Depth=1
	v_lshlrev_b64 v[3:4], 2, v[3:4]
	v_mov_b32_e32 v6, s23
	v_add_co_u32_e32 v5, vcc, s22, v3
	v_addc_co_u32_e32 v6, vcc, v6, v4, vcc
	v_mov_b32_e32 v7, s21
	v_add_co_u32_e32 v3, vcc, s20, v3
	v_addc_co_u32_e32 v4, vcc, v7, v4, vcc
	global_load_dword v57, v[3:4], off
	global_load_dword v56, v[5:6], off
.LBB115_7:                              ;   in Loop: Header=BB115_3 Depth=1
	s_or_b64 exec, exec, s[34:35]
.LBB115_8:                              ;   in Loop: Header=BB115_3 Depth=1
	s_or_b64 exec, exec, s[8:9]
	v_add_co_u32_e32 v3, vcc, 0xffffff01, v54
	v_addc_co_u32_e32 v4, vcc, -1, v55, vcc
	v_mov_b32_e32 v9, v2
	v_cmp_gt_i64_e32 vcc, s[12:13], v[3:4]
	v_mov_b32_e32 v3, v2
	v_mov_b32_e32 v4, v2
	;; [unrolled: 1-line block ×15, first 2 shown]
	s_and_b64 s[34:35], s[2:3], vcc
	v_mov_b32_e32 v9, v8
	v_mov_b32_e32 v8, v7
	v_mov_b32_e32 v7, v6
	v_mov_b32_e32 v6, v5
	v_mov_b32_e32 v5, v4
	v_mov_b32_e32 v4, v3
	v_mov_b32_e32 v3, v2
	s_and_saveexec_b64 s[8:9], s[34:35]
	s_cbranch_execz .LBB115_10
; %bb.9:                                ;   in Loop: Header=BB115_3 Depth=1
	v_add_co_u32_e32 v3, vcc, v62, v19
	v_addc_co_u32_e32 v4, vcc, v21, v20, vcc
	global_load_ushort v11, v[3:4], off
	v_add_co_u32_e32 v3, vcc, v22, v19
	v_addc_co_u32_e32 v4, vcc, v23, v20, vcc
	global_load_ushort v18, v[3:4], off
	v_mov_b32_e32 v4, v2
	v_mov_b32_e32 v5, v2
	;; [unrolled: 1-line block ×13, first 2 shown]
	s_waitcnt vmcnt(1)
	v_lshlrev_b32_e32 v3, 16, v11
	s_waitcnt vmcnt(0)
	v_lshlrev_b32_e32 v11, 16, v18
	v_mov_b32_e32 v18, v2
.LBB115_10:                             ;   in Loop: Header=BB115_3 Depth=1
	s_or_b64 exec, exec, s[8:9]
	v_add_co_u32_e32 v58, vcc, 0xffffff02, v54
	v_addc_co_u32_e32 v59, vcc, -1, v55, vcc
	v_cmp_gt_i64_e32 vcc, s[12:13], v[58:59]
	s_and_b64 s[34:35], s[2:3], vcc
	s_and_saveexec_b64 s[8:9], s[34:35]
	s_cbranch_execz .LBB115_12
; %bb.11:                               ;   in Loop: Header=BB115_3 Depth=1
	v_add_co_u32_e32 v58, vcc, v48, v19
	v_addc_co_u32_e32 v59, vcc, v49, v20, vcc
	global_load_ushort v4, v[58:59], off
	v_add_co_u32_e32 v58, vcc, v50, v19
	v_addc_co_u32_e32 v59, vcc, v51, v20, vcc
	global_load_ushort v12, v[58:59], off
	s_waitcnt vmcnt(1)
	v_lshlrev_b32_e32 v4, 16, v4
	s_waitcnt vmcnt(0)
	v_lshlrev_b32_e32 v12, 16, v12
.LBB115_12:                             ;   in Loop: Header=BB115_3 Depth=1
	s_or_b64 exec, exec, s[8:9]
	v_add_co_u32_e32 v58, vcc, 0xffffff03, v54
	v_addc_co_u32_e32 v59, vcc, -1, v55, vcc
	v_cmp_gt_i64_e32 vcc, s[12:13], v[58:59]
	s_and_b64 s[34:35], s[2:3], vcc
	s_and_saveexec_b64 s[8:9], s[34:35]
	s_cbranch_execz .LBB115_14
; %bb.13:                               ;   in Loop: Header=BB115_3 Depth=1
	v_add_co_u32_e32 v58, vcc, v44, v19
	v_addc_co_u32_e32 v59, vcc, v45, v20, vcc
	global_load_ushort v5, v[58:59], off
	v_add_co_u32_e32 v58, vcc, v46, v19
	v_addc_co_u32_e32 v59, vcc, v47, v20, vcc
	global_load_ushort v13, v[58:59], off
	s_waitcnt vmcnt(1)
	v_lshlrev_b32_e32 v5, 16, v5
	s_waitcnt vmcnt(0)
	v_lshlrev_b32_e32 v13, 16, v13
.LBB115_14:                             ;   in Loop: Header=BB115_3 Depth=1
	;; [unrolled: 19-line block ×7, first 2 shown]
	s_or_b64 exec, exec, s[8:9]
	s_waitcnt vmcnt(1)
	ds_bpermute_b32 v59, v52, v57
	s_waitcnt vmcnt(0)
	ds_bpermute_b32 v58, v52, v56
	s_mov_b64 s[8:9], 0
	s_waitcnt lgkmcnt(1)
	v_sub_f32_e32 v11, v11, v59
	ds_bpermute_b32 v59, v52, v57 offset:4
	v_mul_f32_e32 v11, v3, v11
	s_waitcnt lgkmcnt(1)
	v_fma_f32 v11, v11, v58, v53
	ds_bpermute_b32 v58, v52, v56 offset:4
	v_add_f32_e32 v3, v60, v3
	s_waitcnt lgkmcnt(1)
	v_sub_f32_e32 v12, v12, v59
	v_mul_f32_e32 v12, v4, v12
	v_add_f32_e32 v3, v4, v3
	s_waitcnt lgkmcnt(0)
	v_fmac_f32_e32 v11, v12, v58
	ds_bpermute_b32 v12, v52, v57 offset:8
	ds_bpermute_b32 v4, v52, v56 offset:8
	v_add_f32_e32 v3, v5, v3
	v_add_f32_e32 v3, v6, v3
	;; [unrolled: 1-line block ×3, first 2 shown]
	s_waitcnt lgkmcnt(1)
	v_sub_f32_e32 v12, v13, v12
	v_mul_f32_e32 v12, v5, v12
	ds_bpermute_b32 v5, v52, v57 offset:12
	s_waitcnt lgkmcnt(1)
	v_fmac_f32_e32 v11, v12, v4
	ds_bpermute_b32 v4, v52, v56 offset:12
	v_add_f32_e32 v3, v8, v3
	v_add_f32_e32 v3, v9, v3
	s_waitcnt lgkmcnt(1)
	v_sub_f32_e32 v5, v14, v5
	v_mul_f32_e32 v5, v6, v5
	s_waitcnt lgkmcnt(0)
	v_fmac_f32_e32 v11, v5, v4
	ds_bpermute_b32 v5, v52, v57 offset:16
	ds_bpermute_b32 v4, v52, v56 offset:16
	s_waitcnt lgkmcnt(1)
	v_sub_f32_e32 v5, v15, v5
	v_mul_f32_e32 v5, v7, v5
	s_waitcnt lgkmcnt(0)
	v_fmac_f32_e32 v11, v5, v4
	ds_bpermute_b32 v5, v52, v57 offset:20
	ds_bpermute_b32 v4, v52, v56 offset:20
	;; [unrolled: 7-line block ×3, first 2 shown]
	ds_bpermute_b32 v56, v52, v56 offset:28
	s_waitcnt lgkmcnt(2)
	v_sub_f32_e32 v5, v17, v5
	v_mul_f32_e32 v5, v9, v5
	s_waitcnt lgkmcnt(1)
	v_fmac_f32_e32 v11, v5, v4
	ds_bpermute_b32 v4, v52, v57 offset:28
.LBB115_25:                             ;   in Loop: Header=BB115_3 Depth=1
	s_and_b64 vcc, exec, s[8:9]
	s_cbranch_vccz .LBB115_40
; %bb.26:                               ;   in Loop: Header=BB115_3 Depth=1
	s_load_dword s8, s[10:11], 0x0
	s_waitcnt lgkmcnt(0)
	v_mov_b32_e32 v56, 0
	v_mov_b32_e32 v57, 0
	s_cmp_lt_u32 s6, s8
	s_cselect_b32 s8, 12, 18
	s_add_u32 s8, s10, s8
	s_addc_u32 s9, s11, 0
	global_load_ushort v3, v2, s[8:9]
	s_waitcnt vmcnt(0)
	v_mad_u32_u24 v3, v1, v3, v61
	v_and_b32_e32 v3, 63, v3
	v_cmp_gt_u32_e32 vcc, 8, v3
	s_and_saveexec_b64 s[8:9], vcc
	s_cbranch_execz .LBB115_30
; %bb.27:                               ;   in Loop: Header=BB115_3 Depth=1
	v_add_co_u32_e32 v3, vcc, v54, v3
	v_addc_co_u32_e32 v4, vcc, 0, v55, vcc
	v_add_co_u32_e32 v3, vcc, 0xffffff01, v3
	v_addc_co_u32_e32 v4, vcc, -1, v4, vcc
	v_cmp_gt_i64_e32 vcc, s[12:13], v[3:4]
	v_mov_b32_e32 v57, 0
	v_mov_b32_e32 v56, 0
	s_and_saveexec_b64 s[34:35], vcc
	s_cbranch_execz .LBB115_29
; %bb.28:                               ;   in Loop: Header=BB115_3 Depth=1
	v_lshlrev_b64 v[3:4], 2, v[3:4]
	v_mov_b32_e32 v6, s23
	v_add_co_u32_e32 v5, vcc, s22, v3
	v_addc_co_u32_e32 v6, vcc, v6, v4, vcc
	v_mov_b32_e32 v7, s21
	v_add_co_u32_e32 v3, vcc, s20, v3
	v_addc_co_u32_e32 v4, vcc, v7, v4, vcc
	global_load_dword v57, v[3:4], off
	global_load_dword v56, v[5:6], off
.LBB115_29:                             ;   in Loop: Header=BB115_3 Depth=1
	s_or_b64 exec, exec, s[34:35]
.LBB115_30:                             ;   in Loop: Header=BB115_3 Depth=1
	s_or_b64 exec, exec, s[8:9]
	v_mov_b32_e32 v9, v2
	v_mov_b32_e32 v3, v2
	;; [unrolled: 1-line block ×23, first 2 shown]
	s_and_saveexec_b64 s[8:9], s[2:3]
	s_cbranch_execnz .LBB115_42
; %bb.31:                               ;   in Loop: Header=BB115_3 Depth=1
	s_or_b64 exec, exec, s[8:9]
	s_and_saveexec_b64 s[8:9], s[2:3]
	s_cbranch_execnz .LBB115_43
.LBB115_32:                             ;   in Loop: Header=BB115_3 Depth=1
	s_or_b64 exec, exec, s[8:9]
	s_and_saveexec_b64 s[8:9], s[2:3]
	s_cbranch_execnz .LBB115_44
.LBB115_33:                             ;   in Loop: Header=BB115_3 Depth=1
	s_or_b64 exec, exec, s[8:9]
	s_and_saveexec_b64 s[8:9], s[2:3]
	s_cbranch_execnz .LBB115_45
.LBB115_34:                             ;   in Loop: Header=BB115_3 Depth=1
	s_or_b64 exec, exec, s[8:9]
	s_and_saveexec_b64 s[8:9], s[2:3]
	s_cbranch_execnz .LBB115_46
.LBB115_35:                             ;   in Loop: Header=BB115_3 Depth=1
	s_or_b64 exec, exec, s[8:9]
	s_and_saveexec_b64 s[8:9], s[2:3]
	s_cbranch_execnz .LBB115_47
.LBB115_36:                             ;   in Loop: Header=BB115_3 Depth=1
	s_or_b64 exec, exec, s[8:9]
	s_and_saveexec_b64 s[8:9], s[2:3]
	s_cbranch_execnz .LBB115_48
.LBB115_37:                             ;   in Loop: Header=BB115_3 Depth=1
	s_or_b64 exec, exec, s[8:9]
	s_and_saveexec_b64 s[8:9], s[2:3]
	s_cbranch_execz .LBB115_39
.LBB115_38:                             ;   in Loop: Header=BB115_3 Depth=1
	v_add_co_u32_e32 v54, vcc, v24, v19
	v_addc_co_u32_e32 v55, vcc, v25, v20, vcc
	global_load_ushort v10, v[54:55], off
	v_add_co_u32_e32 v54, vcc, v26, v19
	v_addc_co_u32_e32 v55, vcc, v27, v20, vcc
	global_load_ushort v18, v[54:55], off
	s_waitcnt vmcnt(1)
	v_lshlrev_b32_e32 v10, 16, v10
	s_waitcnt vmcnt(0)
	v_lshlrev_b32_e32 v18, 16, v18
.LBB115_39:                             ;   in Loop: Header=BB115_3 Depth=1
	s_or_b64 exec, exec, s[8:9]
	s_waitcnt vmcnt(1)
	ds_bpermute_b32 v54, v52, v57
	s_waitcnt vmcnt(0)
	ds_bpermute_b32 v55, v52, v56
	ds_bpermute_b32 v59, v52, v57 offset:4
	v_add_f32_e32 v58, v60, v3
	ds_bpermute_b32 v60, v52, v56 offset:4
	s_waitcnt lgkmcnt(3)
	v_sub_f32_e32 v11, v11, v54
	v_mul_f32_e32 v3, v3, v11
	s_waitcnt lgkmcnt(2)
	v_fmac_f32_e32 v53, v3, v55
	s_waitcnt lgkmcnt(1)
	v_sub_f32_e32 v3, v12, v59
	ds_bpermute_b32 v11, v52, v57 offset:8
	v_mul_f32_e32 v3, v4, v3
	s_waitcnt lgkmcnt(1)
	v_fmac_f32_e32 v53, v3, v60
	ds_bpermute_b32 v3, v52, v56 offset:8
	ds_bpermute_b32 v12, v52, v57 offset:12
	s_waitcnt lgkmcnt(2)
	v_sub_f32_e32 v11, v13, v11
	v_mul_f32_e32 v11, v5, v11
	v_add_f32_e32 v4, v4, v58
	s_waitcnt lgkmcnt(1)
	v_fmac_f32_e32 v53, v11, v3
	ds_bpermute_b32 v3, v52, v56 offset:12
	v_add_f32_e32 v4, v5, v4
	s_waitcnt lgkmcnt(1)
	v_sub_f32_e32 v5, v14, v12
	ds_bpermute_b32 v11, v52, v57 offset:16
	v_mul_f32_e32 v5, v6, v5
	s_waitcnt lgkmcnt(1)
	v_fmac_f32_e32 v53, v5, v3
	ds_bpermute_b32 v3, v52, v56 offset:16
	v_add_f32_e32 v4, v6, v4
	s_waitcnt lgkmcnt(1)
	v_sub_f32_e32 v5, v15, v11
	ds_bpermute_b32 v6, v52, v57 offset:20
	v_mul_f32_e32 v5, v7, v5
	s_waitcnt lgkmcnt(1)
	v_fmac_f32_e32 v53, v5, v3
	ds_bpermute_b32 v3, v52, v56 offset:20
	v_add_f32_e32 v4, v7, v4
	s_waitcnt lgkmcnt(1)
	v_sub_f32_e32 v5, v16, v6
	ds_bpermute_b32 v6, v52, v57 offset:24
	v_mul_f32_e32 v5, v8, v5
	s_waitcnt lgkmcnt(1)
	v_fmac_f32_e32 v53, v5, v3
	ds_bpermute_b32 v5, v52, v56 offset:24
	v_add_f32_e32 v3, v8, v4
	ds_bpermute_b32 v56, v52, v56 offset:28
	ds_bpermute_b32 v4, v52, v57 offset:28
	s_waitcnt lgkmcnt(3)
	v_sub_f32_e32 v6, v17, v6
	v_mul_f32_e32 v6, v9, v6
	s_waitcnt lgkmcnt(2)
	v_fmac_f32_e32 v53, v6, v5
	v_add_f32_e32 v3, v9, v3
	v_mov_b32_e32 v11, v53
.LBB115_40:                             ;   in Loop: Header=BB115_3 Depth=1
	v_add_f32_e32 v60, v3, v10
	v_mov_b32_e32 v3, s27
	v_add_co_u32_e32 v62, vcc, s26, v62
	v_addc_co_u32_e32 v21, vcc, v21, v3, vcc
	v_add_co_u32_e32 v22, vcc, s26, v22
	v_addc_co_u32_e32 v23, vcc, v23, v3, vcc
	;; [unrolled: 2-line block ×14, first 2 shown]
	v_add_co_u32_e32 v48, vcc, s26, v48
	s_waitcnt lgkmcnt(0)
	v_sub_f32_e32 v4, v18, v4
	v_addc_co_u32_e32 v49, vcc, v49, v3, vcc
	v_mul_f32_e32 v4, v10, v4
	v_add_co_u32_e32 v50, vcc, s26, v50
	v_fmac_f32_e32 v11, v4, v56
	s_add_u32 s30, s30, s7
	v_addc_co_u32_e32 v51, vcc, v51, v3, vcc
	v_mov_b32_e32 v3, s12
	s_addc_u32 s31, s31, 0
	v_mov_b32_e32 v4, s13
	v_cmp_lt_i64_e32 vcc, s[30:31], v[3:4]
	s_add_u32 s28, s28, s7
	s_addc_u32 s29, s29, 0
	s_cbranch_vccz .LBB115_50
; %bb.41:                               ;   in Loop: Header=BB115_3 Depth=1
	v_mov_b32_e32 v53, v11
	s_branch .LBB115_3
.LBB115_42:                             ;   in Loop: Header=BB115_3 Depth=1
	v_add_co_u32_e32 v3, vcc, v62, v19
	v_addc_co_u32_e32 v4, vcc, v21, v20, vcc
	global_load_ushort v11, v[3:4], off
	v_add_co_u32_e32 v3, vcc, v22, v19
	v_addc_co_u32_e32 v4, vcc, v23, v20, vcc
	global_load_ushort v18, v[3:4], off
	v_mov_b32_e32 v4, v2
	v_mov_b32_e32 v5, v2
	;; [unrolled: 1-line block ×13, first 2 shown]
	s_waitcnt vmcnt(1)
	v_lshlrev_b32_e32 v3, 16, v11
	s_waitcnt vmcnt(0)
	v_lshlrev_b32_e32 v11, 16, v18
	v_mov_b32_e32 v18, v2
	s_or_b64 exec, exec, s[8:9]
	s_and_saveexec_b64 s[8:9], s[2:3]
	s_cbranch_execz .LBB115_32
.LBB115_43:                             ;   in Loop: Header=BB115_3 Depth=1
	v_add_co_u32_e32 v54, vcc, v48, v19
	v_addc_co_u32_e32 v55, vcc, v49, v20, vcc
	global_load_ushort v4, v[54:55], off
	v_add_co_u32_e32 v54, vcc, v50, v19
	v_addc_co_u32_e32 v55, vcc, v51, v20, vcc
	global_load_ushort v12, v[54:55], off
	s_waitcnt vmcnt(1)
	v_lshlrev_b32_e32 v4, 16, v4
	s_waitcnt vmcnt(0)
	v_lshlrev_b32_e32 v12, 16, v12
	s_or_b64 exec, exec, s[8:9]
	s_and_saveexec_b64 s[8:9], s[2:3]
	s_cbranch_execz .LBB115_33
.LBB115_44:                             ;   in Loop: Header=BB115_3 Depth=1
	v_add_co_u32_e32 v54, vcc, v44, v19
	v_addc_co_u32_e32 v55, vcc, v45, v20, vcc
	global_load_ushort v5, v[54:55], off
	v_add_co_u32_e32 v54, vcc, v46, v19
	v_addc_co_u32_e32 v55, vcc, v47, v20, vcc
	global_load_ushort v13, v[54:55], off
	s_waitcnt vmcnt(1)
	v_lshlrev_b32_e32 v5, 16, v5
	s_waitcnt vmcnt(0)
	v_lshlrev_b32_e32 v13, 16, v13
	s_or_b64 exec, exec, s[8:9]
	s_and_saveexec_b64 s[8:9], s[2:3]
	s_cbranch_execz .LBB115_34
.LBB115_45:                             ;   in Loop: Header=BB115_3 Depth=1
	v_add_co_u32_e32 v54, vcc, v40, v19
	v_addc_co_u32_e32 v55, vcc, v41, v20, vcc
	global_load_ushort v6, v[54:55], off
	v_add_co_u32_e32 v54, vcc, v42, v19
	v_addc_co_u32_e32 v55, vcc, v43, v20, vcc
	global_load_ushort v14, v[54:55], off
	s_waitcnt vmcnt(1)
	v_lshlrev_b32_e32 v6, 16, v6
	s_waitcnt vmcnt(0)
	v_lshlrev_b32_e32 v14, 16, v14
	s_or_b64 exec, exec, s[8:9]
	s_and_saveexec_b64 s[8:9], s[2:3]
	s_cbranch_execz .LBB115_35
.LBB115_46:                             ;   in Loop: Header=BB115_3 Depth=1
	v_add_co_u32_e32 v54, vcc, v36, v19
	v_addc_co_u32_e32 v55, vcc, v37, v20, vcc
	global_load_ushort v7, v[54:55], off
	v_add_co_u32_e32 v54, vcc, v38, v19
	v_addc_co_u32_e32 v55, vcc, v39, v20, vcc
	global_load_ushort v15, v[54:55], off
	s_waitcnt vmcnt(1)
	v_lshlrev_b32_e32 v7, 16, v7
	s_waitcnt vmcnt(0)
	v_lshlrev_b32_e32 v15, 16, v15
	s_or_b64 exec, exec, s[8:9]
	s_and_saveexec_b64 s[8:9], s[2:3]
	s_cbranch_execz .LBB115_36
.LBB115_47:                             ;   in Loop: Header=BB115_3 Depth=1
	v_add_co_u32_e32 v54, vcc, v32, v19
	v_addc_co_u32_e32 v55, vcc, v33, v20, vcc
	global_load_ushort v8, v[54:55], off
	v_add_co_u32_e32 v54, vcc, v34, v19
	v_addc_co_u32_e32 v55, vcc, v35, v20, vcc
	global_load_ushort v16, v[54:55], off
	s_waitcnt vmcnt(1)
	v_lshlrev_b32_e32 v8, 16, v8
	s_waitcnt vmcnt(0)
	v_lshlrev_b32_e32 v16, 16, v16
	s_or_b64 exec, exec, s[8:9]
	s_and_saveexec_b64 s[8:9], s[2:3]
	s_cbranch_execz .LBB115_37
.LBB115_48:                             ;   in Loop: Header=BB115_3 Depth=1
	v_add_co_u32_e32 v54, vcc, v28, v19
	v_addc_co_u32_e32 v55, vcc, v29, v20, vcc
	global_load_ushort v9, v[54:55], off
	v_add_co_u32_e32 v54, vcc, v30, v19
	v_addc_co_u32_e32 v55, vcc, v31, v20, vcc
	global_load_ushort v17, v[54:55], off
	s_waitcnt vmcnt(1)
	v_lshlrev_b32_e32 v9, 16, v9
	s_waitcnt vmcnt(0)
	v_lshlrev_b32_e32 v17, 16, v17
	s_or_b64 exec, exec, s[8:9]
	s_and_saveexec_b64 s[8:9], s[2:3]
	s_cbranch_execnz .LBB115_38
	s_branch .LBB115_39
.LBB115_49:
                                        ; implicit-def: $vgpr11
                                        ; implicit-def: $vgpr60
	s_branch .LBB115_51
.LBB115_50:
	s_cbranch_execnz .LBB115_84
.LBB115_51:
	v_mov_b32_e32 v11, 0
	s_and_b64 vcc, exec, s[0:1]
	v_mov_b32_e32 v60, 0
	s_cbranch_vccnz .LBB115_84
; %bb.52:
	v_lshlrev_b32_e32 v0, 3, v1
	buffer_store_dword v0, off, s[36:39], 0 offset:104 ; 4-byte Folded Spill
	v_add_co_u32_e32 v0, vcc, s24, v0
	v_addc_co_u32_e64 v17, s[0:1], 0, 0, vcc
	v_mul_lo_u32 v2, s15, v0
	v_mul_lo_u32 v3, s14, v17
	v_mad_u64_u32 v[4:5], s[0:1], s14, v0, 0
	s_load_dword s2, s[4:5], 0x44
	s_add_u32 s26, s4, 64
	v_add3_u32 v5, v5, v3, v2
	v_lshlrev_b64 v[2:3], 1, v[4:5]
	s_addc_u32 s27, s5, 0
	s_waitcnt lgkmcnt(0)
	s_lshl_b32 s7, s2, 8
	v_mov_b32_e32 v6, s17
	v_add_co_u32_e32 v7, vcc, s16, v2
	s_mul_i32 s0, s15, s7
	s_mul_hi_u32 s1, s14, s7
	v_addc_co_u32_e32 v6, vcc, v6, v3, vcc
	s_add_i32 s1, s1, s0
	s_mul_i32 s0, s14, s7
	buffer_store_dword v6, off, s[36:39], 0 offset:4 ; 4-byte Folded Spill
	s_lshl_b64 s[28:29], s[0:1], 1
	v_mov_b32_e32 v6, s19
	v_add_co_u32_e32 v2, vcc, s18, v2
	buffer_store_dword v2, off, s[36:39], 0 offset:8 ; 4-byte Folded Spill
	v_addc_co_u32_e32 v2, vcc, v6, v3, vcc
	s_add_u32 s30, s24, 0xff
	buffer_store_dword v2, off, s[36:39], 0 offset:12 ; 4-byte Folded Spill
	s_addc_u32 s31, 0, 0
	v_lshlrev_b32_e32 v2, 4, v1
	s_lshl_b64 s[0:1], s[24:25], 1
	v_mov_b32_e32 v3, s1
	v_add_co_u32_e32 v6, vcc, s0, v2
	buffer_store_dword v7, off, s[36:39], 0 ; 4-byte Folded Spill
	v_addc_co_u32_e32 v7, vcc, 0, v3, vcc
	v_add_co_u32_e32 v8, vcc, 2, v6
	v_addc_co_u32_e32 v9, vcc, 0, v7, vcc
	v_mov_b32_e32 v2, s16
	v_mul_lo_u32 v12, s14, v9
	v_mov_b32_e32 v9, s18
	v_mov_b32_e32 v3, s17
	;; [unrolled: 1-line block ×3, first 2 shown]
	v_mad_u64_u32 v[19:20], s[0:1], s14, v8, v[2:3]
	v_mul_lo_u32 v13, s15, v8
	v_mad_u64_u32 v[21:22], s[0:1], s14, v8, v[9:10]
	v_add_co_u32_e32 v8, vcc, 4, v6
	v_addc_co_u32_e32 v14, vcc, 0, v7, vcc
	v_mov_b32_e32 v11, s15
	v_add_co_u32_e32 v4, vcc, s14, v4
	v_addc_co_u32_e32 v5, vcc, v5, v11, vcc
	v_mul_lo_u32 v15, s15, v8
	v_mad_u64_u32 v[23:24], s[0:1], s14, v8, v[2:3]
	v_mad_u64_u32 v[25:26], s[0:1], s14, v8, v[9:10]
	v_add_co_u32_e32 v8, vcc, 6, v6
	v_addc_co_u32_e32 v11, vcc, 0, v7, vcc
	v_add3_u32 v20, v13, v20, v12
	v_add3_u32 v22, v13, v22, v12
	v_mul_lo_u32 v11, s14, v11
	v_mul_lo_u32 v12, s15, v8
	v_mad_u64_u32 v[27:28], s[0:1], s14, v8, v[2:3]
	v_mad_u64_u32 v[29:30], s[0:1], s14, v8, v[9:10]
	v_add_co_u32_e32 v8, vcc, 8, v6
	v_mul_lo_u32 v14, s14, v14
	v_addc_co_u32_e32 v13, vcc, 0, v7, vcc
	v_mul_lo_u32 v16, s15, v8
	v_mad_u64_u32 v[31:32], s[0:1], s14, v8, v[2:3]
	v_mad_u64_u32 v[33:34], s[0:1], s14, v8, v[9:10]
	v_add_co_u32_e32 v8, vcc, 10, v6
	v_add3_u32 v28, v12, v28, v11
	v_add3_u32 v30, v12, v30, v11
	v_addc_co_u32_e32 v11, vcc, 0, v7, vcc
	v_mul_lo_u32 v12, s15, v8
	v_mad_u64_u32 v[35:36], s[0:1], s14, v8, v[2:3]
	v_mad_u64_u32 v[37:38], s[0:1], s14, v8, v[9:10]
	v_add_co_u32_e32 v8, vcc, 12, v6
	v_add3_u32 v24, v15, v24, v14
	v_add3_u32 v26, v15, v26, v14
	v_addc_co_u32_e32 v14, vcc, 0, v7, vcc
	v_add_co_u32_e32 v6, vcc, 14, v6
	v_addc_co_u32_e32 v7, vcc, 0, v7, vcc
	v_mad_u64_u32 v[39:40], s[0:1], s14, v8, v[2:3]
	v_mad_u64_u32 v[43:44], s[0:1], s14, v6, v[2:3]
	v_add_co_u32_e32 v2, vcc, 7, v0
	v_addc_co_u32_e32 v3, vcc, 0, v17, vcc
	v_mul_lo_u32 v15, s15, v8
	v_mad_u64_u32 v[41:42], s[0:1], s14, v8, v[9:10]
	v_mad_u64_u32 v[45:46], s[0:1], s14, v6, v[9:10]
	v_mul_lo_u32 v8, s14, v3
	v_mul_lo_u32 v9, s15, v2
	v_mad_u64_u32 v[2:3], s[0:1], s14, v2, 0
	v_mul_lo_u32 v7, s14, v7
	v_mul_lo_u32 v6, s15, v6
	v_add3_u32 v3, v3, v8, v9
	v_lshlrev_b64 v[2:3], 1, v[2:3]
	buffer_store_dword v1, off, s[36:39], 0 offset:100 ; 4-byte Folded Spill
	v_add3_u32 v44, v6, v44, v7
	v_add3_u32 v46, v6, v46, v7
	v_mov_b32_e32 v6, s17
	v_add_co_u32_e32 v1, vcc, s16, v2
	buffer_store_dword v1, off, s[36:39], 0 offset:16 ; 4-byte Folded Spill
	v_addc_co_u32_e32 v1, vcc, v6, v3, vcc
	v_add_co_u32_e32 v6, vcc, 6, v0
	v_addc_co_u32_e32 v7, vcc, 0, v17, vcc
	v_mul_lo_u32 v9, s14, v7
	v_mul_lo_u32 v10, s15, v6
	v_mad_u64_u32 v[6:7], s[0:1], s14, v6, 0
	buffer_store_dword v1, off, s[36:39], 0 offset:20 ; 4-byte Folded Spill
	v_mov_b32_e32 v8, s19
	v_add_co_u32_e32 v1, vcc, s18, v2
	v_add3_u32 v7, v7, v9, v10
	buffer_store_dword v1, off, s[36:39], 0 offset:24 ; 4-byte Folded Spill
	v_addc_co_u32_e32 v1, vcc, v8, v3, vcc
	v_lshlrev_b64 v[2:3], 1, v[6:7]
	buffer_store_dword v1, off, s[36:39], 0 offset:28 ; 4-byte Folded Spill
	v_mov_b32_e32 v6, s17
	v_add_co_u32_e32 v1, vcc, s16, v2
	buffer_store_dword v1, off, s[36:39], 0 offset:32 ; 4-byte Folded Spill
	v_addc_co_u32_e32 v1, vcc, v6, v3, vcc
	v_add_co_u32_e32 v6, vcc, 5, v0
	v_addc_co_u32_e32 v7, vcc, 0, v17, vcc
	v_mul_lo_u32 v9, s14, v7
	v_mul_lo_u32 v10, s15, v6
	v_mad_u64_u32 v[6:7], s[0:1], s14, v6, 0
	buffer_store_dword v1, off, s[36:39], 0 offset:36 ; 4-byte Folded Spill
	v_add_co_u32_e32 v1, vcc, s18, v2
	v_add3_u32 v7, v7, v9, v10
	buffer_store_dword v1, off, s[36:39], 0 offset:40 ; 4-byte Folded Spill
	v_addc_co_u32_e32 v1, vcc, v8, v3, vcc
	v_lshlrev_b64 v[2:3], 1, v[6:7]
	buffer_store_dword v1, off, s[36:39], 0 offset:44 ; 4-byte Folded Spill
	v_mov_b32_e32 v6, s17
	v_add_co_u32_e32 v1, vcc, s16, v2
	buffer_store_dword v1, off, s[36:39], 0 offset:48 ; 4-byte Folded Spill
	v_addc_co_u32_e32 v1, vcc, v6, v3, vcc
	v_add_co_u32_e32 v6, vcc, 4, v0
	v_addc_co_u32_e32 v7, vcc, 0, v17, vcc
	v_mul_lo_u32 v9, s14, v7
	v_mul_lo_u32 v10, s15, v6
	v_mad_u64_u32 v[6:7], s[0:1], s14, v6, 0
	buffer_store_dword v1, off, s[36:39], 0 offset:52 ; 4-byte Folded Spill
	v_add_co_u32_e32 v1, vcc, s18, v2
	v_add3_u32 v7, v7, v9, v10
	buffer_store_dword v1, off, s[36:39], 0 offset:56 ; 4-byte Folded Spill
	v_addc_co_u32_e32 v1, vcc, v8, v3, vcc
	v_lshlrev_b64 v[2:3], 1, v[6:7]
	buffer_store_dword v1, off, s[36:39], 0 offset:60 ; 4-byte Folded Spill
	v_mov_b32_e32 v6, s17
	v_add_co_u32_e32 v1, vcc, s16, v2
	buffer_store_dword v1, off, s[36:39], 0 offset:64 ; 4-byte Folded Spill
	v_addc_co_u32_e32 v1, vcc, v6, v3, vcc
	buffer_store_dword v1, off, s[36:39], 0 offset:68 ; 4-byte Folded Spill
	v_mov_b32_e32 v6, s19
	v_add_co_u32_e32 v1, vcc, s18, v2
	buffer_store_dword v1, off, s[36:39], 0 offset:72 ; 4-byte Folded Spill
	v_addc_co_u32_e32 v1, vcc, v6, v3, vcc
	v_add_co_u32_e32 v2, vcc, 3, v0
	v_addc_co_u32_e32 v3, vcc, 0, v17, vcc
	v_mul_lo_u32 v6, s14, v3
	v_mul_lo_u32 v7, s15, v2
	v_mad_u64_u32 v[2:3], s[0:1], s14, v2, 0
	buffer_store_dword v1, off, s[36:39], 0 offset:76 ; 4-byte Folded Spill
	v_mul_lo_u32 v13, s14, v13
	v_add3_u32 v3, v3, v6, v7
	v_lshlrev_b64 v[2:3], 1, v[2:3]
	v_mov_b32_e32 v6, s17
	v_add_co_u32_e32 v1, vcc, s16, v2
	buffer_store_dword v1, off, s[36:39], 0 offset:80 ; 4-byte Folded Spill
	v_addc_co_u32_e32 v1, vcc, v6, v3, vcc
	buffer_store_dword v1, off, s[36:39], 0 offset:84 ; 4-byte Folded Spill
	v_mov_b32_e32 v6, s19
	v_add_co_u32_e32 v1, vcc, s18, v2
	buffer_store_dword v1, off, s[36:39], 0 offset:92 ; 4-byte Folded Spill
	v_addc_co_u32_e32 v1, vcc, v6, v3, vcc
	v_add_co_u32_e32 v0, vcc, 2, v0
	buffer_store_dword v1, off, s[36:39], 0 offset:88 ; 4-byte Folded Spill
	v_addc_co_u32_e32 v1, vcc, 0, v17, vcc
	v_mul_lo_u32 v2, s14, v1
	v_mul_lo_u32 v3, s15, v0
	v_mad_u64_u32 v[0:1], s[0:1], s14, v0, 0
	v_mul_lo_u32 v11, s14, v11
	v_mul_lo_u32 v14, s14, v14
	v_add3_u32 v1, v1, v2, v3
	v_lshlrev_b64 v[0:1], 1, v[0:1]
	v_mov_b32_e32 v2, s17
	v_add_co_u32_e32 v58, vcc, s16, v0
	v_addc_co_u32_e32 v59, vcc, v2, v1, vcc
	v_mov_b32_e32 v2, s19
	v_add_co_u32_e32 v60, vcc, s18, v0
	v_mov_b32_e32 v3, v61
	v_addc_co_u32_e32 v61, vcc, v2, v1, vcc
	v_lshlrev_b64 v[0:1], 1, v[4:5]
	v_mov_b32_e32 v2, s17
	v_add_co_u32_e32 v62, vcc, s16, v0
	v_addc_co_u32_e32 v63, vcc, v2, v1, vcc
	v_mov_b32_e32 v2, s19
	v_add_co_u32_e32 v49, vcc, s18, v0
	v_addc_co_u32_e32 v50, vcc, v2, v1, vcc
	v_mov_b32_e32 v2, 0
	v_add_u32_e32 v0, s33, v3
	v_mov_b32_e32 v1, v2
	v_lshlrev_b64 v[47:48], 1, v[0:1]
	v_mbcnt_lo_u32_b32 v0, -1, 0
	v_mbcnt_hi_u32_b32 v0, -1, v0
	v_lshlrev_b32_e32 v0, 2, v0
	v_add3_u32 v32, v16, v32, v13
	v_add3_u32 v34, v16, v34, v13
	;; [unrolled: 1-line block ×6, first 2 shown]
	v_and_b32_e32 v0, 0x100, v0
	v_mov_b32_e32 v54, 0
	v_mov_b32_e32 v1, 0
	buffer_store_dword v3, off, s[36:39], 0 offset:96 ; 4-byte Folded Spill
.LBB115_53:                             ; =>This Inner Loop Header: Depth=1
	v_mov_b32_e32 v3, s12
	v_mov_b32_e32 v4, s13
	v_cmp_ge_i64_e32 vcc, s[30:31], v[3:4]
	buffer_load_dword v4, off, s[36:39], 0 offset:104 ; 4-byte Folded Reload
	v_mov_b32_e32 v3, s31
	s_and_b64 vcc, exec, vcc
                                        ; implicit-def: $vgpr5
                                        ; implicit-def: $vgpr11
	s_waitcnt vmcnt(0)
	v_add_co_u32_e64 v51, s[0:1], s30, v4
	v_addc_co_u32_e64 v52, s[0:1], 0, v3, s[0:1]
	s_mov_b64 s[0:1], -1
	s_cbranch_vccz .LBB115_75
; %bb.54:                               ;   in Loop: Header=BB115_53 Depth=1
	buffer_store_dword v54, off, s[36:39], 0 offset:108 ; 4-byte Folded Spill
	s_load_dword s0, s[26:27], 0xc
	buffer_load_dword v3, off, s[36:39], 0 offset:96 ; 4-byte Folded Reload
	buffer_load_dword v4, off, s[36:39], 0 offset:100 ; 4-byte Folded Reload
	v_mov_b32_e32 v55, 0
	v_mov_b32_e32 v53, 0
	s_waitcnt lgkmcnt(0)
	s_and_b32 s0, s0, 0xffff
	s_waitcnt vmcnt(0)
	v_mad_u32_u24 v3, v4, s0, v3
	v_and_b32_e32 v3, 63, v3
	v_cmp_gt_u32_e32 vcc, 8, v3
	s_and_saveexec_b64 s[0:1], vcc
	s_cbranch_execz .LBB115_58
; %bb.55:                               ;   in Loop: Header=BB115_53 Depth=1
	v_add_co_u32_e32 v3, vcc, v51, v3
	v_addc_co_u32_e32 v4, vcc, 0, v52, vcc
	v_add_co_u32_e32 v3, vcc, 0xffffff01, v3
	v_addc_co_u32_e32 v4, vcc, -1, v4, vcc
	v_cmp_gt_i64_e32 vcc, s[12:13], v[3:4]
	v_mov_b32_e32 v53, 0
	v_mov_b32_e32 v55, 0
	s_and_saveexec_b64 s[2:3], vcc
	s_cbranch_execz .LBB115_57
; %bb.56:                               ;   in Loop: Header=BB115_53 Depth=1
	v_lshlrev_b64 v[3:4], 2, v[3:4]
	v_mov_b32_e32 v6, s23
	v_add_co_u32_e32 v5, vcc, s22, v3
	v_addc_co_u32_e32 v6, vcc, v6, v4, vcc
	v_mov_b32_e32 v7, s21
	v_add_co_u32_e32 v3, vcc, s20, v3
	v_addc_co_u32_e32 v4, vcc, v7, v4, vcc
	global_load_dword v53, v[3:4], off
	global_load_dword v55, v[5:6], off
.LBB115_57:                             ;   in Loop: Header=BB115_53 Depth=1
	s_or_b64 exec, exec, s[2:3]
.LBB115_58:                             ;   in Loop: Header=BB115_53 Depth=1
	s_or_b64 exec, exec, s[0:1]
	v_add_co_u32_e32 v3, vcc, 0xffffff01, v51
	v_addc_co_u32_e32 v4, vcc, -1, v52, vcc
	v_mov_b32_e32 v9, v2
	v_cmp_gt_i64_e32 vcc, s[12:13], v[3:4]
	v_mov_b32_e32 v3, v2
	v_mov_b32_e32 v4, v2
	;; [unrolled: 1-line block ×22, first 2 shown]
	s_and_saveexec_b64 s[0:1], vcc
	s_cbranch_execz .LBB115_60
; %bb.59:                               ;   in Loop: Header=BB115_53 Depth=1
	buffer_load_dword v3, off, s[36:39], 0  ; 4-byte Folded Reload
	buffer_load_dword v4, off, s[36:39], 0 offset:4 ; 4-byte Folded Reload
	v_mov_b32_e32 v5, v2
	v_mov_b32_e32 v6, v2
	;; [unrolled: 1-line block ×12, first 2 shown]
	s_waitcnt vmcnt(1)
	v_add_co_u32_e32 v3, vcc, v3, v47
	s_waitcnt vmcnt(0)
	v_addc_co_u32_e32 v4, vcc, v4, v48, vcc
	global_load_ushort v11, v[3:4], off
	s_nop 0
	buffer_load_dword v3, off, s[36:39], 0 offset:8 ; 4-byte Folded Reload
	buffer_load_dword v4, off, s[36:39], 0 offset:12 ; 4-byte Folded Reload
	s_waitcnt vmcnt(1)
	v_add_co_u32_e32 v3, vcc, v3, v47
	s_waitcnt vmcnt(0)
	v_addc_co_u32_e32 v4, vcc, v4, v48, vcc
	global_load_ushort v18, v[3:4], off
	v_mov_b32_e32 v4, v2
	v_lshlrev_b32_e32 v3, 16, v11
	s_waitcnt vmcnt(0)
	v_lshlrev_b32_e32 v11, 16, v18
	v_mov_b32_e32 v18, v2
.LBB115_60:                             ;   in Loop: Header=BB115_53 Depth=1
	s_or_b64 exec, exec, s[0:1]
	v_add_co_u32_e32 v56, vcc, 0xffffff02, v51
	v_addc_co_u32_e32 v57, vcc, -1, v52, vcc
	v_cmp_gt_i64_e32 vcc, s[12:13], v[56:57]
	s_and_saveexec_b64 s[0:1], vcc
	s_cbranch_execz .LBB115_62
; %bb.61:                               ;   in Loop: Header=BB115_53 Depth=1
	v_add_co_u32_e32 v56, vcc, v62, v47
	v_addc_co_u32_e32 v57, vcc, v63, v48, vcc
	global_load_ushort v4, v[56:57], off
	v_add_co_u32_e32 v56, vcc, v49, v47
	v_addc_co_u32_e32 v57, vcc, v50, v48, vcc
	global_load_ushort v12, v[56:57], off
	s_waitcnt vmcnt(1)
	v_lshlrev_b32_e32 v4, 16, v4
	s_waitcnt vmcnt(0)
	v_lshlrev_b32_e32 v12, 16, v12
.LBB115_62:                             ;   in Loop: Header=BB115_53 Depth=1
	s_or_b64 exec, exec, s[0:1]
	v_add_co_u32_e32 v56, vcc, 0xffffff03, v51
	v_addc_co_u32_e32 v57, vcc, -1, v52, vcc
	v_cmp_gt_i64_e32 vcc, s[12:13], v[56:57]
	s_and_saveexec_b64 s[0:1], vcc
	s_cbranch_execz .LBB115_64
; %bb.63:                               ;   in Loop: Header=BB115_53 Depth=1
	v_add_co_u32_e32 v56, vcc, v58, v47
	v_addc_co_u32_e32 v57, vcc, v59, v48, vcc
	global_load_ushort v5, v[56:57], off
	v_add_co_u32_e32 v56, vcc, v60, v47
	v_addc_co_u32_e32 v57, vcc, v61, v48, vcc
	global_load_ushort v13, v[56:57], off
	s_waitcnt vmcnt(1)
	v_lshlrev_b32_e32 v5, 16, v5
	s_waitcnt vmcnt(0)
	v_lshlrev_b32_e32 v13, 16, v13
.LBB115_64:                             ;   in Loop: Header=BB115_53 Depth=1
	s_or_b64 exec, exec, s[0:1]
	v_add_co_u32_e32 v56, vcc, 0xffffff04, v51
	v_addc_co_u32_e32 v57, vcc, -1, v52, vcc
	v_cmp_gt_i64_e32 vcc, s[12:13], v[56:57]
	s_and_saveexec_b64 s[0:1], vcc
	s_cbranch_execz .LBB115_66
; %bb.65:                               ;   in Loop: Header=BB115_53 Depth=1
	buffer_load_dword v6, off, s[36:39], 0 offset:80 ; 4-byte Folded Reload
	buffer_load_dword v14, off, s[36:39], 0 offset:92 ; 4-byte Folded Reload
	s_waitcnt vmcnt(1)
	v_add_co_u32_e32 v56, vcc, v6, v47
	buffer_load_dword v6, off, s[36:39], 0 offset:84 ; 4-byte Folded Reload
	s_waitcnt vmcnt(0)
	v_addc_co_u32_e32 v57, vcc, v6, v48, vcc
	global_load_ushort v6, v[56:57], off
	v_add_co_u32_e32 v56, vcc, v14, v47
	buffer_load_dword v14, off, s[36:39], 0 offset:88 ; 4-byte Folded Reload
	s_waitcnt vmcnt(1)
	v_lshlrev_b32_e32 v6, 16, v6
	s_waitcnt vmcnt(0)
	v_addc_co_u32_e32 v57, vcc, v14, v48, vcc
	global_load_ushort v14, v[56:57], off
	s_waitcnt vmcnt(0)
	v_lshlrev_b32_e32 v14, 16, v14
.LBB115_66:                             ;   in Loop: Header=BB115_53 Depth=1
	s_or_b64 exec, exec, s[0:1]
	v_add_co_u32_e32 v56, vcc, 0xffffff05, v51
	v_addc_co_u32_e32 v57, vcc, -1, v52, vcc
	v_cmp_gt_i64_e32 vcc, s[12:13], v[56:57]
	s_and_saveexec_b64 s[0:1], vcc
	s_cbranch_execz .LBB115_68
; %bb.67:                               ;   in Loop: Header=BB115_53 Depth=1
	buffer_load_dword v7, off, s[36:39], 0 offset:64 ; 4-byte Folded Reload
	buffer_load_dword v15, off, s[36:39], 0 offset:72 ; 4-byte Folded Reload
	s_waitcnt vmcnt(1)
	v_add_co_u32_e32 v56, vcc, v7, v47
	buffer_load_dword v7, off, s[36:39], 0 offset:68 ; 4-byte Folded Reload
	s_waitcnt vmcnt(0)
	v_addc_co_u32_e32 v57, vcc, v7, v48, vcc
	global_load_ushort v7, v[56:57], off
	v_add_co_u32_e32 v56, vcc, v15, v47
	buffer_load_dword v15, off, s[36:39], 0 offset:76 ; 4-byte Folded Reload
	s_waitcnt vmcnt(1)
	v_lshlrev_b32_e32 v7, 16, v7
	s_waitcnt vmcnt(0)
	v_addc_co_u32_e32 v57, vcc, v15, v48, vcc
	global_load_ushort v15, v[56:57], off
	s_waitcnt vmcnt(0)
	v_lshlrev_b32_e32 v15, 16, v15
.LBB115_68:                             ;   in Loop: Header=BB115_53 Depth=1
	;; [unrolled: 25-line block ×5, first 2 shown]
	s_or_b64 exec, exec, s[0:1]
	buffer_load_dword v54, off, s[36:39], 0 offset:108 ; 4-byte Folded Reload
	s_waitcnt vmcnt(2)
	ds_bpermute_b32 v57, v0, v53
	s_waitcnt vmcnt(1)
	ds_bpermute_b32 v56, v0, v55
	s_mov_b64 s[0:1], 0
	s_waitcnt lgkmcnt(1)
	v_sub_f32_e32 v11, v11, v57
	ds_bpermute_b32 v57, v0, v53 offset:4
	v_mul_f32_e32 v11, v3, v11
	s_waitcnt lgkmcnt(1)
	v_fma_f32 v11, v11, v56, v1
	ds_bpermute_b32 v56, v0, v55 offset:4
	s_waitcnt lgkmcnt(1)
	v_sub_f32_e32 v12, v12, v57
	v_mul_f32_e32 v12, v4, v12
	s_waitcnt lgkmcnt(0)
	v_fmac_f32_e32 v11, v12, v56
	ds_bpermute_b32 v12, v0, v53 offset:8
	s_waitcnt lgkmcnt(0)
	v_sub_f32_e32 v12, v13, v12
	v_mul_f32_e32 v12, v5, v12
	s_waitcnt vmcnt(0)
	v_add_f32_e32 v3, v54, v3
	v_add_f32_e32 v3, v4, v3
	ds_bpermute_b32 v4, v0, v55 offset:8
	v_add_f32_e32 v3, v5, v3
	ds_bpermute_b32 v5, v0, v53 offset:12
	v_add_f32_e32 v3, v6, v3
	v_add_f32_e32 v3, v7, v3
	s_waitcnt lgkmcnt(1)
	v_fmac_f32_e32 v11, v12, v4
	ds_bpermute_b32 v4, v0, v55 offset:12
	s_waitcnt lgkmcnt(1)
	v_sub_f32_e32 v5, v14, v5
	v_mul_f32_e32 v5, v6, v5
	v_add_f32_e32 v3, v8, v3
	v_add_f32_e32 v3, v9, v3
	s_waitcnt lgkmcnt(0)
	v_fmac_f32_e32 v11, v5, v4
	ds_bpermute_b32 v5, v0, v53 offset:16
	ds_bpermute_b32 v4, v0, v55 offset:16
	s_waitcnt lgkmcnt(1)
	v_sub_f32_e32 v5, v15, v5
	v_mul_f32_e32 v5, v7, v5
	s_waitcnt lgkmcnt(0)
	v_fmac_f32_e32 v11, v5, v4
	ds_bpermute_b32 v5, v0, v53 offset:20
	ds_bpermute_b32 v4, v0, v55 offset:20
	s_waitcnt lgkmcnt(1)
	v_sub_f32_e32 v5, v16, v5
	v_mul_f32_e32 v5, v8, v5
	s_waitcnt lgkmcnt(0)
	v_fmac_f32_e32 v11, v5, v4
	ds_bpermute_b32 v5, v0, v53 offset:24
	ds_bpermute_b32 v4, v0, v55 offset:24
	s_waitcnt lgkmcnt(1)
	v_sub_f32_e32 v5, v17, v5
	v_mul_f32_e32 v5, v9, v5
	s_waitcnt lgkmcnt(0)
	v_fmac_f32_e32 v11, v5, v4
	ds_bpermute_b32 v5, v0, v53 offset:28
	ds_bpermute_b32 v4, v0, v55 offset:28
	s_waitcnt lgkmcnt(1)
	v_sub_f32_e32 v5, v18, v5
	v_mul_f32_e32 v5, v10, v5
	s_waitcnt lgkmcnt(0)
	v_fmac_f32_e32 v11, v5, v4
	v_add_f32_e32 v5, v10, v3
.LBB115_75:                             ;   in Loop: Header=BB115_53 Depth=1
	s_and_b64 vcc, exec, s[0:1]
	s_cbranch_vccz .LBB115_81
; %bb.76:                               ;   in Loop: Header=BB115_53 Depth=1
	s_load_dword s0, s[26:27], 0x0
	v_mov_b32_e32 v5, 0
	s_waitcnt lgkmcnt(0)
	s_cmp_lt_u32 s6, s0
	s_cselect_b32 s0, 12, 18
	s_add_u32 s0, s26, s0
	s_addc_u32 s1, s27, 0
	global_load_ushort v3, v2, s[0:1]
	buffer_load_dword v4, off, s[36:39], 0 offset:96 ; 4-byte Folded Reload
	buffer_load_dword v6, off, s[36:39], 0 offset:100 ; 4-byte Folded Reload
	s_waitcnt vmcnt(0)
	v_mad_u32_u24 v3, v6, v3, v4
	v_and_b32_e32 v3, 63, v3
	v_cmp_gt_u32_e32 vcc, 8, v3
	v_mov_b32_e32 v6, 0
	s_and_saveexec_b64 s[0:1], vcc
	s_cbranch_execz .LBB115_80
; %bb.77:                               ;   in Loop: Header=BB115_53 Depth=1
	v_add_co_u32_e32 v3, vcc, v51, v3
	v_addc_co_u32_e32 v4, vcc, 0, v52, vcc
	v_add_co_u32_e32 v3, vcc, 0xffffff01, v3
	v_addc_co_u32_e32 v4, vcc, -1, v4, vcc
	v_cmp_gt_i64_e32 vcc, s[12:13], v[3:4]
	v_mov_b32_e32 v6, 0
	v_mov_b32_e32 v5, 0
	s_and_saveexec_b64 s[2:3], vcc
	s_cbranch_execz .LBB115_79
; %bb.78:                               ;   in Loop: Header=BB115_53 Depth=1
	v_lshlrev_b64 v[3:4], 2, v[3:4]
	v_mov_b32_e32 v5, s23
	v_add_co_u32_e32 v7, vcc, s22, v3
	v_addc_co_u32_e32 v8, vcc, v5, v4, vcc
	v_mov_b32_e32 v5, s21
	v_add_co_u32_e32 v3, vcc, s20, v3
	v_addc_co_u32_e32 v4, vcc, v5, v4, vcc
	global_load_dword v6, v[3:4], off
	global_load_dword v5, v[7:8], off
.LBB115_79:                             ;   in Loop: Header=BB115_53 Depth=1
	s_or_b64 exec, exec, s[2:3]
.LBB115_80:                             ;   in Loop: Header=BB115_53 Depth=1
	s_or_b64 exec, exec, s[0:1]
	buffer_load_dword v3, off, s[36:39], 0 offset:8 ; 4-byte Folded Reload
	buffer_load_dword v4, off, s[36:39], 0 offset:12 ; 4-byte Folded Reload
	v_add_co_u32_e64 v9, s[0:1], v25, v47
	v_add_co_u32_e64 v11, s[2:3], v27, v47
	;; [unrolled: 1-line block ×4, first 2 shown]
	s_waitcnt vmcnt(1)
	v_add_co_u32_e32 v3, vcc, v3, v47
	s_waitcnt vmcnt(0)
	v_addc_co_u32_e32 v4, vcc, v4, v48, vcc
	global_load_ushort v51, v[3:4], off
	s_nop 0
	buffer_load_dword v3, off, s[36:39], 0  ; 4-byte Folded Reload
	buffer_load_dword v4, off, s[36:39], 0 offset:4 ; 4-byte Folded Reload
	s_waitcnt vmcnt(1)
	v_add_co_u32_e32 v3, vcc, v3, v47
	s_waitcnt vmcnt(0)
	v_addc_co_u32_e32 v4, vcc, v4, v48, vcc
	global_load_ushort v52, v[3:4], off
	v_add_co_u32_e32 v3, vcc, v21, v47
	v_addc_co_u32_e32 v4, vcc, v22, v48, vcc
	global_load_ushort v8, v[3:4], off
	v_add_co_u32_e32 v3, vcc, v19, v47
	;; [unrolled: 3-line block ×3, first 2 shown]
	v_addc_co_u32_e32 v4, vcc, v24, v48, vcc
	v_addc_co_u32_e64 v10, vcc, v26, v48, s[0:1]
	v_add_co_u32_e32 v17, vcc, v33, v47
	v_addc_co_u32_e64 v12, s[0:1], v28, v48, s[2:3]
	v_addc_co_u32_e64 v14, s[0:1], v30, v48, s[8:9]
	v_addc_co_u32_e64 v16, s[2:3], v32, v48, s[10:11]
	v_addc_co_u32_e32 v18, vcc, v34, v48, vcc
	global_load_ushort v3, v[3:4], off
	s_nop 0
	global_load_ushort v4, v[9:10], off
	s_nop 0
	global_load_ushort v9, v[11:12], off
	global_load_ushort v10, v[13:14], off
	v_add_co_u32_e64 v13, s[0:1], v35, v47
	global_load_ushort v11, v[15:16], off
	global_load_ushort v12, v[17:18], off
	v_add_co_u32_e32 v15, vcc, v37, v47
	v_addc_co_u32_e64 v14, s[0:1], v36, v48, s[0:1]
	v_addc_co_u32_e32 v16, vcc, v38, v48, vcc
	global_load_ushort v17, v[13:14], off
	s_nop 0
	global_load_ushort v15, v[15:16], off
	v_add_co_u32_e32 v13, vcc, v39, v47
	v_addc_co_u32_e32 v14, vcc, v40, v48, vcc
	global_load_ushort v16, v[13:14], off
	ds_bpermute_b32 v13, v0, v6
	v_lshlrev_b32_e32 v14, 16, v51
	s_waitcnt lgkmcnt(0)
	v_sub_f32_e32 v13, v14, v13
	ds_bpermute_b32 v14, v0, v5
	s_waitcnt vmcnt(11)
	v_lshlrev_b32_e32 v18, 16, v52
	v_mul_f32_e32 v13, v13, v18
	s_waitcnt lgkmcnt(0)
	v_fmac_f32_e32 v1, v13, v14
	v_add_co_u32_e32 v13, vcc, v41, v47
	v_addc_co_u32_e32 v14, vcc, v42, v48, vcc
	global_load_ushort v13, v[13:14], off
	ds_bpermute_b32 v14, v0, v6 offset:4
	s_waitcnt vmcnt(11)
	v_lshlrev_b32_e32 v8, 16, v8
	s_waitcnt vmcnt(10)
	v_lshlrev_b32_e32 v51, 16, v7
	s_waitcnt lgkmcnt(0)
	v_sub_f32_e32 v8, v8, v14
	ds_bpermute_b32 v14, v0, v5 offset:4
	v_mul_f32_e32 v7, v8, v51
	s_waitcnt lgkmcnt(0)
	v_fmac_f32_e32 v1, v7, v14
	v_add_co_u32_e32 v7, vcc, v43, v47
	v_addc_co_u32_e32 v8, vcc, v44, v48, vcc
	global_load_ushort v14, v[7:8], off
	v_add_co_u32_e32 v7, vcc, v45, v47
	v_addc_co_u32_e32 v8, vcc, v46, v48, vcc
	global_load_ushort v7, v[7:8], off
	s_waitcnt vmcnt(9)
	v_lshlrev_b32_e32 v8, 16, v9
	s_waitcnt vmcnt(8)
	v_lshlrev_b32_e32 v9, 16, v10
	;; [unrolled: 2-line block ×4, first 2 shown]
	v_lshlrev_b32_e32 v4, 16, v4
	v_lshlrev_b32_e32 v3, 16, v3
	s_waitcnt vmcnt(5)
	v_lshlrev_b32_e32 v12, 16, v17
	v_add_f32_e32 v17, v54, v18
	ds_bpermute_b32 v18, v0, v6 offset:8
	v_add_f32_e32 v17, v17, v51
	ds_bpermute_b32 v51, v0, v5 offset:8
	s_waitcnt vmcnt(4)
	v_lshlrev_b32_e32 v15, 16, v15
	s_waitcnt vmcnt(3)
	v_lshlrev_b32_e32 v16, 16, v16
	s_waitcnt lgkmcnt(1)
	v_sub_f32_e32 v4, v4, v18
	ds_bpermute_b32 v18, v0, v6 offset:12
	v_mul_f32_e32 v4, v4, v3
	s_waitcnt lgkmcnt(1)
	v_fmac_f32_e32 v1, v4, v51
	ds_bpermute_b32 v4, v0, v5 offset:12
	v_add_f32_e32 v3, v17, v3
	s_waitcnt lgkmcnt(1)
	v_sub_f32_e32 v9, v9, v18
	ds_bpermute_b32 v17, v0, v6 offset:16
	v_mul_f32_e32 v9, v9, v8
	s_waitcnt lgkmcnt(1)
	v_fmac_f32_e32 v1, v9, v4
	ds_bpermute_b32 v4, v0, v5 offset:16
	v_add_f32_e32 v3, v3, v8
	;; [unrolled: 8-line block ×3, first 2 shown]
	s_waitcnt lgkmcnt(1)
	v_sub_f32_e32 v8, v15, v9
	ds_bpermute_b32 v9, v0, v6 offset:24
	v_mul_f32_e32 v8, v8, v12
	s_waitcnt lgkmcnt(1)
	v_fmac_f32_e32 v1, v8, v4
	ds_bpermute_b32 v4, v0, v5 offset:24
	ds_bpermute_b32 v6, v0, v6 offset:28
	;; [unrolled: 1-line block ×3, first 2 shown]
	v_add_f32_e32 v3, v3, v12
	v_add_f32_e32 v3, v3, v16
	s_waitcnt vmcnt(2)
	v_lshlrev_b32_e32 v13, 16, v13
	s_waitcnt lgkmcnt(3)
	v_sub_f32_e32 v8, v13, v9
	v_mul_f32_e32 v8, v8, v16
	s_waitcnt lgkmcnt(2)
	v_fmac_f32_e32 v1, v8, v4
	s_waitcnt vmcnt(1)
	v_lshlrev_b32_e32 v14, 16, v14
	s_waitcnt vmcnt(0)
	v_lshlrev_b32_e32 v7, 16, v7
	s_waitcnt lgkmcnt(1)
	v_sub_f32_e32 v4, v7, v6
	v_mul_f32_e32 v4, v4, v14
	s_waitcnt lgkmcnt(0)
	v_fmac_f32_e32 v1, v4, v5
	v_add_f32_e32 v5, v3, v14
	v_mov_b32_e32 v11, v1
.LBB115_81:                             ;   in Loop: Header=BB115_53 Depth=1
	buffer_load_dword v1, off, s[36:39], 0  ; 4-byte Folded Reload
	buffer_load_dword v3, off, s[36:39], 0 offset:4 ; 4-byte Folded Reload
	s_add_u32 s24, s24, s7
	s_addc_u32 s25, s25, 0
	s_add_u32 s30, s30, s7
	s_addc_u32 s31, s31, 0
	s_waitcnt vmcnt(1)
	v_add_co_u32_e32 v1, vcc, s28, v1
	buffer_store_dword v1, off, s[36:39], 0 ; 4-byte Folded Spill
	v_mov_b32_e32 v1, s29
	s_waitcnt vmcnt(1)
	v_addc_co_u32_e32 v3, vcc, v3, v1, vcc
	buffer_store_dword v3, off, s[36:39], 0 offset:4 ; 4-byte Folded Spill
	buffer_load_dword v3, off, s[36:39], 0 offset:8 ; 4-byte Folded Reload
	s_waitcnt vmcnt(0)
	v_add_co_u32_e32 v3, vcc, s28, v3
	buffer_store_dword v3, off, s[36:39], 0 offset:8 ; 4-byte Folded Spill
	buffer_load_dword v3, off, s[36:39], 0 offset:12 ; 4-byte Folded Reload
	s_waitcnt vmcnt(0)
	v_addc_co_u32_e32 v3, vcc, v3, v1, vcc
	buffer_store_dword v3, off, s[36:39], 0 offset:12 ; 4-byte Folded Spill
	buffer_load_dword v3, off, s[36:39], 0 offset:16 ; 4-byte Folded Reload
	v_add_co_u32_e32 v19, vcc, s28, v19
	v_addc_co_u32_e32 v20, vcc, v20, v1, vcc
	v_add_co_u32_e32 v23, vcc, s28, v23
	v_addc_co_u32_e32 v24, vcc, v24, v1, vcc
	;; [unrolled: 2-line block ×14, first 2 shown]
	s_waitcnt vmcnt(0)
	v_add_co_u32_e32 v3, vcc, s28, v3
	buffer_store_dword v3, off, s[36:39], 0 offset:16 ; 4-byte Folded Spill
	buffer_load_dword v3, off, s[36:39], 0 offset:20 ; 4-byte Folded Reload
	s_waitcnt vmcnt(0)
	v_addc_co_u32_e32 v3, vcc, v3, v1, vcc
	buffer_store_dword v3, off, s[36:39], 0 offset:20 ; 4-byte Folded Spill
	buffer_load_dword v3, off, s[36:39], 0 offset:24 ; 4-byte Folded Reload
	s_waitcnt vmcnt(0)
	v_add_co_u32_e32 v3, vcc, s28, v3
	buffer_store_dword v3, off, s[36:39], 0 offset:24 ; 4-byte Folded Spill
	buffer_load_dword v3, off, s[36:39], 0 offset:28 ; 4-byte Folded Reload
	s_waitcnt vmcnt(0)
	v_addc_co_u32_e32 v3, vcc, v3, v1, vcc
	buffer_store_dword v3, off, s[36:39], 0 offset:28 ; 4-byte Folded Spill
	buffer_load_dword v3, off, s[36:39], 0 offset:32 ; 4-byte Folded Reload
	;; [unrolled: 8-line block ×9, first 2 shown]
	s_waitcnt vmcnt(0)
	v_add_co_u32_e32 v3, vcc, s28, v3
	buffer_store_dword v3, off, s[36:39], 0 offset:92 ; 4-byte Folded Spill
	buffer_load_dword v3, off, s[36:39], 0 offset:88 ; 4-byte Folded Reload
	s_waitcnt vmcnt(0)
	v_addc_co_u32_e32 v3, vcc, v3, v1, vcc
	v_add_co_u32_e32 v58, vcc, s28, v58
	v_addc_co_u32_e32 v59, vcc, v59, v1, vcc
	v_add_co_u32_e32 v60, vcc, s28, v60
	;; [unrolled: 2-line block ×3, first 2 shown]
	v_addc_co_u32_e32 v63, vcc, v63, v1, vcc
	buffer_store_dword v3, off, s[36:39], 0 offset:88 ; 4-byte Folded Spill
	v_add_co_u32_e32 v49, vcc, s28, v49
	v_mov_b32_e32 v3, s12
	v_addc_co_u32_e32 v50, vcc, v50, v1, vcc
	v_mov_b32_e32 v4, s13
	v_cmp_ge_i64_e32 vcc, s[24:25], v[3:4]
	s_cbranch_vccnz .LBB115_83
; %bb.82:                               ;   in Loop: Header=BB115_53 Depth=1
	v_mov_b32_e32 v54, v5
	v_mov_b32_e32 v1, v11
	s_branch .LBB115_53
.LBB115_83:
	buffer_load_dword v61, off, s[36:39], 0 offset:96 ; 4-byte Folded Reload
	buffer_load_dword v1, off, s[36:39], 0 offset:100 ; 4-byte Folded Reload
	v_mov_b32_e32 v60, v5
.LBB115_84:
	s_waitcnt vmcnt(0)
	v_mad_u32_u24 v0, v1, 33, v61
	v_sub_u32_e32 v3, v0, v1
	s_movk_i32 s0, 0x800
	v_lshl_add_u32 v2, v0, 2, 0
	v_cmp_gt_u32_e32 vcc, s0, v3
	ds_write_b32 v2, v11
	ds_write_b32 v2, v60 offset:4224
	s_waitcnt lgkmcnt(0)
	s_barrier
	s_and_saveexec_b64 s[0:1], vcc
	s_cbranch_execz .LBB115_100
; %bb.85:
	s_load_dwordx4 s[8:11], s[4:5], 0x30
	v_and_b32_e32 v0, 63, v3
	v_lshrrev_b32_e32 v2, 6, v3
	v_cmp_gt_u32_e64 s[0:1], 32, v0
	v_mul_u32_u24_e32 v4, 33, v0
                                        ; implicit-def: $vgpr0
                                        ; implicit-def: $vgpr1
	s_and_saveexec_b64 s[2:3], s[0:1]
	s_cbranch_execz .LBB115_87
; %bb.86:
	v_add_u32_e32 v0, v2, v4
	v_lshl_add_u32 v0, v0, 2, 0
	ds_read_b32 v1, v0
	ds_read_b32 v0, v0 offset:4224
.LBB115_87:
	s_or_b64 exec, exec, s[2:3]
	v_mbcnt_lo_u32_b32 v5, -1, 0
	v_mbcnt_hi_u32_b32 v9, -1, v5
	v_and_b32_e32 v5, 64, v9
	v_add_u32_e32 v10, 64, v5
	v_xor_b32_e32 v5, 16, v9
	v_cmp_lt_i32_e32 vcc, v5, v10
	v_cndmask_b32_e32 v5, v9, v5, vcc
	v_lshlrev_b32_e32 v5, 2, v5
	s_waitcnt lgkmcnt(0)
	ds_bpermute_b32 v6, v5, v1
	v_xor_b32_e32 v7, 8, v9
	v_cmp_lt_i32_e32 vcc, v7, v10
	ds_bpermute_b32 v8, v5, v0
	s_mov_b32 s7, 0
	s_waitcnt lgkmcnt(1)
	v_add_f32_e32 v1, v1, v6
	v_cndmask_b32_e32 v6, v9, v7, vcc
	v_lshlrev_b32_e32 v6, 2, v6
	ds_bpermute_b32 v7, v6, v1
	s_waitcnt lgkmcnt(1)
	v_add_f32_e32 v0, v0, v8
	ds_bpermute_b32 v8, v6, v0
	s_lshl_b64 s[4:5], s[6:7], 5
	s_cmp_lg_u64 s[8:9], 0
	s_waitcnt lgkmcnt(1)
	v_add_f32_e32 v1, v1, v7
	v_xor_b32_e32 v7, 4, v9
	v_cmp_lt_i32_e32 vcc, v7, v10
	v_cndmask_b32_e32 v7, v9, v7, vcc
	v_lshlrev_b32_e32 v7, 2, v7
	ds_bpermute_b32 v11, v7, v1
	s_waitcnt lgkmcnt(1)
	v_add_f32_e32 v0, v0, v8
	v_xor_b32_e32 v8, 2, v9
	v_cmp_lt_i32_e32 vcc, v8, v10
	v_cndmask_b32_e32 v8, v9, v8, vcc
	s_waitcnt lgkmcnt(0)
	v_add_f32_e32 v1, v1, v11
	v_lshlrev_b32_e32 v8, 2, v8
	ds_bpermute_b32 v11, v7, v0
	ds_bpermute_b32 v12, v8, v1
	v_cmp_eq_u32_e64 s[2:3], 0, v61
	s_cselect_b64 s[12:13], -1, 0
	s_cmp_lg_u64 s[10:11], 0
	s_waitcnt lgkmcnt(1)
	v_add_f32_e32 v0, v0, v11
	s_waitcnt lgkmcnt(0)
	v_add_f32_e32 v1, v1, v12
	v_xor_b32_e32 v12, 1, v9
	ds_bpermute_b32 v11, v8, v0
	v_cmp_lt_i32_e32 vcc, v12, v10
	v_cndmask_b32_e32 v9, v9, v12, vcc
	v_lshlrev_b32_e32 v9, 2, v9
	ds_bpermute_b32 v10, v9, v1
	s_waitcnt lgkmcnt(1)
	v_add_f32_e32 v11, v0, v11
	ds_bpermute_b32 v12, v9, v11
	v_or_b32_e32 v0, s4, v2
	s_cselect_b64 s[6:7], -1, 0
	s_waitcnt lgkmcnt(1)
	v_add_f32_e32 v10, v1, v10
	v_mov_b32_e32 v1, s5
	v_cmp_gt_i64_e32 vcc, s[14:15], v[0:1]
	s_waitcnt lgkmcnt(0)
	v_add_f32_e32 v11, v11, v12
	s_and_b64 s[18:19], s[2:3], vcc
	s_and_saveexec_b64 s[16:17], s[18:19]
	s_cbranch_execz .LBB115_92
; %bb.88:
	v_lshlrev_b64 v[0:1], 1, v[0:1]
	s_andn2_b64 vcc, exec, s[12:13]
	s_cbranch_vccnz .LBB115_90
; %bb.89:
	v_bfe_u32 v12, v10, 16, 1
	s_movk_i32 s18, 0x7fff
	v_add3_u32 v12, v10, v12, s18
	v_cmp_o_f32_e32 vcc, v10, v10
	v_mov_b32_e32 v13, 0x7fc0
	v_cndmask_b32_sdwa v14, v13, v12, vcc dst_sel:DWORD dst_unused:UNUSED_PAD src0_sel:DWORD src1_sel:WORD_1
	v_mov_b32_e32 v13, s9
	v_add_co_u32_e32 v12, vcc, s8, v0
	v_addc_co_u32_e32 v13, vcc, v13, v1, vcc
	global_store_short v[12:13], v14, off
.LBB115_90:
	s_andn2_b64 vcc, exec, s[6:7]
	s_cbranch_vccnz .LBB115_92
; %bb.91:
	v_bfe_u32 v12, v11, 16, 1
	s_movk_i32 s18, 0x7fff
	v_add3_u32 v12, v11, v12, s18
	v_cmp_o_f32_e32 vcc, v11, v11
	v_mov_b32_e32 v13, 0x7fc0
	v_cndmask_b32_sdwa v12, v13, v12, vcc dst_sel:DWORD dst_unused:UNUSED_PAD src0_sel:DWORD src1_sel:WORD_1
	v_mov_b32_e32 v13, s11
	v_add_co_u32_e32 v0, vcc, s10, v0
	v_addc_co_u32_e32 v1, vcc, v13, v1, vcc
	global_store_short v[0:1], v12, off
.LBB115_92:
	s_or_b64 exec, exec, s[16:17]
	s_movk_i32 s16, 0x400
	v_cmp_gt_u32_e32 vcc, s16, v3
	s_and_b64 exec, exec, vcc
	s_cbranch_execz .LBB115_100
; %bb.93:
	s_and_saveexec_b64 s[16:17], s[0:1]
	s_cbranch_execz .LBB115_95
; %bb.94:
	v_add_u32_e32 v0, v2, v4
	v_lshl_add_u32 v0, v0, 2, 0
	ds_read_b32 v10, v0 offset:64
	ds_read_b32 v11, v0 offset:4288
.LBB115_95:
	s_or_b64 exec, exec, s[16:17]
	s_waitcnt lgkmcnt(1)
	ds_bpermute_b32 v0, v5, v10
	s_waitcnt lgkmcnt(1)
	ds_bpermute_b32 v1, v5, v11
	v_add_u32_e32 v5, 16, v2
	v_or_b32_e32 v5, s4, v5
	s_waitcnt lgkmcnt(1)
	v_add_f32_e32 v0, v10, v0
	s_waitcnt lgkmcnt(0)
	v_add_f32_e32 v1, v11, v1
	ds_bpermute_b32 v3, v6, v0
	ds_bpermute_b32 v4, v6, v1
	v_mov_b32_e32 v6, s5
	v_cmp_gt_i64_e32 vcc, s[14:15], v[5:6]
	s_waitcnt lgkmcnt(1)
	v_add_f32_e32 v0, v0, v3
	s_waitcnt lgkmcnt(0)
	v_add_f32_e32 v1, v1, v4
	ds_bpermute_b32 v3, v7, v0
	ds_bpermute_b32 v4, v7, v1
	s_and_b64 s[0:1], s[2:3], vcc
	s_waitcnt lgkmcnt(1)
	v_add_f32_e32 v0, v0, v3
	s_waitcnt lgkmcnt(0)
	v_add_f32_e32 v1, v1, v4
	ds_bpermute_b32 v3, v8, v0
	ds_bpermute_b32 v4, v8, v1
	s_waitcnt lgkmcnt(1)
	v_add_f32_e32 v3, v0, v3
	s_waitcnt lgkmcnt(0)
	v_add_f32_e32 v0, v1, v4
	ds_bpermute_b32 v4, v9, v3
	ds_bpermute_b32 v1, v9, v0
	s_and_b64 exec, exec, s[0:1]
	s_cbranch_execz .LBB115_100
; %bb.96:
	s_andn2_b64 vcc, exec, s[12:13]
	s_cbranch_vccnz .LBB115_98
; %bb.97:
	s_waitcnt lgkmcnt(1)
	v_add_f32_e32 v3, v3, v4
	v_bfe_u32 v4, v3, 16, 1
	s_movk_i32 s0, 0x7fff
	v_add3_u32 v4, v3, v4, s0
	v_cmp_o_f32_e32 vcc, v3, v3
	v_mov_b32_e32 v3, 0x7fc0
	v_cndmask_b32_sdwa v5, v3, v4, vcc dst_sel:DWORD dst_unused:UNUSED_PAD src0_sel:DWORD src1_sel:WORD_1
	v_mov_b32_e32 v4, s5
	v_add_co_u32_e32 v3, vcc, s4, v2
	v_addc_co_u32_e32 v4, vcc, 0, v4, vcc
	v_lshlrev_b64 v[3:4], 1, v[3:4]
	v_mov_b32_e32 v6, s9
	v_add_co_u32_e32 v3, vcc, s8, v3
	v_addc_co_u32_e32 v4, vcc, v6, v4, vcc
	global_store_short v[3:4], v5, off offset:32
.LBB115_98:
	s_andn2_b64 vcc, exec, s[6:7]
	s_cbranch_vccnz .LBB115_100
; %bb.99:
	s_waitcnt lgkmcnt(0)
	v_add_f32_e32 v0, v0, v1
	v_bfe_u32 v1, v0, 16, 1
	s_movk_i32 s0, 0x7fff
	v_add3_u32 v1, v0, v1, s0
	v_cmp_o_f32_e32 vcc, v0, v0
	v_mov_b32_e32 v0, 0x7fc0
	v_cndmask_b32_sdwa v3, v0, v1, vcc dst_sel:DWORD dst_unused:UNUSED_PAD src0_sel:DWORD src1_sel:WORD_1
	v_mov_b32_e32 v1, s5
	v_add_co_u32_e32 v0, vcc, s4, v2
	v_addc_co_u32_e32 v1, vcc, 0, v1, vcc
	v_lshlrev_b64 v[0:1], 1, v[0:1]
	v_mov_b32_e32 v2, s11
	v_add_co_u32_e32 v0, vcc, s10, v0
	v_addc_co_u32_e32 v1, vcc, v2, v1, vcc
	global_store_short v[0:1], v3, off offset:32
.LBB115_100:
	s_endpgm
	.section	.rodata,"a",@progbits
	.p2align	6, 0x0
	.amdhsa_kernel _ZN2at6native12_GLOBAL__N_135GammaBetaBackwardCUDAKernelTemplateIN3c108BFloat16EfLj32ELj32ELj256ELb0ELb0ELb0EEEvllPKT_S7_PKT0_SA_PS5_SB_
		.amdhsa_group_segment_fixed_size 0
		.amdhsa_private_segment_fixed_size 116
		.amdhsa_kernarg_size 320
		.amdhsa_user_sgpr_count 6
		.amdhsa_user_sgpr_private_segment_buffer 1
		.amdhsa_user_sgpr_dispatch_ptr 0
		.amdhsa_user_sgpr_queue_ptr 0
		.amdhsa_user_sgpr_kernarg_segment_ptr 1
		.amdhsa_user_sgpr_dispatch_id 0
		.amdhsa_user_sgpr_flat_scratch_init 0
		.amdhsa_user_sgpr_private_segment_size 0
		.amdhsa_uses_dynamic_stack 0
		.amdhsa_system_sgpr_private_segment_wavefront_offset 1
		.amdhsa_system_sgpr_workgroup_id_x 1
		.amdhsa_system_sgpr_workgroup_id_y 1
		.amdhsa_system_sgpr_workgroup_id_z 0
		.amdhsa_system_sgpr_workgroup_info 0
		.amdhsa_system_vgpr_workitem_id 1
		.amdhsa_next_free_vgpr 64
		.amdhsa_next_free_sgpr 40
		.amdhsa_reserve_vcc 1
		.amdhsa_reserve_flat_scratch 0
		.amdhsa_float_round_mode_32 0
		.amdhsa_float_round_mode_16_64 0
		.amdhsa_float_denorm_mode_32 3
		.amdhsa_float_denorm_mode_16_64 3
		.amdhsa_dx10_clamp 1
		.amdhsa_ieee_mode 1
		.amdhsa_fp16_overflow 0
		.amdhsa_exception_fp_ieee_invalid_op 0
		.amdhsa_exception_fp_denorm_src 0
		.amdhsa_exception_fp_ieee_div_zero 0
		.amdhsa_exception_fp_ieee_overflow 0
		.amdhsa_exception_fp_ieee_underflow 0
		.amdhsa_exception_fp_ieee_inexact 0
		.amdhsa_exception_int_div_zero 0
	.end_amdhsa_kernel
	.section	.text._ZN2at6native12_GLOBAL__N_135GammaBetaBackwardCUDAKernelTemplateIN3c108BFloat16EfLj32ELj32ELj256ELb0ELb0ELb0EEEvllPKT_S7_PKT0_SA_PS5_SB_,"axG",@progbits,_ZN2at6native12_GLOBAL__N_135GammaBetaBackwardCUDAKernelTemplateIN3c108BFloat16EfLj32ELj32ELj256ELb0ELb0ELb0EEEvllPKT_S7_PKT0_SA_PS5_SB_,comdat
.Lfunc_end115:
	.size	_ZN2at6native12_GLOBAL__N_135GammaBetaBackwardCUDAKernelTemplateIN3c108BFloat16EfLj32ELj32ELj256ELb0ELb0ELb0EEEvllPKT_S7_PKT0_SA_PS5_SB_, .Lfunc_end115-_ZN2at6native12_GLOBAL__N_135GammaBetaBackwardCUDAKernelTemplateIN3c108BFloat16EfLj32ELj32ELj256ELb0ELb0ELb0EEEvllPKT_S7_PKT0_SA_PS5_SB_
                                        ; -- End function
	.set _ZN2at6native12_GLOBAL__N_135GammaBetaBackwardCUDAKernelTemplateIN3c108BFloat16EfLj32ELj32ELj256ELb0ELb0ELb0EEEvllPKT_S7_PKT0_SA_PS5_SB_.num_vgpr, 64
	.set _ZN2at6native12_GLOBAL__N_135GammaBetaBackwardCUDAKernelTemplateIN3c108BFloat16EfLj32ELj32ELj256ELb0ELb0ELb0EEEvllPKT_S7_PKT0_SA_PS5_SB_.num_agpr, 0
	.set _ZN2at6native12_GLOBAL__N_135GammaBetaBackwardCUDAKernelTemplateIN3c108BFloat16EfLj32ELj32ELj256ELb0ELb0ELb0EEEvllPKT_S7_PKT0_SA_PS5_SB_.numbered_sgpr, 40
	.set _ZN2at6native12_GLOBAL__N_135GammaBetaBackwardCUDAKernelTemplateIN3c108BFloat16EfLj32ELj32ELj256ELb0ELb0ELb0EEEvllPKT_S7_PKT0_SA_PS5_SB_.num_named_barrier, 0
	.set _ZN2at6native12_GLOBAL__N_135GammaBetaBackwardCUDAKernelTemplateIN3c108BFloat16EfLj32ELj32ELj256ELb0ELb0ELb0EEEvllPKT_S7_PKT0_SA_PS5_SB_.private_seg_size, 116
	.set _ZN2at6native12_GLOBAL__N_135GammaBetaBackwardCUDAKernelTemplateIN3c108BFloat16EfLj32ELj32ELj256ELb0ELb0ELb0EEEvllPKT_S7_PKT0_SA_PS5_SB_.uses_vcc, 1
	.set _ZN2at6native12_GLOBAL__N_135GammaBetaBackwardCUDAKernelTemplateIN3c108BFloat16EfLj32ELj32ELj256ELb0ELb0ELb0EEEvllPKT_S7_PKT0_SA_PS5_SB_.uses_flat_scratch, 0
	.set _ZN2at6native12_GLOBAL__N_135GammaBetaBackwardCUDAKernelTemplateIN3c108BFloat16EfLj32ELj32ELj256ELb0ELb0ELb0EEEvllPKT_S7_PKT0_SA_PS5_SB_.has_dyn_sized_stack, 0
	.set _ZN2at6native12_GLOBAL__N_135GammaBetaBackwardCUDAKernelTemplateIN3c108BFloat16EfLj32ELj32ELj256ELb0ELb0ELb0EEEvllPKT_S7_PKT0_SA_PS5_SB_.has_recursion, 0
	.set _ZN2at6native12_GLOBAL__N_135GammaBetaBackwardCUDAKernelTemplateIN3c108BFloat16EfLj32ELj32ELj256ELb0ELb0ELb0EEEvllPKT_S7_PKT0_SA_PS5_SB_.has_indirect_call, 0
	.section	.AMDGPU.csdata,"",@progbits
; Kernel info:
; codeLenInByte = 9216
; TotalNumSgprs: 44
; NumVgprs: 64
; ScratchSize: 116
; MemoryBound: 0
; FloatMode: 240
; IeeeMode: 1
; LDSByteSize: 0 bytes/workgroup (compile time only)
; SGPRBlocks: 5
; VGPRBlocks: 15
; NumSGPRsForWavesPerEU: 44
; NumVGPRsForWavesPerEU: 64
; Occupancy: 4
; WaveLimiterHint : 0
; COMPUTE_PGM_RSRC2:SCRATCH_EN: 1
; COMPUTE_PGM_RSRC2:USER_SGPR: 6
; COMPUTE_PGM_RSRC2:TRAP_HANDLER: 0
; COMPUTE_PGM_RSRC2:TGID_X_EN: 1
; COMPUTE_PGM_RSRC2:TGID_Y_EN: 1
; COMPUTE_PGM_RSRC2:TGID_Z_EN: 0
; COMPUTE_PGM_RSRC2:TIDIG_COMP_CNT: 1
	.section	.text._ZN2at6native12_GLOBAL__N_118cuComputeGradInputIddLb1EEEvPKT_S5_llPKT0_S8_S5_PS3_,"axG",@progbits,_ZN2at6native12_GLOBAL__N_118cuComputeGradInputIddLb1EEEvPKT_S5_llPKT0_S8_S5_PS3_,comdat
	.globl	_ZN2at6native12_GLOBAL__N_118cuComputeGradInputIddLb1EEEvPKT_S5_llPKT0_S8_S5_PS3_ ; -- Begin function _ZN2at6native12_GLOBAL__N_118cuComputeGradInputIddLb1EEEvPKT_S5_llPKT0_S8_S5_PS3_
	.p2align	8
	.type	_ZN2at6native12_GLOBAL__N_118cuComputeGradInputIddLb1EEEvPKT_S5_llPKT0_S8_S5_PS3_,@function
_ZN2at6native12_GLOBAL__N_118cuComputeGradInputIddLb1EEEvPKT_S5_llPKT0_S8_S5_PS3_: ; @_ZN2at6native12_GLOBAL__N_118cuComputeGradInputIddLb1EEEvPKT_S5_llPKT0_S8_S5_PS3_
; %bb.0:
	s_load_dwordx4 s[16:19], s[4:5], 0x10
	s_mov_b32 s14, s7
	s_ashr_i32 s15, s7, 31
	v_mov_b32_e32 v2, s14
	v_mov_b32_e32 v3, s15
	s_waitcnt lgkmcnt(0)
	v_cmp_le_i64_e32 vcc, s[16:17], v[2:3]
	s_cbranch_vccnz .LBB116_47
; %bb.1:
	v_cvt_f64_i32_e32 v[2:3], s19
	v_cvt_f64_u32_e32 v[4:5], s18
	s_load_dwordx4 s[20:23], s[4:5], 0x0
	s_load_dwordx2 s[28:29], s[4:5], 0x28
	s_load_dwordx4 s[24:27], s[4:5], 0x30
	s_load_dword s33, s[4:5], 0x44
	s_load_dword s6, s[4:5], 0x4c
	v_ldexp_f64 v[2:3], v[2:3], 32
	v_cmp_gt_i64_e64 s[8:9], s[18:19], 0
	v_lshlrev_b32_e32 v14, 4, v0
	v_cmp_ne_u32_e64 s[2:3], 0, v1
	s_waitcnt lgkmcnt(0)
	s_lshr_b32 s40, s6, 16
	s_and_b32 s41, s6, 0xffff
	s_cmp_lg_u64 s[24:25], 0
	s_cselect_b64 s[6:7], -1, 0
	v_add_f64 v[2:3], v[2:3], v[4:5]
	s_cmp_gt_u32 s41, 1
	s_mul_i32 s42, s40, s41
	s_cselect_b64 s[30:31], -1, 0
	s_cmp_gt_u32 s40, 1
	s_cselect_b64 s[34:35], -1, 0
	s_ashr_i32 s43, s42, 31
	v_add_u32_e32 v22, 0, v14
	v_div_scale_f64 v[6:7], s[0:1], v[2:3], v[2:3], 1.0
	v_cmp_eq_u32_e64 s[0:1], 0, v1
	v_rcp_f64_e32 v[4:5], v[6:7]
	v_fma_f64 v[8:9], -v[6:7], v[4:5], 1.0
	v_fma_f64 v[4:5], v[4:5], v[8:9], v[4:5]
	v_div_scale_f64 v[8:9], vcc, 1.0, v[2:3], 1.0
	v_fma_f64 v[10:11], -v[6:7], v[4:5], 1.0
	v_fma_f64 v[10:11], v[4:5], v[10:11], v[4:5]
	v_mad_u32_u24 v4, v1, s41, v0
	v_mov_b32_e32 v5, 0
	v_cmp_gt_i64_e64 s[4:5], s[18:19], v[4:5]
	v_mul_f64 v[12:13], v[8:9], v[10:11]
	v_fma_f64 v[6:7], -v[6:7], v[12:13], v[8:9]
	v_div_fmas_f64 v[8:9], v[6:7], v[10:11], v[12:13]
	v_lshlrev_b32_e32 v6, 4, v4
	v_add_u32_e32 v7, s42, v4
	v_ashrrev_i32_e32 v10, 31, v7
	v_add_u32_e32 v20, 0, v6
	v_mov_b32_e32 v11, s43
	v_subrev_co_u32_e32 v6, vcc, s42, v7
	v_subb_co_u32_e32 v7, vcc, v10, v11, vcc
	v_cndmask_b32_e64 v10, 0, 1, s[6:7]
	v_cmp_ne_u32_e64 s[6:7], 1, v10
	v_cndmask_b32_e64 v10, 0, 1, s[8:9]
	v_cmp_ne_u32_e64 s[8:9], 1, v10
	v_mbcnt_lo_u32_b32 v10, -1, 0
	v_mbcnt_hi_u32_b32 v21, -1, v10
	v_div_fixup_f64 v[8:9], v[8:9], v[2:3], 1.0
	s_branch .LBB116_4
.LBB116_2:                              ;   in Loop: Header=BB116_4 Depth=1
	s_or_b64 exec, exec, s[12:13]
.LBB116_3:                              ;   in Loop: Header=BB116_4 Depth=1
	s_add_i32 s14, s33, s14
	s_ashr_i32 s15, s14, 31
	v_mov_b32_e32 v10, s14
	v_mov_b32_e32 v11, s15
	v_cmp_le_i64_e32 vcc, s[16:17], v[10:11]
	s_waitcnt vmcnt(0)
	s_barrier
	s_cbranch_vccnz .LBB116_47
.LBB116_4:                              ; =>This Loop Header: Depth=1
                                        ;     Child Loop BB116_8 Depth 2
                                        ;     Child Loop BB116_19 Depth 2
	;; [unrolled: 1-line block ×6, first 2 shown]
	s_mul_i32 s10, s14, s19
	s_mul_hi_u32 s11, s14, s18
	s_add_i32 s10, s11, s10
	s_mul_i32 s11, s15, s18
	s_add_i32 s11, s10, s11
	s_lshl_b64 s[12:13], s[14:15], 3
	s_add_u32 s12, s28, s12
	s_mul_i32 s10, s14, s18
	s_addc_u32 s13, s29, s13
	s_load_dwordx2 s[36:37], s[12:13], 0x0
	s_lshl_b64 s[38:39], s[10:11], 3
	s_add_u32 s15, s22, s38
	s_addc_u32 s44, s23, s39
	s_add_u32 s45, s20, s38
	s_addc_u32 s46, s21, s39
	s_and_b64 vcc, exec, s[6:7]
	s_cbranch_vccnz .LBB116_15
; %bb.5:                                ;   in Loop: Header=BB116_4 Depth=1
	v_mov_b32_e32 v10, 0
	v_mov_b32_e32 v11, 0
	s_and_b64 vcc, exec, s[8:9]
	s_cbranch_vccnz .LBB116_14
; %bb.6:                                ;   in Loop: Header=BB116_4 Depth=1
	s_mov_b32 s47, 0
	s_branch .LBB116_8
.LBB116_7:                              ;   in Loop: Header=BB116_8 Depth=2
	s_or_b64 exec, exec, s[10:11]
	s_waitcnt vmcnt(0)
	v_mul_f64 v[12:13], v[14:15], v[18:19]
	s_add_i32 s47, s47, s42
	s_ashr_i32 s10, s47, 31
	v_mul_f64 v[12:13], v[16:17], v[12:13]
	s_waitcnt lgkmcnt(0)
	v_fma_f64 v[10:11], s[36:37], v[12:13], v[10:11]
	v_mov_b32_e32 v12, s47
	v_mov_b32_e32 v13, s10
	v_cmp_le_i64_e32 vcc, s[18:19], v[12:13]
	s_cbranch_vccnz .LBB116_14
.LBB116_8:                              ;   Parent Loop BB116_4 Depth=1
                                        ; =>  This Inner Loop Header: Depth=2
	v_add_u32_e32 v12, s47, v4
	v_ashrrev_i32_e32 v13, 31, v12
	v_cmp_gt_i64_e32 vcc, s[18:19], v[12:13]
	v_lshlrev_b64 v[12:13], 3, v[12:13]
	v_mov_b32_e32 v14, 0
	v_mov_b32_e32 v15, 0
	s_and_saveexec_b64 s[12:13], vcc
	s_cbranch_execz .LBB116_10
; %bb.9:                                ;   in Loop: Header=BB116_8 Depth=2
	v_mov_b32_e32 v15, s25
	v_add_co_u32_e64 v14, s[10:11], s24, v12
	v_addc_co_u32_e64 v15, s[10:11], v15, v13, s[10:11]
	global_load_dwordx2 v[14:15], v[14:15], off
.LBB116_10:                             ;   in Loop: Header=BB116_8 Depth=2
	s_or_b64 exec, exec, s[12:13]
	v_mov_b32_e32 v18, 0
	v_mov_b32_e32 v16, 0
	v_mov_b32_e32 v19, 0
	v_mov_b32_e32 v17, 0
	s_and_saveexec_b64 s[12:13], vcc
	s_cbranch_execz .LBB116_12
; %bb.11:                               ;   in Loop: Header=BB116_8 Depth=2
	v_mov_b32_e32 v17, s44
	v_add_co_u32_e64 v16, s[10:11], s15, v12
	v_addc_co_u32_e64 v17, s[10:11], v17, v13, s[10:11]
	global_load_dwordx2 v[16:17], v[16:17], off
.LBB116_12:                             ;   in Loop: Header=BB116_8 Depth=2
	s_or_b64 exec, exec, s[12:13]
	s_and_saveexec_b64 s[10:11], vcc
	s_cbranch_execz .LBB116_7
; %bb.13:                               ;   in Loop: Header=BB116_8 Depth=2
	v_mov_b32_e32 v18, s46
	v_add_co_u32_e32 v12, vcc, s45, v12
	v_addc_co_u32_e32 v13, vcc, v18, v13, vcc
	global_load_dwordx2 v[18:19], v[12:13], off
	s_branch .LBB116_7
.LBB116_14:                             ;   in Loop: Header=BB116_4 Depth=1
	s_cbranch_execz .LBB116_16
	s_branch .LBB116_23
.LBB116_15:                             ;   in Loop: Header=BB116_4 Depth=1
                                        ; implicit-def: $vgpr10_vgpr11
.LBB116_16:                             ;   in Loop: Header=BB116_4 Depth=1
	v_mov_b32_e32 v10, 0
	v_mov_b32_e32 v11, 0
	s_and_b64 vcc, exec, s[8:9]
	s_cbranch_vccnz .LBB116_23
; %bb.17:                               ;   in Loop: Header=BB116_4 Depth=1
	s_mov_b32 s47, 0
	s_branch .LBB116_19
.LBB116_18:                             ;   in Loop: Header=BB116_19 Depth=2
	s_or_b64 exec, exec, s[10:11]
	s_waitcnt vmcnt(0)
	v_mul_f64 v[12:13], v[14:15], v[16:17]
	s_add_i32 s47, s47, s42
	s_ashr_i32 s10, s47, 31
	s_waitcnt lgkmcnt(0)
	v_fma_f64 v[10:11], s[36:37], v[12:13], v[10:11]
	v_mov_b32_e32 v12, s47
	v_mov_b32_e32 v13, s10
	v_cmp_le_i64_e32 vcc, s[18:19], v[12:13]
	s_cbranch_vccnz .LBB116_23
.LBB116_19:                             ;   Parent Loop BB116_4 Depth=1
                                        ; =>  This Inner Loop Header: Depth=2
	v_add_u32_e32 v12, s47, v4
	v_ashrrev_i32_e32 v13, 31, v12
	v_cmp_gt_i64_e32 vcc, s[18:19], v[12:13]
	v_lshlrev_b64 v[12:13], 3, v[12:13]
	v_mov_b32_e32 v14, 0
	v_mov_b32_e32 v15, 0
	s_and_saveexec_b64 s[12:13], vcc
	s_cbranch_execz .LBB116_21
; %bb.20:                               ;   in Loop: Header=BB116_19 Depth=2
	v_mov_b32_e32 v15, s44
	v_add_co_u32_e64 v14, s[10:11], s15, v12
	v_addc_co_u32_e64 v15, s[10:11], v15, v13, s[10:11]
	global_load_dwordx2 v[14:15], v[14:15], off
.LBB116_21:                             ;   in Loop: Header=BB116_19 Depth=2
	s_or_b64 exec, exec, s[12:13]
	v_mov_b32_e32 v16, 0
	v_mov_b32_e32 v17, 0
	s_and_saveexec_b64 s[10:11], vcc
	s_cbranch_execz .LBB116_18
; %bb.22:                               ;   in Loop: Header=BB116_19 Depth=2
	v_mov_b32_e32 v16, s46
	v_add_co_u32_e32 v12, vcc, s45, v12
	v_addc_co_u32_e32 v13, vcc, v16, v13, vcc
	global_load_dwordx2 v[16:17], v[12:13], off
	s_branch .LBB116_18
.LBB116_23:                             ;   in Loop: Header=BB116_4 Depth=1
	s_andn2_b64 vcc, exec, s[30:31]
	s_cbranch_vccnz .LBB116_26
; %bb.24:                               ;   in Loop: Header=BB116_4 Depth=1
	v_and_b32_e32 v12, 64, v21
	v_add_u32_e32 v12, 64, v12
	s_mov_b32 s10, s41
.LBB116_25:                             ;   Parent Loop BB116_4 Depth=1
                                        ; =>  This Inner Loop Header: Depth=2
	s_lshr_b32 s11, s10, 1
	v_xor_b32_e32 v13, s11, v21
	v_cmp_lt_i32_e32 vcc, v13, v12
	v_cndmask_b32_e32 v13, v21, v13, vcc
	v_lshlrev_b32_e32 v14, 2, v13
	ds_bpermute_b32 v13, v14, v10
	ds_bpermute_b32 v14, v14, v11
	s_cmp_lt_u32 s10, 4
	s_mov_b32 s10, s11
	s_waitcnt lgkmcnt(0)
	v_add_f64 v[10:11], v[10:11], v[13:14]
	s_cbranch_scc0 .LBB116_25
.LBB116_26:                             ;   in Loop: Header=BB116_4 Depth=1
	s_andn2_b64 vcc, exec, s[34:35]
	s_mov_b32 s47, s40
	s_cbranch_vccnz .LBB116_38
.LBB116_27:                             ;   Parent Loop BB116_4 Depth=1
                                        ; =>  This Inner Loop Header: Depth=2
	s_lshr_b32 s48, s47, 1
	s_and_b32 s12, s47, 0xfffe
	v_cmp_le_u32_e64 s[10:11], s48, v1
	v_cmp_gt_u32_e64 s[12:13], s12, v1
	v_cmp_gt_u32_e32 vcc, s48, v1
	s_and_b64 s[12:13], s[10:11], s[12:13]
	s_and_saveexec_b64 s[10:11], s[12:13]
; %bb.28:                               ;   in Loop: Header=BB116_27 Depth=2
	v_subrev_u32_e32 v12, s48, v1
	v_mad_u32_u24 v12, v12, s41, v0
	v_lshl_add_u32 v12, v12, 4, 0
	ds_write_b64 v12, v[10:11] offset:8
; %bb.29:                               ;   in Loop: Header=BB116_27 Depth=2
	s_or_b64 exec, exec, s[10:11]
	s_waitcnt lgkmcnt(0)
	s_barrier
	s_and_saveexec_b64 s[10:11], vcc
	s_cbranch_execz .LBB116_31
; %bb.30:                               ;   in Loop: Header=BB116_27 Depth=2
	ds_read_b64 v[12:13], v20 offset:8
	s_waitcnt lgkmcnt(0)
	v_add_f64 v[10:11], v[10:11], v[12:13]
.LBB116_31:                             ;   in Loop: Header=BB116_27 Depth=2
	s_or_b64 exec, exec, s[10:11]
	s_cmp_lt_u32 s47, 4
	s_barrier
	s_cbranch_scc1 .LBB116_33
; %bb.32:                               ;   in Loop: Header=BB116_27 Depth=2
	s_mov_b32 s47, s48
	s_branch .LBB116_27
.LBB116_33:                             ;   in Loop: Header=BB116_4 Depth=1
	s_and_saveexec_b64 s[10:11], s[0:1]
; %bb.34:                               ;   in Loop: Header=BB116_4 Depth=1
	ds_write_b64 v22, v[10:11] offset:8
; %bb.35:                               ;   in Loop: Header=BB116_4 Depth=1
	s_or_b64 exec, exec, s[10:11]
	s_waitcnt lgkmcnt(0)
	s_barrier
	s_and_saveexec_b64 s[10:11], s[2:3]
; %bb.36:                               ;   in Loop: Header=BB116_4 Depth=1
	ds_read_b64 v[10:11], v22 offset:8
; %bb.37:                               ;   in Loop: Header=BB116_4 Depth=1
	s_or_b64 exec, exec, s[10:11]
.LBB116_38:                             ;   in Loop: Header=BB116_4 Depth=1
	s_waitcnt lgkmcnt(0)
	v_mul_f64 v[12:13], v[8:9], s[36:37]
	s_add_u32 s47, s26, s38
	s_addc_u32 s48, s27, s39
	s_and_b64 vcc, exec, s[6:7]
	s_cbranch_vccnz .LBB116_43
; %bb.39:                               ;   in Loop: Header=BB116_4 Depth=1
	s_and_saveexec_b64 s[12:13], s[4:5]
	s_cbranch_execz .LBB116_42
; %bb.40:                               ;   in Loop: Header=BB116_4 Depth=1
	v_mov_b32_e32 v15, v7
	v_mov_b32_e32 v17, v5
	s_mov_b64 s[38:39], 0
	v_mov_b32_e32 v14, v6
	v_mov_b32_e32 v16, v4
.LBB116_41:                             ;   Parent Loop BB116_4 Depth=1
                                        ; =>  This Inner Loop Header: Depth=2
	v_lshlrev_b64 v[18:19], 3, v[16:17]
	v_mov_b32_e32 v17, s44
	v_add_co_u32_e32 v16, vcc, s15, v18
	v_addc_co_u32_e32 v17, vcc, v17, v19, vcc
	global_load_dwordx2 v[16:17], v[16:17], off
	v_mov_b32_e32 v24, s46
	v_add_co_u32_e32 v23, vcc, s45, v18
	v_addc_co_u32_e32 v24, vcc, v24, v19, vcc
	global_load_dwordx2 v[23:24], v[23:24], off
	;; [unrolled: 4-line block ×3, first 2 shown]
	v_add_co_u32_e32 v14, vcc, s42, v14
	v_add_co_u32_e64 v18, s[10:11], s47, v18
	s_waitcnt vmcnt(2)
	v_mul_f64 v[16:17], s[36:37], v[16:17]
	s_waitcnt vmcnt(1)
	v_mul_f64 v[23:24], v[23:24], v[2:3]
	v_mul_f64 v[16:17], v[10:11], v[16:17]
	s_waitcnt vmcnt(0)
	v_fma_f64 v[23:24], v[23:24], v[25:26], -v[16:17]
	v_mov_b32_e32 v16, s43
	v_addc_co_u32_e32 v15, vcc, v15, v16, vcc
	v_cmp_le_i64_e32 vcc, s[18:19], v[14:15]
	v_mov_b32_e32 v25, s48
	v_ashrrev_i32_e32 v17, 31, v14
	v_mov_b32_e32 v16, v14
	v_mul_f64 v[23:24], v[12:13], v[23:24]
	v_addc_co_u32_e64 v19, s[10:11], v25, v19, s[10:11]
	s_or_b64 s[38:39], vcc, s[38:39]
	global_store_dwordx2 v[18:19], v[23:24], off
	s_andn2_b64 exec, exec, s[38:39]
	s_cbranch_execnz .LBB116_41
.LBB116_42:                             ;   in Loop: Header=BB116_4 Depth=1
	s_or_b64 exec, exec, s[12:13]
	s_cbranch_execnz .LBB116_3
	s_branch .LBB116_44
.LBB116_43:                             ;   in Loop: Header=BB116_4 Depth=1
.LBB116_44:                             ;   in Loop: Header=BB116_4 Depth=1
	s_and_saveexec_b64 s[12:13], s[4:5]
	s_cbranch_execz .LBB116_2
; %bb.45:                               ;   in Loop: Header=BB116_4 Depth=1
	v_mov_b32_e32 v15, v7
	v_mov_b32_e32 v17, v5
	s_mov_b64 s[38:39], 0
	v_mov_b32_e32 v14, v6
	v_mov_b32_e32 v16, v4
.LBB116_46:                             ;   Parent Loop BB116_4 Depth=1
                                        ; =>  This Inner Loop Header: Depth=2
	v_lshlrev_b64 v[18:19], 3, v[16:17]
	v_mov_b32_e32 v17, s44
	v_add_co_u32_e32 v16, vcc, s15, v18
	v_addc_co_u32_e32 v17, vcc, v17, v19, vcc
	global_load_dwordx2 v[16:17], v[16:17], off
	v_mov_b32_e32 v24, s46
	v_add_co_u32_e32 v23, vcc, s45, v18
	v_addc_co_u32_e32 v24, vcc, v24, v19, vcc
	global_load_dwordx2 v[23:24], v[23:24], off
	v_add_co_u32_e32 v14, vcc, s42, v14
	v_mov_b32_e32 v25, s48
	v_add_co_u32_e64 v18, s[10:11], s47, v18
	v_addc_co_u32_e64 v19, s[10:11], v25, v19, s[10:11]
	s_waitcnt vmcnt(1)
	v_mul_f64 v[16:17], s[36:37], v[16:17]
	v_mul_f64 v[16:17], v[10:11], v[16:17]
	s_waitcnt vmcnt(0)
	v_fma_f64 v[23:24], v[23:24], v[2:3], -v[16:17]
	v_mov_b32_e32 v16, s43
	v_addc_co_u32_e32 v15, vcc, v15, v16, vcc
	v_cmp_le_i64_e32 vcc, s[18:19], v[14:15]
	v_ashrrev_i32_e32 v17, 31, v14
	v_mov_b32_e32 v16, v14
	s_or_b64 s[38:39], vcc, s[38:39]
	v_mul_f64 v[23:24], v[12:13], v[23:24]
	global_store_dwordx2 v[18:19], v[23:24], off
	s_andn2_b64 exec, exec, s[38:39]
	s_cbranch_execnz .LBB116_46
	s_branch .LBB116_2
.LBB116_47:
	s_endpgm
	.section	.rodata,"a",@progbits
	.p2align	6, 0x0
	.amdhsa_kernel _ZN2at6native12_GLOBAL__N_118cuComputeGradInputIddLb1EEEvPKT_S5_llPKT0_S8_S5_PS3_
		.amdhsa_group_segment_fixed_size 0
		.amdhsa_private_segment_fixed_size 0
		.amdhsa_kernarg_size 320
		.amdhsa_user_sgpr_count 6
		.amdhsa_user_sgpr_private_segment_buffer 1
		.amdhsa_user_sgpr_dispatch_ptr 0
		.amdhsa_user_sgpr_queue_ptr 0
		.amdhsa_user_sgpr_kernarg_segment_ptr 1
		.amdhsa_user_sgpr_dispatch_id 0
		.amdhsa_user_sgpr_flat_scratch_init 0
		.amdhsa_user_sgpr_private_segment_size 0
		.amdhsa_uses_dynamic_stack 0
		.amdhsa_system_sgpr_private_segment_wavefront_offset 0
		.amdhsa_system_sgpr_workgroup_id_x 1
		.amdhsa_system_sgpr_workgroup_id_y 1
		.amdhsa_system_sgpr_workgroup_id_z 0
		.amdhsa_system_sgpr_workgroup_info 0
		.amdhsa_system_vgpr_workitem_id 1
		.amdhsa_next_free_vgpr 27
		.amdhsa_next_free_sgpr 49
		.amdhsa_reserve_vcc 1
		.amdhsa_reserve_flat_scratch 0
		.amdhsa_float_round_mode_32 0
		.amdhsa_float_round_mode_16_64 0
		.amdhsa_float_denorm_mode_32 3
		.amdhsa_float_denorm_mode_16_64 3
		.amdhsa_dx10_clamp 1
		.amdhsa_ieee_mode 1
		.amdhsa_fp16_overflow 0
		.amdhsa_exception_fp_ieee_invalid_op 0
		.amdhsa_exception_fp_denorm_src 0
		.amdhsa_exception_fp_ieee_div_zero 0
		.amdhsa_exception_fp_ieee_overflow 0
		.amdhsa_exception_fp_ieee_underflow 0
		.amdhsa_exception_fp_ieee_inexact 0
		.amdhsa_exception_int_div_zero 0
	.end_amdhsa_kernel
	.section	.text._ZN2at6native12_GLOBAL__N_118cuComputeGradInputIddLb1EEEvPKT_S5_llPKT0_S8_S5_PS3_,"axG",@progbits,_ZN2at6native12_GLOBAL__N_118cuComputeGradInputIddLb1EEEvPKT_S5_llPKT0_S8_S5_PS3_,comdat
.Lfunc_end116:
	.size	_ZN2at6native12_GLOBAL__N_118cuComputeGradInputIddLb1EEEvPKT_S5_llPKT0_S8_S5_PS3_, .Lfunc_end116-_ZN2at6native12_GLOBAL__N_118cuComputeGradInputIddLb1EEEvPKT_S5_llPKT0_S8_S5_PS3_
                                        ; -- End function
	.set _ZN2at6native12_GLOBAL__N_118cuComputeGradInputIddLb1EEEvPKT_S5_llPKT0_S8_S5_PS3_.num_vgpr, 27
	.set _ZN2at6native12_GLOBAL__N_118cuComputeGradInputIddLb1EEEvPKT_S5_llPKT0_S8_S5_PS3_.num_agpr, 0
	.set _ZN2at6native12_GLOBAL__N_118cuComputeGradInputIddLb1EEEvPKT_S5_llPKT0_S8_S5_PS3_.numbered_sgpr, 49
	.set _ZN2at6native12_GLOBAL__N_118cuComputeGradInputIddLb1EEEvPKT_S5_llPKT0_S8_S5_PS3_.num_named_barrier, 0
	.set _ZN2at6native12_GLOBAL__N_118cuComputeGradInputIddLb1EEEvPKT_S5_llPKT0_S8_S5_PS3_.private_seg_size, 0
	.set _ZN2at6native12_GLOBAL__N_118cuComputeGradInputIddLb1EEEvPKT_S5_llPKT0_S8_S5_PS3_.uses_vcc, 1
	.set _ZN2at6native12_GLOBAL__N_118cuComputeGradInputIddLb1EEEvPKT_S5_llPKT0_S8_S5_PS3_.uses_flat_scratch, 0
	.set _ZN2at6native12_GLOBAL__N_118cuComputeGradInputIddLb1EEEvPKT_S5_llPKT0_S8_S5_PS3_.has_dyn_sized_stack, 0
	.set _ZN2at6native12_GLOBAL__N_118cuComputeGradInputIddLb1EEEvPKT_S5_llPKT0_S8_S5_PS3_.has_recursion, 0
	.set _ZN2at6native12_GLOBAL__N_118cuComputeGradInputIddLb1EEEvPKT_S5_llPKT0_S8_S5_PS3_.has_indirect_call, 0
	.section	.AMDGPU.csdata,"",@progbits
; Kernel info:
; codeLenInByte = 1608
; TotalNumSgprs: 53
; NumVgprs: 27
; ScratchSize: 0
; MemoryBound: 0
; FloatMode: 240
; IeeeMode: 1
; LDSByteSize: 0 bytes/workgroup (compile time only)
; SGPRBlocks: 6
; VGPRBlocks: 6
; NumSGPRsForWavesPerEU: 53
; NumVGPRsForWavesPerEU: 27
; Occupancy: 9
; WaveLimiterHint : 0
; COMPUTE_PGM_RSRC2:SCRATCH_EN: 0
; COMPUTE_PGM_RSRC2:USER_SGPR: 6
; COMPUTE_PGM_RSRC2:TRAP_HANDLER: 0
; COMPUTE_PGM_RSRC2:TGID_X_EN: 1
; COMPUTE_PGM_RSRC2:TGID_Y_EN: 1
; COMPUTE_PGM_RSRC2:TGID_Z_EN: 0
; COMPUTE_PGM_RSRC2:TIDIG_COMP_CNT: 1
	.section	.text._ZN2at6native12_GLOBAL__N_128layer_norm_grad_input_kernelIddLb1EEEvPKT_S5_PKT0_S8_S5_PS3_i,"axG",@progbits,_ZN2at6native12_GLOBAL__N_128layer_norm_grad_input_kernelIddLb1EEEvPKT_S5_PKT0_S8_S5_PS3_i,comdat
	.globl	_ZN2at6native12_GLOBAL__N_128layer_norm_grad_input_kernelIddLb1EEEvPKT_S5_PKT0_S8_S5_PS3_i ; -- Begin function _ZN2at6native12_GLOBAL__N_128layer_norm_grad_input_kernelIddLb1EEEvPKT_S5_PKT0_S8_S5_PS3_i
	.p2align	8
	.type	_ZN2at6native12_GLOBAL__N_128layer_norm_grad_input_kernelIddLb1EEEvPKT_S5_PKT0_S8_S5_PS3_i,@function
_ZN2at6native12_GLOBAL__N_128layer_norm_grad_input_kernelIddLb1EEEvPKT_S5_PKT0_S8_S5_PS3_i: ; @_ZN2at6native12_GLOBAL__N_128layer_norm_grad_input_kernelIddLb1EEEvPKT_S5_PKT0_S8_S5_PS3_i
; %bb.0:
	s_load_dword s20, s[4:5], 0x30
	s_load_dwordx4 s[8:11], s[4:5], 0x0
	s_load_dwordx4 s[0:3], s[4:5], 0x18
	s_mov_b32 s7, 0
	v_lshlrev_b32_e32 v1, 2, v0
	s_waitcnt lgkmcnt(0)
	s_ashr_i32 s12, s20, 31
	s_mul_hi_u32 s13, s20, s6
	s_mul_i32 s12, s12, s6
	s_add_i32 s13, s13, s12
	s_mul_i32 s12, s20, s6
	s_lshl_b64 s[6:7], s[6:7], 3
	s_add_u32 s0, s0, s6
	s_addc_u32 s1, s1, s7
	s_load_dwordx2 s[6:7], s[0:1], 0x0
	s_lshl_b64 s[12:13], s[12:13], 3
	s_add_u32 s21, s10, s12
	s_addc_u32 s23, s11, s13
	s_add_u32 s22, s8, s12
	v_or_b32_e32 v2, 3, v1
	v_mov_b32_e32 v3, 0
	s_addc_u32 s24, s9, s13
	v_mov_b32_e32 v4, 0
	v_cmp_gt_u32_e32 vcc, s20, v2
	s_and_saveexec_b64 s[14:15], vcc
	s_cbranch_execz .LBB117_12
; %bb.1:
	s_load_dword s0, s[4:5], 0x44
	s_cmp_lg_u64 s[2:3], 0
	s_cselect_b64 s[18:19], -1, 0
	v_mov_b32_e32 v3, 0
	v_cndmask_b32_e64 v5, 0, 1, s[18:19]
	s_waitcnt lgkmcnt(0)
	s_and_b32 s0, s0, 0xffff
	s_mov_b64 s[16:17], 0
	v_mov_b32_e32 v4, 0
	s_lshl_b32 s25, s0, 2
	v_mov_b32_e32 v2, 0
	v_mov_b32_e32 v31, s23
	;; [unrolled: 1-line block ×3, first 2 shown]
	v_cmp_ne_u32_e64 s[0:1], 1, v5
	s_branch .LBB117_3
.LBB117_2:                              ;   in Loop: Header=BB117_3 Depth=1
	global_load_dwordx2 v[11:12], v[15:16], off offset:24
	s_nop 0
	global_load_dwordx2 v[9:10], v[9:10], off offset:24
	s_waitcnt vmcnt(6)
	v_mul_f64 v[7:8], v[7:8], v[17:18]
	s_waitcnt vmcnt(4)
	v_mul_f64 v[5:6], v[5:6], v[21:22]
	v_add_u32_e32 v1, s25, v1
	v_mul_f64 v[7:8], v[13:14], v[7:8]
	v_mul_f64 v[5:6], v[19:20], v[5:6]
	v_fma_f64 v[3:4], s[6:7], v[7:8], v[3:4]
	s_waitcnt vmcnt(2)
	v_mul_f64 v[7:8], v[25:26], v[29:30]
	v_fma_f64 v[3:4], s[6:7], v[5:6], v[3:4]
	v_mul_f64 v[5:6], v[27:28], v[7:8]
	v_fma_f64 v[3:4], s[6:7], v[5:6], v[3:4]
	s_waitcnt vmcnt(1)
	v_mul_f64 v[7:8], v[23:24], v[11:12]
	s_waitcnt vmcnt(0)
	v_mul_f64 v[5:6], v[9:10], v[7:8]
	v_fma_f64 v[3:4], s[6:7], v[5:6], v[3:4]
	v_add_u32_e32 v5, 3, v1
	v_cmp_le_u32_e32 vcc, s20, v5
	s_or_b64 s[16:17], vcc, s[16:17]
	s_andn2_b64 exec, exec, s[16:17]
	s_cbranch_execz .LBB117_11
.LBB117_3:                              ; =>This Inner Loop Header: Depth=1
	v_mov_b32_e32 v5, 0
	v_lshlrev_b64 v[11:12], 3, v[1:2]
	v_mov_b32_e32 v7, 0
	v_mov_b32_e32 v6, 0x3ff00000
	s_and_b64 vcc, exec, s[18:19]
	v_mov_b32_e32 v8, 0x3ff00000
	s_cbranch_vccz .LBB117_5
; %bb.4:                                ;   in Loop: Header=BB117_3 Depth=1
	v_mov_b32_e32 v8, s3
	v_add_co_u32_e32 v7, vcc, s2, v11
	v_addc_co_u32_e32 v8, vcc, v8, v12, vcc
	global_load_dwordx2 v[7:8], v[7:8], off
.LBB117_5:                              ;   in Loop: Header=BB117_3 Depth=1
	v_add_co_u32_e32 v9, vcc, s21, v11
	v_addc_co_u32_e32 v10, vcc, v31, v12, vcc
	v_add_co_u32_e32 v15, vcc, s22, v11
	v_addc_co_u32_e32 v16, vcc, v32, v12, vcc
	global_load_dwordx2 v[13:14], v[9:10], off
	global_load_dwordx2 v[17:18], v[15:16], off
	s_and_b64 vcc, exec, s[0:1]
	s_cbranch_vccnz .LBB117_7
; %bb.6:                                ;   in Loop: Header=BB117_3 Depth=1
	v_mov_b32_e32 v6, s3
	v_add_co_u32_e32 v5, vcc, s2, v11
	v_addc_co_u32_e32 v6, vcc, v6, v12, vcc
	global_load_dwordx2 v[5:6], v[5:6], off offset:8
.LBB117_7:                              ;   in Loop: Header=BB117_3 Depth=1
	s_nop 0
	global_load_dwordx2 v[19:20], v[9:10], off offset:8
	global_load_dwordx2 v[21:22], v[15:16], off offset:8
	v_mov_b32_e32 v23, 0
	v_mov_b32_e32 v25, 0
	;; [unrolled: 1-line block ×3, first 2 shown]
	s_and_b64 vcc, exec, s[0:1]
	v_mov_b32_e32 v26, 0x3ff00000
	s_cbranch_vccnz .LBB117_9
; %bb.8:                                ;   in Loop: Header=BB117_3 Depth=1
	v_mov_b32_e32 v26, s3
	v_add_co_u32_e32 v25, vcc, s2, v11
	v_addc_co_u32_e32 v26, vcc, v26, v12, vcc
	global_load_dwordx2 v[25:26], v[25:26], off offset:16
.LBB117_9:                              ;   in Loop: Header=BB117_3 Depth=1
	s_nop 0
	global_load_dwordx2 v[27:28], v[9:10], off offset:16
	global_load_dwordx2 v[29:30], v[15:16], off offset:16
	s_and_b64 vcc, exec, s[0:1]
	s_cbranch_vccnz .LBB117_2
; %bb.10:                               ;   in Loop: Header=BB117_3 Depth=1
	v_mov_b32_e32 v23, s3
	v_add_co_u32_e32 v11, vcc, s2, v11
	v_addc_co_u32_e32 v12, vcc, v23, v12, vcc
	global_load_dwordx2 v[23:24], v[11:12], off offset:24
	s_branch .LBB117_2
.LBB117_11:
	s_or_b64 exec, exec, s[16:17]
.LBB117_12:
	s_or_b64 exec, exec, s[14:15]
	v_cmp_gt_u32_e32 vcc, s20, v1
	s_and_saveexec_b64 s[14:15], vcc
	s_cbranch_execz .LBB117_19
; %bb.13:
	v_mov_b32_e32 v2, 0
	v_lshlrev_b64 v[7:8], 3, v[1:2]
	v_mov_b32_e32 v2, s3
	v_add_co_u32_e32 v5, vcc, s2, v7
	v_addc_co_u32_e32 v6, vcc, v2, v8, vcc
	v_mov_b32_e32 v2, s13
	v_add_co_u32_e32 v9, vcc, s12, v7
	v_addc_co_u32_e32 v2, vcc, v2, v8, vcc
	v_mov_b32_e32 v8, s11
	v_add_co_u32_e32 v7, vcc, s10, v9
	s_cmp_lg_u64 s[2:3], 0
	v_addc_co_u32_e32 v8, vcc, v8, v2, vcc
	v_mov_b32_e32 v10, s9
	v_add_co_u32_e32 v9, vcc, s8, v9
	s_cselect_b64 s[0:1], -1, 0
	v_addc_co_u32_e32 v10, vcc, v10, v2, vcc
	v_cndmask_b32_e64 v2, 0, 1, s[0:1]
	s_mov_b64 s[16:17], 0
	v_cmp_ne_u32_e64 s[0:1], 1, v2
	s_branch .LBB117_16
.LBB117_14:                             ;   in Loop: Header=BB117_16 Depth=1
	global_load_dwordx2 v[11:12], v[5:6], off
.LBB117_15:                             ;   in Loop: Header=BB117_16 Depth=1
	global_load_dwordx2 v[13:14], v[9:10], off
	global_load_dwordx2 v[15:16], v[7:8], off
	v_add_co_u32_e32 v5, vcc, 8, v5
	v_addc_co_u32_e32 v6, vcc, 0, v6, vcc
	v_add_co_u32_e32 v7, vcc, 8, v7
	v_add_u32_e32 v1, 1, v1
	v_addc_co_u32_e32 v8, vcc, 0, v8, vcc
	v_cmp_le_u32_e32 vcc, s20, v1
	s_or_b64 s[16:17], vcc, s[16:17]
	v_add_co_u32_e32 v9, vcc, 8, v9
	v_addc_co_u32_e32 v10, vcc, 0, v10, vcc
	s_waitcnt vmcnt(1)
	v_mul_f64 v[11:12], v[11:12], v[13:14]
	s_waitcnt vmcnt(0)
	v_mul_f64 v[11:12], v[15:16], v[11:12]
	s_waitcnt lgkmcnt(0)
	v_fma_f64 v[3:4], s[6:7], v[11:12], v[3:4]
	s_andn2_b64 exec, exec, s[16:17]
	s_cbranch_execz .LBB117_18
.LBB117_16:                             ; =>This Inner Loop Header: Depth=1
	s_and_b64 vcc, exec, s[0:1]
	s_cbranch_vccz .LBB117_14
; %bb.17:                               ;   in Loop: Header=BB117_16 Depth=1
	v_mov_b32_e32 v11, 0
	v_mov_b32_e32 v12, 0x3ff00000
	s_branch .LBB117_15
.LBB117_18:
	s_or_b64 exec, exec, s[16:17]
.LBB117_19:
	s_or_b64 exec, exec, s[14:15]
	v_mbcnt_lo_u32_b32 v1, -1, 0
	v_mbcnt_hi_u32_b32 v10, -1, v1
	v_mov_b32_e32 v1, 0x80
	v_lshl_or_b32 v5, v10, 2, v1
	ds_bpermute_b32 v1, v5, v3
	ds_bpermute_b32 v2, v5, v4
	v_and_b32_e32 v12, 63, v10
	v_cmp_gt_u32_e32 vcc, 48, v12
	v_and_b32_e32 v11, 63, v0
	s_waitcnt lgkmcnt(0)
	v_add_f64 v[1:2], v[3:4], v[1:2]
	v_cndmask_b32_e64 v3, 0, 16, vcc
	v_add_lshl_u32 v6, v3, v10, 2
	v_cmp_gt_u32_e32 vcc, 56, v12
	s_barrier
	ds_bpermute_b32 v3, v6, v1
	ds_bpermute_b32 v4, v6, v2
	s_waitcnt lgkmcnt(0)
	v_add_f64 v[1:2], v[1:2], v[3:4]
	v_cndmask_b32_e64 v3, 0, 8, vcc
	v_add_lshl_u32 v7, v3, v10, 2
	v_cmp_gt_u32_e32 vcc, 60, v12
	ds_bpermute_b32 v3, v7, v1
	ds_bpermute_b32 v4, v7, v2
	s_waitcnt lgkmcnt(0)
	v_add_f64 v[1:2], v[1:2], v[3:4]
	v_cndmask_b32_e64 v3, 0, 4, vcc
	v_add_lshl_u32 v8, v3, v10, 2
	v_cmp_gt_u32_e32 vcc, 62, v12
	ds_bpermute_b32 v3, v8, v1
	ds_bpermute_b32 v4, v8, v2
	s_waitcnt lgkmcnt(0)
	v_add_f64 v[1:2], v[1:2], v[3:4]
	v_cndmask_b32_e64 v3, 0, 2, vcc
	v_add_lshl_u32 v9, v3, v10, 2
	v_cmp_ne_u32_e32 vcc, 63, v12
	ds_bpermute_b32 v3, v9, v1
	ds_bpermute_b32 v4, v9, v2
	s_waitcnt lgkmcnt(0)
	v_add_f64 v[1:2], v[1:2], v[3:4]
	v_addc_co_u32_e32 v3, vcc, 0, v10, vcc
	v_lshlrev_b32_e32 v10, 2, v3
	v_cmp_eq_u32_e32 vcc, 0, v11
	ds_bpermute_b32 v3, v10, v1
	ds_bpermute_b32 v4, v10, v2
	s_and_saveexec_b64 s[0:1], vcc
	s_cbranch_execz .LBB117_21
; %bb.20:
	s_waitcnt lgkmcnt(0)
	v_add_f64 v[1:2], v[1:2], v[3:4]
	v_lshrrev_b32_e32 v3, 3, v0
	v_add_u32_e32 v3, 0, v3
	ds_write_b64 v3, v[1:2]
.LBB117_21:
	s_or_b64 exec, exec, s[0:1]
	s_waitcnt lgkmcnt(0)
	s_barrier
	s_load_dword s8, s[4:5], 0x44
	v_mov_b32_e32 v1, 0
	v_mov_b32_e32 v2, 0
	s_waitcnt lgkmcnt(0)
	s_bfe_u32 s0, s8, 0xa0006
	v_cmp_gt_u32_e32 vcc, s0, v0
	s_and_saveexec_b64 s[0:1], vcc
	s_cbranch_execnz .LBB117_32
; %bb.22:
	s_or_b64 exec, exec, s[0:1]
	v_cmp_gt_u32_e32 vcc, 64, v0
	s_and_saveexec_b64 s[0:1], vcc
	s_cbranch_execnz .LBB117_33
.LBB117_23:
	s_or_b64 exec, exec, s[0:1]
	v_cmp_eq_u32_e32 vcc, 0, v0
	s_and_saveexec_b64 s[0:1], vcc
	s_cbranch_execz .LBB117_25
.LBB117_24:
	v_mov_b32_e32 v3, 0
	s_waitcnt lgkmcnt(0)
	ds_write_b64 v3, v[1:2] offset:8
.LBB117_25:
	s_or_b64 exec, exec, s[0:1]
	v_cmp_gt_i32_e32 vcc, s20, v0
	s_waitcnt lgkmcnt(0)
	s_barrier
	s_and_saveexec_b64 s[0:1], vcc
	s_cbranch_execz .LBB117_31
; %bb.26:
	v_cvt_f64_i32_e32 v[2:3], s20
	s_and_b32 s8, 0xffff, s8
	v_mov_b32_e32 v1, 0
	v_mov_b32_e32 v16, s23
	v_div_scale_f64 v[4:5], s[0:1], v[2:3], v[2:3], 1.0
	s_load_dwordx2 s[0:1], s[4:5], 0x28
	s_mov_b64 s[4:5], 0
	v_mov_b32_e32 v17, s24
	s_waitcnt lgkmcnt(0)
	s_add_u32 s9, s0, s12
	s_addc_u32 s10, s1, s13
	s_cmp_lg_u64 s[2:3], 0
	s_cselect_b64 s[0:1], -1, 0
	v_mov_b32_e32 v18, s10
	v_rcp_f64_e32 v[6:7], v[4:5]
	v_fma_f64 v[8:9], -v[4:5], v[6:7], 1.0
	v_fma_f64 v[6:7], v[6:7], v[8:9], v[6:7]
	v_div_scale_f64 v[8:9], vcc, 1.0, v[2:3], 1.0
	v_fma_f64 v[10:11], -v[4:5], v[6:7], 1.0
	v_fma_f64 v[6:7], v[6:7], v[10:11], v[6:7]
	v_mul_f64 v[10:11], v[8:9], v[6:7]
	v_fma_f64 v[4:5], -v[4:5], v[10:11], v[8:9]
	v_div_fmas_f64 v[4:5], v[4:5], v[6:7], v[10:11]
	v_div_fixup_f64 v[6:7], v[4:5], v[2:3], 1.0
	ds_read_b64 v[4:5], v1 offset:8
	v_cndmask_b32_e64 v1, 0, 1, s[0:1]
	v_cmp_ne_u32_e64 s[0:1], 1, v1
	v_mul_f64 v[6:7], v[6:7], s[6:7]
	s_branch .LBB117_29
.LBB117_27:                             ;   in Loop: Header=BB117_29 Depth=1
	v_mov_b32_e32 v1, s3
	v_add_co_u32_e32 v14, vcc, s2, v8
	v_addc_co_u32_e32 v15, vcc, v1, v9, vcc
	global_load_dwordx2 v[14:15], v[14:15], off
.LBB117_28:                             ;   in Loop: Header=BB117_29 Depth=1
	s_waitcnt vmcnt(1)
	v_mul_f64 v[10:11], s[6:7], v[10:11]
	s_waitcnt vmcnt(0)
	v_mul_f64 v[14:15], v[14:15], v[2:3]
	v_add_co_u32_e32 v8, vcc, s9, v8
	v_addc_co_u32_e32 v9, vcc, v18, v9, vcc
	v_add_u32_e32 v0, s8, v0
	v_cmp_le_i32_e32 vcc, s20, v0
	s_waitcnt lgkmcnt(0)
	v_mul_f64 v[10:11], v[4:5], v[10:11]
	s_or_b64 s[4:5], vcc, s[4:5]
	v_fma_f64 v[10:11], v[12:13], v[14:15], -v[10:11]
	v_mul_f64 v[10:11], v[6:7], v[10:11]
	global_store_dwordx2 v[8:9], v[10:11], off
	s_andn2_b64 exec, exec, s[4:5]
	s_cbranch_execz .LBB117_31
.LBB117_29:                             ; =>This Inner Loop Header: Depth=1
	v_ashrrev_i32_e32 v1, 31, v0
	v_lshlrev_b64 v[8:9], 3, v[0:1]
	v_add_co_u32_e32 v10, vcc, s21, v8
	v_addc_co_u32_e32 v11, vcc, v16, v9, vcc
	v_add_co_u32_e32 v12, vcc, s22, v8
	v_addc_co_u32_e32 v13, vcc, v17, v9, vcc
	global_load_dwordx2 v[10:11], v[10:11], off
	s_and_b64 vcc, exec, s[0:1]
	global_load_dwordx2 v[12:13], v[12:13], off
	s_cbranch_vccz .LBB117_27
; %bb.30:                               ;   in Loop: Header=BB117_29 Depth=1
	v_mov_b32_e32 v14, 0
	v_mov_b32_e32 v15, 0x3ff00000
	s_branch .LBB117_28
.LBB117_31:
	s_endpgm
.LBB117_32:
	v_lshl_add_u32 v1, v11, 3, 0
	ds_read_b64 v[1:2], v1
	s_or_b64 exec, exec, s[0:1]
	v_cmp_gt_u32_e32 vcc, 64, v0
	s_and_saveexec_b64 s[0:1], vcc
	s_cbranch_execz .LBB117_23
.LBB117_33:
	s_waitcnt lgkmcnt(0)
	ds_bpermute_b32 v3, v5, v1
	ds_bpermute_b32 v4, v5, v2
	s_waitcnt lgkmcnt(0)
	v_add_f64 v[1:2], v[1:2], v[3:4]
	ds_bpermute_b32 v3, v6, v1
	ds_bpermute_b32 v4, v6, v2
	s_waitcnt lgkmcnt(0)
	v_add_f64 v[1:2], v[1:2], v[3:4]
	;; [unrolled: 4-line block ×6, first 2 shown]
	s_or_b64 exec, exec, s[0:1]
	v_cmp_eq_u32_e32 vcc, 0, v0
	s_and_saveexec_b64 s[0:1], vcc
	s_cbranch_execnz .LBB117_24
	s_branch .LBB117_25
	.section	.rodata,"a",@progbits
	.p2align	6, 0x0
	.amdhsa_kernel _ZN2at6native12_GLOBAL__N_128layer_norm_grad_input_kernelIddLb1EEEvPKT_S5_PKT0_S8_S5_PS3_i
		.amdhsa_group_segment_fixed_size 0
		.amdhsa_private_segment_fixed_size 0
		.amdhsa_kernarg_size 312
		.amdhsa_user_sgpr_count 6
		.amdhsa_user_sgpr_private_segment_buffer 1
		.amdhsa_user_sgpr_dispatch_ptr 0
		.amdhsa_user_sgpr_queue_ptr 0
		.amdhsa_user_sgpr_kernarg_segment_ptr 1
		.amdhsa_user_sgpr_dispatch_id 0
		.amdhsa_user_sgpr_flat_scratch_init 0
		.amdhsa_user_sgpr_private_segment_size 0
		.amdhsa_uses_dynamic_stack 0
		.amdhsa_system_sgpr_private_segment_wavefront_offset 0
		.amdhsa_system_sgpr_workgroup_id_x 1
		.amdhsa_system_sgpr_workgroup_id_y 0
		.amdhsa_system_sgpr_workgroup_id_z 0
		.amdhsa_system_sgpr_workgroup_info 0
		.amdhsa_system_vgpr_workitem_id 0
		.amdhsa_next_free_vgpr 33
		.amdhsa_next_free_sgpr 26
		.amdhsa_reserve_vcc 1
		.amdhsa_reserve_flat_scratch 0
		.amdhsa_float_round_mode_32 0
		.amdhsa_float_round_mode_16_64 0
		.amdhsa_float_denorm_mode_32 3
		.amdhsa_float_denorm_mode_16_64 3
		.amdhsa_dx10_clamp 1
		.amdhsa_ieee_mode 1
		.amdhsa_fp16_overflow 0
		.amdhsa_exception_fp_ieee_invalid_op 0
		.amdhsa_exception_fp_denorm_src 0
		.amdhsa_exception_fp_ieee_div_zero 0
		.amdhsa_exception_fp_ieee_overflow 0
		.amdhsa_exception_fp_ieee_underflow 0
		.amdhsa_exception_fp_ieee_inexact 0
		.amdhsa_exception_int_div_zero 0
	.end_amdhsa_kernel
	.section	.text._ZN2at6native12_GLOBAL__N_128layer_norm_grad_input_kernelIddLb1EEEvPKT_S5_PKT0_S8_S5_PS3_i,"axG",@progbits,_ZN2at6native12_GLOBAL__N_128layer_norm_grad_input_kernelIddLb1EEEvPKT_S5_PKT0_S8_S5_PS3_i,comdat
.Lfunc_end117:
	.size	_ZN2at6native12_GLOBAL__N_128layer_norm_grad_input_kernelIddLb1EEEvPKT_S5_PKT0_S8_S5_PS3_i, .Lfunc_end117-_ZN2at6native12_GLOBAL__N_128layer_norm_grad_input_kernelIddLb1EEEvPKT_S5_PKT0_S8_S5_PS3_i
                                        ; -- End function
	.set _ZN2at6native12_GLOBAL__N_128layer_norm_grad_input_kernelIddLb1EEEvPKT_S5_PKT0_S8_S5_PS3_i.num_vgpr, 33
	.set _ZN2at6native12_GLOBAL__N_128layer_norm_grad_input_kernelIddLb1EEEvPKT_S5_PKT0_S8_S5_PS3_i.num_agpr, 0
	.set _ZN2at6native12_GLOBAL__N_128layer_norm_grad_input_kernelIddLb1EEEvPKT_S5_PKT0_S8_S5_PS3_i.numbered_sgpr, 26
	.set _ZN2at6native12_GLOBAL__N_128layer_norm_grad_input_kernelIddLb1EEEvPKT_S5_PKT0_S8_S5_PS3_i.num_named_barrier, 0
	.set _ZN2at6native12_GLOBAL__N_128layer_norm_grad_input_kernelIddLb1EEEvPKT_S5_PKT0_S8_S5_PS3_i.private_seg_size, 0
	.set _ZN2at6native12_GLOBAL__N_128layer_norm_grad_input_kernelIddLb1EEEvPKT_S5_PKT0_S8_S5_PS3_i.uses_vcc, 1
	.set _ZN2at6native12_GLOBAL__N_128layer_norm_grad_input_kernelIddLb1EEEvPKT_S5_PKT0_S8_S5_PS3_i.uses_flat_scratch, 0
	.set _ZN2at6native12_GLOBAL__N_128layer_norm_grad_input_kernelIddLb1EEEvPKT_S5_PKT0_S8_S5_PS3_i.has_dyn_sized_stack, 0
	.set _ZN2at6native12_GLOBAL__N_128layer_norm_grad_input_kernelIddLb1EEEvPKT_S5_PKT0_S8_S5_PS3_i.has_recursion, 0
	.set _ZN2at6native12_GLOBAL__N_128layer_norm_grad_input_kernelIddLb1EEEvPKT_S5_PKT0_S8_S5_PS3_i.has_indirect_call, 0
	.section	.AMDGPU.csdata,"",@progbits
; Kernel info:
; codeLenInByte = 1888
; TotalNumSgprs: 30
; NumVgprs: 33
; ScratchSize: 0
; MemoryBound: 0
; FloatMode: 240
; IeeeMode: 1
; LDSByteSize: 0 bytes/workgroup (compile time only)
; SGPRBlocks: 3
; VGPRBlocks: 8
; NumSGPRsForWavesPerEU: 30
; NumVGPRsForWavesPerEU: 33
; Occupancy: 7
; WaveLimiterHint : 0
; COMPUTE_PGM_RSRC2:SCRATCH_EN: 0
; COMPUTE_PGM_RSRC2:USER_SGPR: 6
; COMPUTE_PGM_RSRC2:TRAP_HANDLER: 0
; COMPUTE_PGM_RSRC2:TGID_X_EN: 1
; COMPUTE_PGM_RSRC2:TGID_Y_EN: 0
; COMPUTE_PGM_RSRC2:TGID_Z_EN: 0
; COMPUTE_PGM_RSRC2:TIDIG_COMP_CNT: 0
	.section	.text._ZN2at6native12_GLOBAL__N_133GammaBetaBackwardSimpleCUDAKernelIddLb1EEEvllPKT_S5_PKT0_S8_PS3_S9_,"axG",@progbits,_ZN2at6native12_GLOBAL__N_133GammaBetaBackwardSimpleCUDAKernelIddLb1EEEvllPKT_S5_PKT0_S8_PS3_S9_,comdat
	.globl	_ZN2at6native12_GLOBAL__N_133GammaBetaBackwardSimpleCUDAKernelIddLb1EEEvllPKT_S5_PKT0_S8_PS3_S9_ ; -- Begin function _ZN2at6native12_GLOBAL__N_133GammaBetaBackwardSimpleCUDAKernelIddLb1EEEvllPKT_S5_PKT0_S8_PS3_S9_
	.p2align	8
	.type	_ZN2at6native12_GLOBAL__N_133GammaBetaBackwardSimpleCUDAKernelIddLb1EEEvllPKT_S5_PKT0_S8_PS3_S9_,@function
_ZN2at6native12_GLOBAL__N_133GammaBetaBackwardSimpleCUDAKernelIddLb1EEEvllPKT_S5_PKT0_S8_PS3_S9_: ; @_ZN2at6native12_GLOBAL__N_133GammaBetaBackwardSimpleCUDAKernelIddLb1EEEvllPKT_S5_PKT0_S8_PS3_S9_
; %bb.0:
	s_load_dword s0, s[4:5], 0x4c
	v_mov_b32_e32 v1, 0
	s_load_dwordx8 s[8:15], s[4:5], 0x0
	v_mov_b32_e32 v2, s6
	s_waitcnt lgkmcnt(0)
	s_and_b32 s0, s0, 0xffff
	v_mad_u64_u32 v[0:1], s[0:1], s0, v2, v[0:1]
	v_cmp_gt_i64_e32 vcc, s[10:11], v[0:1]
	s_and_saveexec_b64 s[0:1], vcc
	s_cbranch_execz .LBB118_9
; %bb.1:
	s_load_dwordx4 s[16:19], s[4:5], 0x28
	v_cmp_lt_i64_e64 s[0:1], s[8:9], 1
	v_lshlrev_b64 v[0:1], 3, v[0:1]
	s_and_b64 vcc, exec, s[0:1]
	s_cbranch_vccnz .LBB118_6
; %bb.2:
	s_waitcnt lgkmcnt(0)
	s_cmp_lg_u64 s[18:19], 0
	s_cselect_b64 s[0:1], -1, 0
	v_cndmask_b32_e64 v4, 0, 1, s[0:1]
	s_lshl_b64 s[2:3], s[10:11], 3
	v_mov_b32_e32 v2, 0
	v_cmp_ne_u32_e64 s[0:1], 1, v4
	v_mov_b32_e32 v5, v1
	v_mov_b32_e32 v3, 0
	;; [unrolled: 1-line block ×4, first 2 shown]
	s_branch .LBB118_4
.LBB118_3:                              ;   in Loop: Header=BB118_4 Depth=1
	v_add_f64 v[2:3], v[2:3], v[6:7]
	s_add_u32 s8, s8, -1
	s_addc_u32 s9, s9, -1
	s_add_u32 s16, s16, 8
	s_addc_u32 s17, s17, 0
	v_add_co_u32_e32 v4, vcc, s2, v4
	s_cmp_eq_u64 s[8:9], 0
	v_addc_co_u32_e32 v5, vcc, v5, v8, vcc
	s_cbranch_scc1 .LBB118_7
.LBB118_4:                              ; =>This Inner Loop Header: Depth=1
	v_mov_b32_e32 v6, 0
	s_and_b64 vcc, exec, s[0:1]
	v_mov_b32_e32 v7, 0
	s_cbranch_vccnz .LBB118_3
; %bb.5:                                ;   in Loop: Header=BB118_4 Depth=1
	v_mov_b32_e32 v7, s13
	v_add_co_u32_e32 v6, vcc, s12, v4
	v_addc_co_u32_e32 v7, vcc, v7, v5, vcc
	v_mov_b32_e32 v10, s15
	v_add_co_u32_e32 v9, vcc, s14, v4
	v_addc_co_u32_e32 v10, vcc, v10, v5, vcc
	global_load_dwordx2 v[6:7], v[6:7], off
	s_load_dwordx2 s[4:5], s[16:17], 0x0
	global_load_dwordx2 v[9:10], v[9:10], off
	s_waitcnt vmcnt(0)
	v_mul_f64 v[6:7], v[6:7], v[9:10]
	s_waitcnt lgkmcnt(0)
	v_mul_f64 v[6:7], v[6:7], s[4:5]
	s_branch .LBB118_3
.LBB118_6:
	v_mov_b32_e32 v2, 0
	v_mov_b32_e32 v3, 0
.LBB118_7:
	s_waitcnt lgkmcnt(0)
	s_cmp_lg_u64 s[18:19], 0
	s_cbranch_scc0 .LBB118_9
; %bb.8:
	v_mov_b32_e32 v4, s19
	v_add_co_u32_e32 v0, vcc, s18, v0
	v_addc_co_u32_e32 v1, vcc, v4, v1, vcc
	global_store_dwordx2 v[0:1], v[2:3], off
.LBB118_9:
	s_endpgm
	.section	.rodata,"a",@progbits
	.p2align	6, 0x0
	.amdhsa_kernel _ZN2at6native12_GLOBAL__N_133GammaBetaBackwardSimpleCUDAKernelIddLb1EEEvllPKT_S5_PKT0_S8_PS3_S9_
		.amdhsa_group_segment_fixed_size 0
		.amdhsa_private_segment_fixed_size 0
		.amdhsa_kernarg_size 320
		.amdhsa_user_sgpr_count 6
		.amdhsa_user_sgpr_private_segment_buffer 1
		.amdhsa_user_sgpr_dispatch_ptr 0
		.amdhsa_user_sgpr_queue_ptr 0
		.amdhsa_user_sgpr_kernarg_segment_ptr 1
		.amdhsa_user_sgpr_dispatch_id 0
		.amdhsa_user_sgpr_flat_scratch_init 0
		.amdhsa_user_sgpr_private_segment_size 0
		.amdhsa_uses_dynamic_stack 0
		.amdhsa_system_sgpr_private_segment_wavefront_offset 0
		.amdhsa_system_sgpr_workgroup_id_x 1
		.amdhsa_system_sgpr_workgroup_id_y 0
		.amdhsa_system_sgpr_workgroup_id_z 0
		.amdhsa_system_sgpr_workgroup_info 0
		.amdhsa_system_vgpr_workitem_id 0
		.amdhsa_next_free_vgpr 11
		.amdhsa_next_free_sgpr 20
		.amdhsa_reserve_vcc 1
		.amdhsa_reserve_flat_scratch 0
		.amdhsa_float_round_mode_32 0
		.amdhsa_float_round_mode_16_64 0
		.amdhsa_float_denorm_mode_32 3
		.amdhsa_float_denorm_mode_16_64 3
		.amdhsa_dx10_clamp 1
		.amdhsa_ieee_mode 1
		.amdhsa_fp16_overflow 0
		.amdhsa_exception_fp_ieee_invalid_op 0
		.amdhsa_exception_fp_denorm_src 0
		.amdhsa_exception_fp_ieee_div_zero 0
		.amdhsa_exception_fp_ieee_overflow 0
		.amdhsa_exception_fp_ieee_underflow 0
		.amdhsa_exception_fp_ieee_inexact 0
		.amdhsa_exception_int_div_zero 0
	.end_amdhsa_kernel
	.section	.text._ZN2at6native12_GLOBAL__N_133GammaBetaBackwardSimpleCUDAKernelIddLb1EEEvllPKT_S5_PKT0_S8_PS3_S9_,"axG",@progbits,_ZN2at6native12_GLOBAL__N_133GammaBetaBackwardSimpleCUDAKernelIddLb1EEEvllPKT_S5_PKT0_S8_PS3_S9_,comdat
.Lfunc_end118:
	.size	_ZN2at6native12_GLOBAL__N_133GammaBetaBackwardSimpleCUDAKernelIddLb1EEEvllPKT_S5_PKT0_S8_PS3_S9_, .Lfunc_end118-_ZN2at6native12_GLOBAL__N_133GammaBetaBackwardSimpleCUDAKernelIddLb1EEEvllPKT_S5_PKT0_S8_PS3_S9_
                                        ; -- End function
	.set _ZN2at6native12_GLOBAL__N_133GammaBetaBackwardSimpleCUDAKernelIddLb1EEEvllPKT_S5_PKT0_S8_PS3_S9_.num_vgpr, 11
	.set _ZN2at6native12_GLOBAL__N_133GammaBetaBackwardSimpleCUDAKernelIddLb1EEEvllPKT_S5_PKT0_S8_PS3_S9_.num_agpr, 0
	.set _ZN2at6native12_GLOBAL__N_133GammaBetaBackwardSimpleCUDAKernelIddLb1EEEvllPKT_S5_PKT0_S8_PS3_S9_.numbered_sgpr, 20
	.set _ZN2at6native12_GLOBAL__N_133GammaBetaBackwardSimpleCUDAKernelIddLb1EEEvllPKT_S5_PKT0_S8_PS3_S9_.num_named_barrier, 0
	.set _ZN2at6native12_GLOBAL__N_133GammaBetaBackwardSimpleCUDAKernelIddLb1EEEvllPKT_S5_PKT0_S8_PS3_S9_.private_seg_size, 0
	.set _ZN2at6native12_GLOBAL__N_133GammaBetaBackwardSimpleCUDAKernelIddLb1EEEvllPKT_S5_PKT0_S8_PS3_S9_.uses_vcc, 1
	.set _ZN2at6native12_GLOBAL__N_133GammaBetaBackwardSimpleCUDAKernelIddLb1EEEvllPKT_S5_PKT0_S8_PS3_S9_.uses_flat_scratch, 0
	.set _ZN2at6native12_GLOBAL__N_133GammaBetaBackwardSimpleCUDAKernelIddLb1EEEvllPKT_S5_PKT0_S8_PS3_S9_.has_dyn_sized_stack, 0
	.set _ZN2at6native12_GLOBAL__N_133GammaBetaBackwardSimpleCUDAKernelIddLb1EEEvllPKT_S5_PKT0_S8_PS3_S9_.has_recursion, 0
	.set _ZN2at6native12_GLOBAL__N_133GammaBetaBackwardSimpleCUDAKernelIddLb1EEEvllPKT_S5_PKT0_S8_PS3_S9_.has_indirect_call, 0
	.section	.AMDGPU.csdata,"",@progbits
; Kernel info:
; codeLenInByte = 320
; TotalNumSgprs: 24
; NumVgprs: 11
; ScratchSize: 0
; MemoryBound: 1
; FloatMode: 240
; IeeeMode: 1
; LDSByteSize: 0 bytes/workgroup (compile time only)
; SGPRBlocks: 2
; VGPRBlocks: 2
; NumSGPRsForWavesPerEU: 24
; NumVGPRsForWavesPerEU: 11
; Occupancy: 10
; WaveLimiterHint : 0
; COMPUTE_PGM_RSRC2:SCRATCH_EN: 0
; COMPUTE_PGM_RSRC2:USER_SGPR: 6
; COMPUTE_PGM_RSRC2:TRAP_HANDLER: 0
; COMPUTE_PGM_RSRC2:TGID_X_EN: 1
; COMPUTE_PGM_RSRC2:TGID_Y_EN: 0
; COMPUTE_PGM_RSRC2:TGID_Z_EN: 0
; COMPUTE_PGM_RSRC2:TIDIG_COMP_CNT: 0
	.section	.text._ZN2at6native12_GLOBAL__N_135GammaBetaBackwardCUDAKernelTemplateIddLj64ELj1ELj32ELb1ELb1ELb1EEEvllPKT_S5_PKT0_S8_PS3_S9_,"axG",@progbits,_ZN2at6native12_GLOBAL__N_135GammaBetaBackwardCUDAKernelTemplateIddLj64ELj1ELj32ELb1ELb1ELb1EEEvllPKT_S5_PKT0_S8_PS3_S9_,comdat
	.globl	_ZN2at6native12_GLOBAL__N_135GammaBetaBackwardCUDAKernelTemplateIddLj64ELj1ELj32ELb1ELb1ELb1EEEvllPKT_S5_PKT0_S8_PS3_S9_ ; -- Begin function _ZN2at6native12_GLOBAL__N_135GammaBetaBackwardCUDAKernelTemplateIddLj64ELj1ELj32ELb1ELb1ELb1EEEvllPKT_S5_PKT0_S8_PS3_S9_
	.p2align	8
	.type	_ZN2at6native12_GLOBAL__N_135GammaBetaBackwardCUDAKernelTemplateIddLj64ELj1ELj32ELb1ELb1ELb1EEEvllPKT_S5_PKT0_S8_PS3_S9_,@function
_ZN2at6native12_GLOBAL__N_135GammaBetaBackwardCUDAKernelTemplateIddLj64ELj1ELj32ELb1ELb1ELb1EEEvllPKT_S5_PKT0_S8_PS3_S9_: ; @_ZN2at6native12_GLOBAL__N_135GammaBetaBackwardCUDAKernelTemplateIddLj64ELj1ELj32ELb1ELb1ELb1EEEvllPKT_S5_PKT0_S8_PS3_S9_
; %bb.0:
	s_load_dwordx4 s[8:11], s[4:5], 0x0
	s_load_dwordx2 s[16:17], s[4:5], 0x30
	s_lshl_b32 s18, s7, 5
	s_mov_b32 s19, 0
	v_mov_b32_e32 v2, s18
	v_mov_b32_e32 v3, s19
	s_waitcnt lgkmcnt(0)
	v_cmp_le_i64_e32 vcc, s[8:9], v[2:3]
	v_mov_b32_e32 v8, 0
	v_mov_b32_e32 v9, 0
	s_cbranch_vccnz .LBB119_7
; %bb.1:
	s_load_dword s0, s[4:5], 0x4c
	s_load_dword s22, s[4:5], 0x44
	s_load_dwordx4 s[12:15], s[4:5], 0x10
	s_load_dwordx2 s[2:3], s[4:5], 0x28
	v_lshlrev_b32_e32 v2, 5, v1
	s_waitcnt lgkmcnt(0)
	s_and_b32 s0, s0, 0xffff
	v_mad_u32_u24 v3, v1, s0, v0
	v_and_b32_e32 v3, 63, v3
	v_mbcnt_lo_u32_b32 v4, -1, 0
	v_add_co_u32_e32 v8, vcc, s18, v2
	v_mbcnt_hi_u32_b32 v4, -1, v4
	v_addc_co_u32_e64 v9, s[20:21], 0, 0, vcc
	v_add_co_u32_e32 v2, vcc, v8, v3
	v_cmp_gt_u32_e64 s[0:1], 32, v3
	v_lshlrev_b32_e32 v4, 2, v4
	v_addc_co_u32_e32 v3, vcc, 0, v9, vcc
	v_and_b32_e32 v10, 0x100, v4
	v_lshlrev_b64 v[4:5], 3, v[2:3]
	v_mov_b32_e32 v14, s3
	v_add_co_u32_e32 v4, vcc, s2, v4
	v_mul_lo_u32 v17, s11, v8
	v_mul_lo_u32 v18, s10, v9
	v_mad_u64_u32 v[8:9], s[2:3], s10, v8, 0
	v_mov_b32_e32 v7, 0
	v_lshl_or_b32 v6, s6, 6, v0
	v_add3_u32 v9, v9, v18, v17
	v_lshlrev_b64 v[8:9], 3, v[8:9]
	v_lshlrev_b64 v[6:7], 3, v[6:7]
	v_addc_co_u32_e32 v5, vcc, v14, v5, vcc
	s_lshl_b32 s20, s22, 5
	v_add_co_u32_e32 v18, vcc, v8, v6
	s_mul_i32 s2, s11, s20
	s_mul_hi_u32 s3, s10, s20
	v_addc_co_u32_e32 v19, vcc, v9, v7, vcc
	s_mov_b32 s21, s19
	s_add_i32 s3, s3, s2
	s_mul_i32 s2, s10, s20
	v_mov_b32_e32 v8, 0
	v_or_b32_e32 v11, 4, v10
	v_or_b32_e32 v12, 8, v10
	;; [unrolled: 1-line block ×10, first 2 shown]
	s_lshl_b64 s[22:23], s[20:21], 3
	s_lshl_b64 s[24:25], s[2:3], 3
	s_lshl_b64 s[26:27], s[10:11], 3
	v_or_b32_e32 v23, 44, v10
	v_or_b32_e32 v24, 48, v10
	;; [unrolled: 1-line block ×20, first 2 shown]
	v_mov_b32_e32 v9, 0
	v_or_b32_e32 v43, 0x7c, v10
	s_branch .LBB119_4
.LBB119_2:                              ;   in Loop: Header=BB119_4 Depth=1
	s_or_b64 exec, exec, s[28:29]
.LBB119_3:                              ;   in Loop: Header=BB119_4 Depth=1
	s_or_b64 exec, exec, s[2:3]
	v_mov_b32_e32 v44, s13
	v_add_co_u32_e32 v45, vcc, s12, v18
	v_addc_co_u32_e32 v46, vcc, v44, v19, vcc
	v_mov_b32_e32 v44, s15
	v_add_co_u32_e32 v47, vcc, s14, v18
	v_addc_co_u32_e32 v48, vcc, v44, v19, vcc
	global_load_dwordx2 v[49:50], v[45:46], off
	global_load_dwordx2 v[51:52], v[47:48], off
	v_mov_b32_e32 v44, s27
	v_add_co_u32_e32 v45, vcc, s26, v45
	v_addc_co_u32_e32 v46, vcc, v46, v44, vcc
	v_add_co_u32_e32 v47, vcc, s26, v47
	v_addc_co_u32_e32 v48, vcc, v48, v44, vcc
	global_load_dwordx2 v[53:54], v[45:46], off
	global_load_dwordx2 v[55:56], v[47:48], off
	v_add_co_u32_e32 v45, vcc, s26, v45
	v_addc_co_u32_e32 v46, vcc, v46, v44, vcc
	v_add_co_u32_e32 v47, vcc, s26, v47
	v_addc_co_u32_e32 v48, vcc, v48, v44, vcc
	global_load_dwordx2 v[57:58], v[45:46], off
	global_load_dwordx2 v[59:60], v[47:48], off
	v_add_co_u32_e32 v45, vcc, s26, v45
	v_addc_co_u32_e32 v46, vcc, v46, v44, vcc
	v_add_co_u32_e32 v47, vcc, s26, v47
	v_addc_co_u32_e32 v48, vcc, v48, v44, vcc
	s_add_u32 s18, s18, s20
	s_addc_u32 s19, s19, 0
	v_add_co_u32_e64 v4, s[2:3], s22, v4
	s_waitcnt vmcnt(4)
	v_mul_f64 v[49:50], v[49:50], v[51:52]
	ds_bpermute_b32 v51, v10, v6
	ds_bpermute_b32 v52, v10, v7
	s_waitcnt lgkmcnt(0)
	v_fma_f64 v[8:9], v[49:50], v[51:52], v[8:9]
	global_load_dwordx2 v[49:50], v[45:46], off
	global_load_dwordx2 v[51:52], v[47:48], off
	s_waitcnt vmcnt(4)
	v_mul_f64 v[53:54], v[53:54], v[55:56]
	ds_bpermute_b32 v55, v11, v6
	ds_bpermute_b32 v56, v11, v7
	v_add_co_u32_e32 v45, vcc, s26, v45
	v_addc_co_u32_e32 v46, vcc, v46, v44, vcc
	v_add_co_u32_e32 v47, vcc, s26, v47
	v_addc_co_u32_e32 v48, vcc, v48, v44, vcc
	s_waitcnt lgkmcnt(0)
	v_fma_f64 v[8:9], v[53:54], v[55:56], v[8:9]
	global_load_dwordx2 v[53:54], v[45:46], off
	global_load_dwordx2 v[55:56], v[47:48], off
	s_waitcnt vmcnt(4)
	v_mul_f64 v[57:58], v[57:58], v[59:60]
	ds_bpermute_b32 v59, v12, v6
	ds_bpermute_b32 v60, v12, v7
	v_add_co_u32_e32 v45, vcc, s26, v45
	v_addc_co_u32_e32 v46, vcc, v46, v44, vcc
	v_add_co_u32_e32 v47, vcc, s26, v47
	v_addc_co_u32_e32 v48, vcc, v48, v44, vcc
	s_waitcnt lgkmcnt(0)
	v_fma_f64 v[8:9], v[57:58], v[59:60], v[8:9]
	global_load_dwordx2 v[57:58], v[45:46], off
	global_load_dwordx2 v[59:60], v[47:48], off
	v_add_co_u32_e32 v45, vcc, s26, v45
	v_addc_co_u32_e32 v46, vcc, v46, v44, vcc
	v_add_co_u32_e32 v47, vcc, s26, v47
	v_addc_co_u32_e32 v48, vcc, v48, v44, vcc
	s_waitcnt vmcnt(4)
	v_mul_f64 v[49:50], v[49:50], v[51:52]
	ds_bpermute_b32 v51, v13, v6
	ds_bpermute_b32 v52, v13, v7
	s_waitcnt lgkmcnt(0)
	v_fma_f64 v[8:9], v[49:50], v[51:52], v[8:9]
	global_load_dwordx2 v[49:50], v[45:46], off
	global_load_dwordx2 v[51:52], v[47:48], off
	v_add_co_u32_e32 v45, vcc, s26, v45
	v_addc_co_u32_e32 v46, vcc, v46, v44, vcc
	s_waitcnt vmcnt(4)
	v_mul_f64 v[53:54], v[53:54], v[55:56]
	ds_bpermute_b32 v55, v14, v6
	ds_bpermute_b32 v56, v14, v7
	v_add_co_u32_e32 v47, vcc, s26, v47
	v_addc_co_u32_e32 v48, vcc, v48, v44, vcc
	s_waitcnt lgkmcnt(0)
	v_fma_f64 v[8:9], v[53:54], v[55:56], v[8:9]
	ds_bpermute_b32 v53, v15, v6
	ds_bpermute_b32 v54, v15, v7
	;; [unrolled: 1-line block ×4, first 2 shown]
	s_waitcnt vmcnt(2)
	v_mul_f64 v[57:58], v[57:58], v[59:60]
	global_load_dwordx2 v[59:60], v[45:46], off
	v_add_co_u32_e32 v45, vcc, s26, v45
	v_addc_co_u32_e32 v46, vcc, v46, v44, vcc
	s_waitcnt lgkmcnt(2)
	v_fma_f64 v[8:9], v[57:58], v[53:54], v[8:9]
	global_load_dwordx2 v[53:54], v[47:48], off
	v_add_co_u32_e32 v47, vcc, s26, v47
	v_addc_co_u32_e32 v48, vcc, v48, v44, vcc
	v_add_co_u32_e32 v57, vcc, s26, v45
	v_addc_co_u32_e32 v58, vcc, v46, v44, vcc
	global_load_dwordx2 v[45:46], v[45:46], off
	s_waitcnt vmcnt(3)
	v_mul_f64 v[49:50], v[49:50], v[51:52]
	v_add_co_u32_e32 v51, vcc, s26, v47
	v_addc_co_u32_e32 v52, vcc, v48, v44, vcc
	global_load_dwordx2 v[47:48], v[47:48], off
	s_waitcnt lgkmcnt(0)
	v_fma_f64 v[8:9], v[49:50], v[55:56], v[8:9]
	global_load_dwordx2 v[49:50], v[57:58], off
	global_load_dwordx2 v[55:56], v[51:52], off
	v_add_co_u32_e32 v57, vcc, s26, v57
	v_addc_co_u32_e32 v58, vcc, v58, v44, vcc
	s_waitcnt vmcnt(4)
	v_mul_f64 v[53:54], v[59:60], v[53:54]
	ds_bpermute_b32 v59, v17, v6
	ds_bpermute_b32 v60, v17, v7
	s_waitcnt lgkmcnt(0)
	v_fma_f64 v[8:9], v[53:54], v[59:60], v[8:9]
	ds_bpermute_b32 v53, v20, v6
	ds_bpermute_b32 v54, v20, v7
	;; [unrolled: 1-line block ×4, first 2 shown]
	s_waitcnt vmcnt(2)
	v_mul_f64 v[45:46], v[45:46], v[47:48]
	v_add_co_u32_e32 v47, vcc, s26, v51
	v_addc_co_u32_e32 v48, vcc, v52, v44, vcc
	global_load_dwordx2 v[51:52], v[57:58], off
	s_waitcnt vmcnt(1)
	v_mul_f64 v[49:50], v[49:50], v[55:56]
	global_load_dwordx2 v[55:56], v[47:48], off
	s_waitcnt lgkmcnt(2)
	v_fma_f64 v[8:9], v[45:46], v[53:54], v[8:9]
	v_add_co_u32_e32 v45, vcc, s26, v57
	v_addc_co_u32_e32 v46, vcc, v58, v44, vcc
	v_add_co_u32_e32 v47, vcc, s26, v47
	v_addc_co_u32_e32 v48, vcc, v48, v44, vcc
	global_load_dwordx2 v[53:54], v[45:46], off
	global_load_dwordx2 v[57:58], v[47:48], off
	v_add_co_u32_e32 v45, vcc, s26, v45
	v_addc_co_u32_e32 v46, vcc, v46, v44, vcc
	v_add_co_u32_e32 v47, vcc, s26, v47
	s_waitcnt lgkmcnt(0)
	v_fma_f64 v[8:9], v[49:50], v[59:60], v[8:9]
	v_addc_co_u32_e32 v48, vcc, v48, v44, vcc
	global_load_dwordx2 v[49:50], v[45:46], off
	global_load_dwordx2 v[59:60], v[47:48], off
	v_add_co_u32_e32 v45, vcc, s26, v45
	v_addc_co_u32_e32 v46, vcc, v46, v44, vcc
	v_add_co_u32_e32 v47, vcc, s26, v47
	v_addc_co_u32_e32 v48, vcc, v48, v44, vcc
	s_waitcnt vmcnt(4)
	v_mul_f64 v[51:52], v[51:52], v[55:56]
	ds_bpermute_b32 v55, v22, v6
	ds_bpermute_b32 v56, v22, v7
	s_waitcnt lgkmcnt(0)
	v_fma_f64 v[8:9], v[51:52], v[55:56], v[8:9]
	s_waitcnt vmcnt(2)
	v_mul_f64 v[51:52], v[53:54], v[57:58]
	ds_bpermute_b32 v53, v23, v6
	ds_bpermute_b32 v54, v23, v7
	s_waitcnt lgkmcnt(0)
	v_fma_f64 v[8:9], v[51:52], v[53:54], v[8:9]
	ds_bpermute_b32 v51, v24, v6
	s_waitcnt vmcnt(0)
	v_mul_f64 v[49:50], v[49:50], v[59:60]
	ds_bpermute_b32 v52, v24, v7
	s_waitcnt lgkmcnt(0)
	v_fma_f64 v[8:9], v[49:50], v[51:52], v[8:9]
	global_load_dwordx2 v[49:50], v[45:46], off
	global_load_dwordx2 v[51:52], v[47:48], off
	v_add_co_u32_e32 v45, vcc, s26, v45
	v_addc_co_u32_e32 v46, vcc, v46, v44, vcc
	v_add_co_u32_e32 v47, vcc, s26, v47
	v_addc_co_u32_e32 v48, vcc, v48, v44, vcc
	global_load_dwordx2 v[53:54], v[45:46], off
	global_load_dwordx2 v[55:56], v[47:48], off
	v_add_co_u32_e32 v45, vcc, s26, v45
	v_addc_co_u32_e32 v46, vcc, v46, v44, vcc
	v_add_co_u32_e32 v47, vcc, s26, v47
	v_addc_co_u32_e32 v48, vcc, v48, v44, vcc
	global_load_dwordx2 v[57:58], v[45:46], off
	global_load_dwordx2 v[59:60], v[47:48], off
	v_add_co_u32_e32 v45, vcc, s26, v45
	v_addc_co_u32_e32 v46, vcc, v46, v44, vcc
	v_add_co_u32_e32 v47, vcc, s26, v47
	v_addc_co_u32_e32 v48, vcc, v48, v44, vcc
	s_waitcnt vmcnt(4)
	v_mul_f64 v[49:50], v[49:50], v[51:52]
	ds_bpermute_b32 v51, v25, v6
	ds_bpermute_b32 v52, v25, v7
	s_waitcnt lgkmcnt(0)
	v_fma_f64 v[8:9], v[49:50], v[51:52], v[8:9]
	s_waitcnt vmcnt(2)
	v_mul_f64 v[49:50], v[53:54], v[55:56]
	ds_bpermute_b32 v51, v26, v6
	ds_bpermute_b32 v52, v26, v7
	s_waitcnt lgkmcnt(0)
	v_fma_f64 v[8:9], v[49:50], v[51:52], v[8:9]
	s_waitcnt vmcnt(0)
	v_mul_f64 v[49:50], v[57:58], v[59:60]
	ds_bpermute_b32 v51, v27, v6
	ds_bpermute_b32 v52, v27, v7
	s_waitcnt lgkmcnt(0)
	v_fma_f64 v[8:9], v[49:50], v[51:52], v[8:9]
	global_load_dwordx2 v[49:50], v[45:46], off
	global_load_dwordx2 v[51:52], v[47:48], off
	v_add_co_u32_e32 v45, vcc, s26, v45
	v_addc_co_u32_e32 v46, vcc, v46, v44, vcc
	v_add_co_u32_e32 v47, vcc, s26, v47
	v_addc_co_u32_e32 v48, vcc, v48, v44, vcc
	global_load_dwordx2 v[53:54], v[45:46], off
	global_load_dwordx2 v[55:56], v[47:48], off
	v_add_co_u32_e32 v45, vcc, s26, v45
	v_addc_co_u32_e32 v46, vcc, v46, v44, vcc
	v_add_co_u32_e32 v47, vcc, s26, v47
	v_addc_co_u32_e32 v48, vcc, v48, v44, vcc
	global_load_dwordx2 v[57:58], v[45:46], off
	global_load_dwordx2 v[59:60], v[47:48], off
	v_add_co_u32_e32 v45, vcc, s26, v45
	v_addc_co_u32_e32 v46, vcc, v46, v44, vcc
	v_add_co_u32_e32 v47, vcc, s26, v47
	v_addc_co_u32_e32 v48, vcc, v48, v44, vcc
	s_waitcnt vmcnt(4)
	v_mul_f64 v[49:50], v[49:50], v[51:52]
	ds_bpermute_b32 v51, v28, v6
	ds_bpermute_b32 v52, v28, v7
	s_waitcnt lgkmcnt(0)
	v_fma_f64 v[8:9], v[49:50], v[51:52], v[8:9]
	s_waitcnt vmcnt(2)
	v_mul_f64 v[49:50], v[53:54], v[55:56]
	ds_bpermute_b32 v51, v29, v6
	ds_bpermute_b32 v52, v29, v7
	s_waitcnt lgkmcnt(0)
	v_fma_f64 v[8:9], v[49:50], v[51:52], v[8:9]
	s_waitcnt vmcnt(0)
	v_mul_f64 v[49:50], v[57:58], v[59:60]
	ds_bpermute_b32 v51, v30, v6
	;; [unrolled: 36-line block ×5, first 2 shown]
	ds_bpermute_b32 v52, v39, v7
	s_waitcnt lgkmcnt(0)
	v_fma_f64 v[8:9], v[49:50], v[51:52], v[8:9]
	global_load_dwordx2 v[49:50], v[45:46], off
	global_load_dwordx2 v[51:52], v[47:48], off
	v_add_co_u32_e32 v45, vcc, s26, v45
	v_addc_co_u32_e32 v46, vcc, v46, v44, vcc
	v_add_co_u32_e32 v47, vcc, s26, v47
	v_addc_co_u32_e32 v48, vcc, v48, v44, vcc
	global_load_dwordx2 v[53:54], v[45:46], off
	global_load_dwordx2 v[55:56], v[47:48], off
	v_add_co_u32_e32 v45, vcc, s26, v45
	v_addc_co_u32_e32 v46, vcc, v46, v44, vcc
	v_add_co_u32_e32 v47, vcc, s26, v47
	v_addc_co_u32_e32 v48, vcc, v48, v44, vcc
	global_load_dwordx2 v[57:58], v[45:46], off
	v_add_co_u32_e32 v45, vcc, s26, v45
	v_addc_co_u32_e32 v46, vcc, v46, v44, vcc
	v_add_co_u32_e32 v59, vcc, s26, v47
	v_addc_co_u32_e32 v60, vcc, v48, v44, vcc
	global_load_dwordx2 v[61:62], v[47:48], off
	global_load_dwordx2 v[63:64], v[45:46], off
                                        ; kill: killed $vgpr45 killed $vgpr46
                                        ; kill: killed $vgpr47 killed $vgpr48
	s_nop 0
	global_load_dwordx2 v[44:45], v[59:60], off
	ds_bpermute_b32 v48, v40, v6
	s_waitcnt vmcnt(6)
	v_mul_f64 v[46:47], v[49:50], v[51:52]
	ds_bpermute_b32 v49, v40, v7
	s_waitcnt lgkmcnt(0)
	v_fma_f64 v[8:9], v[46:47], v[48:49], v[8:9]
	s_waitcnt vmcnt(4)
	v_mul_f64 v[46:47], v[53:54], v[55:56]
	ds_bpermute_b32 v48, v41, v6
	ds_bpermute_b32 v49, v41, v7
	s_waitcnt lgkmcnt(0)
	v_fma_f64 v[8:9], v[46:47], v[48:49], v[8:9]
	ds_bpermute_b32 v48, v42, v6
	ds_bpermute_b32 v49, v42, v7
	;; [unrolled: 1-line block ×4, first 2 shown]
	s_waitcnt vmcnt(2)
	v_mul_f64 v[46:47], v[57:58], v[61:62]
	s_waitcnt vmcnt(0)
	v_mul_f64 v[44:45], v[63:64], v[44:45]
	s_waitcnt lgkmcnt(2)
	v_fma_f64 v[8:9], v[46:47], v[48:49], v[8:9]
	s_waitcnt lgkmcnt(0)
	v_fma_f64 v[8:9], v[44:45], v[6:7], v[8:9]
	v_mov_b32_e32 v6, s8
	v_mov_b32_e32 v7, s9
	v_cmp_lt_i64_e32 vcc, s[18:19], v[6:7]
	v_mov_b32_e32 v6, s23
	v_addc_co_u32_e64 v5, s[2:3], v5, v6, s[2:3]
	v_mov_b32_e32 v6, s25
	v_add_co_u32_e64 v18, s[2:3], s24, v18
	v_addc_co_u32_e64 v19, s[2:3], v19, v6, s[2:3]
	v_add_co_u32_e64 v2, s[2:3], s20, v2
	v_addc_co_u32_e64 v3, s[2:3], 0, v3, s[2:3]
	s_cbranch_vccz .LBB119_7
.LBB119_4:                              ; =>This Inner Loop Header: Depth=1
	v_mov_b32_e32 v6, 0
	v_mov_b32_e32 v7, 0
	s_and_saveexec_b64 s[2:3], s[0:1]
	s_cbranch_execz .LBB119_3
; %bb.5:                                ;   in Loop: Header=BB119_4 Depth=1
	v_cmp_gt_i64_e32 vcc, s[8:9], v[2:3]
	v_mov_b32_e32 v6, 0
	v_mov_b32_e32 v7, 0
	s_and_saveexec_b64 s[28:29], vcc
	s_cbranch_execz .LBB119_2
; %bb.6:                                ;   in Loop: Header=BB119_4 Depth=1
	global_load_dwordx2 v[6:7], v[4:5], off
	s_branch .LBB119_2
.LBB119_7:
	s_cmp_eq_u64 s[16:17], 0
	s_cbranch_scc1 .LBB119_9
; %bb.8:
	s_load_dword s0, s[4:5], 0x4c
	v_mov_b32_e32 v2, 0
	v_mov_b32_e32 v3, s7
	s_mov_b32 s7, 0
	v_mov_b32_e32 v5, s17
	s_waitcnt lgkmcnt(0)
	s_lshr_b32 s0, s0, 16
	v_mad_u64_u32 v[1:2], s[0:1], s0, v3, v[1:2]
	v_lshlrev_b32_e32 v0, 3, v0
	v_mul_lo_u32 v3, v2, s10
	v_mul_lo_u32 v4, v1, s11
	v_mad_u64_u32 v[1:2], s[0:1], v1, s10, 0
	s_lshl_b64 s[0:1], s[6:7], 9
	v_add3_u32 v2, v2, v4, v3
	v_lshlrev_b64 v[1:2], 3, v[1:2]
	v_mov_b32_e32 v3, s1
	v_add_co_u32_e32 v1, vcc, s16, v1
	v_addc_co_u32_e32 v2, vcc, v5, v2, vcc
	v_add_co_u32_e32 v1, vcc, s0, v1
	v_addc_co_u32_e32 v2, vcc, v2, v3, vcc
	;; [unrolled: 2-line block ×3, first 2 shown]
	global_store_dwordx2 v[0:1], v[8:9], off
.LBB119_9:
	s_endpgm
	.section	.rodata,"a",@progbits
	.p2align	6, 0x0
	.amdhsa_kernel _ZN2at6native12_GLOBAL__N_135GammaBetaBackwardCUDAKernelTemplateIddLj64ELj1ELj32ELb1ELb1ELb1EEEvllPKT_S5_PKT0_S8_PS3_S9_
		.amdhsa_group_segment_fixed_size 0
		.amdhsa_private_segment_fixed_size 0
		.amdhsa_kernarg_size 320
		.amdhsa_user_sgpr_count 6
		.amdhsa_user_sgpr_private_segment_buffer 1
		.amdhsa_user_sgpr_dispatch_ptr 0
		.amdhsa_user_sgpr_queue_ptr 0
		.amdhsa_user_sgpr_kernarg_segment_ptr 1
		.amdhsa_user_sgpr_dispatch_id 0
		.amdhsa_user_sgpr_flat_scratch_init 0
		.amdhsa_user_sgpr_private_segment_size 0
		.amdhsa_uses_dynamic_stack 0
		.amdhsa_system_sgpr_private_segment_wavefront_offset 0
		.amdhsa_system_sgpr_workgroup_id_x 1
		.amdhsa_system_sgpr_workgroup_id_y 1
		.amdhsa_system_sgpr_workgroup_id_z 0
		.amdhsa_system_sgpr_workgroup_info 0
		.amdhsa_system_vgpr_workitem_id 1
		.amdhsa_next_free_vgpr 65
		.amdhsa_next_free_sgpr 30
		.amdhsa_reserve_vcc 1
		.amdhsa_reserve_flat_scratch 0
		.amdhsa_float_round_mode_32 0
		.amdhsa_float_round_mode_16_64 0
		.amdhsa_float_denorm_mode_32 3
		.amdhsa_float_denorm_mode_16_64 3
		.amdhsa_dx10_clamp 1
		.amdhsa_ieee_mode 1
		.amdhsa_fp16_overflow 0
		.amdhsa_exception_fp_ieee_invalid_op 0
		.amdhsa_exception_fp_denorm_src 0
		.amdhsa_exception_fp_ieee_div_zero 0
		.amdhsa_exception_fp_ieee_overflow 0
		.amdhsa_exception_fp_ieee_underflow 0
		.amdhsa_exception_fp_ieee_inexact 0
		.amdhsa_exception_int_div_zero 0
	.end_amdhsa_kernel
	.section	.text._ZN2at6native12_GLOBAL__N_135GammaBetaBackwardCUDAKernelTemplateIddLj64ELj1ELj32ELb1ELb1ELb1EEEvllPKT_S5_PKT0_S8_PS3_S9_,"axG",@progbits,_ZN2at6native12_GLOBAL__N_135GammaBetaBackwardCUDAKernelTemplateIddLj64ELj1ELj32ELb1ELb1ELb1EEEvllPKT_S5_PKT0_S8_PS3_S9_,comdat
.Lfunc_end119:
	.size	_ZN2at6native12_GLOBAL__N_135GammaBetaBackwardCUDAKernelTemplateIddLj64ELj1ELj32ELb1ELb1ELb1EEEvllPKT_S5_PKT0_S8_PS3_S9_, .Lfunc_end119-_ZN2at6native12_GLOBAL__N_135GammaBetaBackwardCUDAKernelTemplateIddLj64ELj1ELj32ELb1ELb1ELb1EEEvllPKT_S5_PKT0_S8_PS3_S9_
                                        ; -- End function
	.set _ZN2at6native12_GLOBAL__N_135GammaBetaBackwardCUDAKernelTemplateIddLj64ELj1ELj32ELb1ELb1ELb1EEEvllPKT_S5_PKT0_S8_PS3_S9_.num_vgpr, 65
	.set _ZN2at6native12_GLOBAL__N_135GammaBetaBackwardCUDAKernelTemplateIddLj64ELj1ELj32ELb1ELb1ELb1EEEvllPKT_S5_PKT0_S8_PS3_S9_.num_agpr, 0
	.set _ZN2at6native12_GLOBAL__N_135GammaBetaBackwardCUDAKernelTemplateIddLj64ELj1ELj32ELb1ELb1ELb1EEEvllPKT_S5_PKT0_S8_PS3_S9_.numbered_sgpr, 30
	.set _ZN2at6native12_GLOBAL__N_135GammaBetaBackwardCUDAKernelTemplateIddLj64ELj1ELj32ELb1ELb1ELb1EEEvllPKT_S5_PKT0_S8_PS3_S9_.num_named_barrier, 0
	.set _ZN2at6native12_GLOBAL__N_135GammaBetaBackwardCUDAKernelTemplateIddLj64ELj1ELj32ELb1ELb1ELb1EEEvllPKT_S5_PKT0_S8_PS3_S9_.private_seg_size, 0
	.set _ZN2at6native12_GLOBAL__N_135GammaBetaBackwardCUDAKernelTemplateIddLj64ELj1ELj32ELb1ELb1ELb1EEEvllPKT_S5_PKT0_S8_PS3_S9_.uses_vcc, 1
	.set _ZN2at6native12_GLOBAL__N_135GammaBetaBackwardCUDAKernelTemplateIddLj64ELj1ELj32ELb1ELb1ELb1EEEvllPKT_S5_PKT0_S8_PS3_S9_.uses_flat_scratch, 0
	.set _ZN2at6native12_GLOBAL__N_135GammaBetaBackwardCUDAKernelTemplateIddLj64ELj1ELj32ELb1ELb1ELb1EEEvllPKT_S5_PKT0_S8_PS3_S9_.has_dyn_sized_stack, 0
	.set _ZN2at6native12_GLOBAL__N_135GammaBetaBackwardCUDAKernelTemplateIddLj64ELj1ELj32ELb1ELb1ELb1EEEvllPKT_S5_PKT0_S8_PS3_S9_.has_recursion, 0
	.set _ZN2at6native12_GLOBAL__N_135GammaBetaBackwardCUDAKernelTemplateIddLj64ELj1ELj32ELb1ELb1ELb1EEEvllPKT_S5_PKT0_S8_PS3_S9_.has_indirect_call, 0
	.section	.AMDGPU.csdata,"",@progbits
; Kernel info:
; codeLenInByte = 3080
; TotalNumSgprs: 34
; NumVgprs: 65
; ScratchSize: 0
; MemoryBound: 0
; FloatMode: 240
; IeeeMode: 1
; LDSByteSize: 0 bytes/workgroup (compile time only)
; SGPRBlocks: 4
; VGPRBlocks: 16
; NumSGPRsForWavesPerEU: 34
; NumVGPRsForWavesPerEU: 65
; Occupancy: 3
; WaveLimiterHint : 0
; COMPUTE_PGM_RSRC2:SCRATCH_EN: 0
; COMPUTE_PGM_RSRC2:USER_SGPR: 6
; COMPUTE_PGM_RSRC2:TRAP_HANDLER: 0
; COMPUTE_PGM_RSRC2:TGID_X_EN: 1
; COMPUTE_PGM_RSRC2:TGID_Y_EN: 1
; COMPUTE_PGM_RSRC2:TGID_Z_EN: 0
; COMPUTE_PGM_RSRC2:TIDIG_COMP_CNT: 1
	.section	.text._ZN2at6native12_GLOBAL__N_135GammaBetaBackwardCUDAKernelTemplateIddLj64ELj1ELj32ELb1ELb0ELb1EEEvllPKT_S5_PKT0_S8_PS3_S9_,"axG",@progbits,_ZN2at6native12_GLOBAL__N_135GammaBetaBackwardCUDAKernelTemplateIddLj64ELj1ELj32ELb1ELb0ELb1EEEvllPKT_S5_PKT0_S8_PS3_S9_,comdat
	.globl	_ZN2at6native12_GLOBAL__N_135GammaBetaBackwardCUDAKernelTemplateIddLj64ELj1ELj32ELb1ELb0ELb1EEEvllPKT_S5_PKT0_S8_PS3_S9_ ; -- Begin function _ZN2at6native12_GLOBAL__N_135GammaBetaBackwardCUDAKernelTemplateIddLj64ELj1ELj32ELb1ELb0ELb1EEEvllPKT_S5_PKT0_S8_PS3_S9_
	.p2align	8
	.type	_ZN2at6native12_GLOBAL__N_135GammaBetaBackwardCUDAKernelTemplateIddLj64ELj1ELj32ELb1ELb0ELb1EEEvllPKT_S5_PKT0_S8_PS3_S9_,@function
_ZN2at6native12_GLOBAL__N_135GammaBetaBackwardCUDAKernelTemplateIddLj64ELj1ELj32ELb1ELb0ELb1EEEvllPKT_S5_PKT0_S8_PS3_S9_: ; @_ZN2at6native12_GLOBAL__N_135GammaBetaBackwardCUDAKernelTemplateIddLj64ELj1ELj32ELb1ELb0ELb1EEEvllPKT_S5_PKT0_S8_PS3_S9_
; %bb.0:
	s_mov_b64 s[38:39], s[2:3]
	s_mov_b64 s[36:37], s[0:1]
	s_add_u32 s36, s36, s8
	s_addc_u32 s37, s37, 0
	buffer_store_dword v1, off, s[36:39], 0 offset:548 ; 4-byte Folded Spill
	s_nop 0
	buffer_store_dword v2, off, s[36:39], 0 offset:552 ; 4-byte Folded Spill
	buffer_store_dword v0, off, s[36:39], 0 offset:32 ; 4-byte Folded Spill
	s_load_dwordx8 s[12:19], s[4:5], 0x0
	s_load_dwordx2 s[20:21], s[4:5], 0x28
	s_mov_b32 s8, s7
	s_lshl_b32 s7, s6, 6
	s_or_b32 s0, s7, 63
	v_mov_b32_e32 v0, s0
	v_mov_b32_e32 v1, 0
	s_lshl_b32 s22, s8, 5
	s_mov_b32 s23, 0
	s_waitcnt lgkmcnt(0)
	v_cmp_le_i64_e32 vcc, s[14:15], v[0:1]
	v_mov_b32_e32 v0, s22
	v_mov_b32_e32 v1, s23
	v_cmp_gt_i64_e64 s[0:1], s[12:13], v[0:1]
	v_cndmask_b32_e64 v0, 0, 1, s[0:1]
	v_cmp_ne_u32_e64 s[0:1], 1, v0
	s_cbranch_vccz .LBB120_144
; %bb.1:
	v_mov_b32_e32 v96, 0
	v_mov_b32_e32 v97, 0
	s_and_b64 vcc, exec, s[0:1]
	s_cbranch_vccnz .LBB120_146
; %bb.2:
	buffer_load_dword v0, off, s[36:39], 0 offset:32 ; 4-byte Folded Reload
	v_mov_b32_e32 v9, 0
	v_mov_b32_e32 v4, v9
	;; [unrolled: 1-line block ×3, first 2 shown]
	s_add_u32 s24, s4, 64
	s_addc_u32 s25, s5, 0
	s_mov_b64 s[28:29], 31
	s_mov_b64 s[30:31], s[22:23]
	s_waitcnt vmcnt(0)
	v_add_u32_e32 v8, s7, v0
	buffer_load_dword v0, off, s[36:39], 0 offset:548 ; 4-byte Folded Reload
	buffer_load_dword v1, off, s[36:39], 0 offset:552 ; 4-byte Folded Reload
	s_load_dword s9, s[4:5], 0x44
	s_waitcnt lgkmcnt(0)
	s_lshl_b32 s9, s9, 5
	s_mul_i32 s10, s15, s9
	s_mul_hi_u32 s11, s14, s9
	s_add_i32 s11, s11, s10
	s_mul_i32 s10, s14, s9
	s_lshl_b64 s[26:27], s[10:11], 3
	s_waitcnt vmcnt(1)
	v_lshlrev_b32_e32 v138, 5, v0
	v_add_co_u32_e32 v0, vcc, s22, v138
	s_waitcnt vmcnt(0)
	v_addc_co_u32_e64 v1, s[2:3], 0, 0, vcc
	v_mul_lo_u32 v3, s14, v1
	buffer_store_dword v3, off, s[36:39], 0 offset:76 ; 4-byte Folded Spill
	s_nop 0
	buffer_store_dword v4, off, s[36:39], 0 offset:80 ; 4-byte Folded Spill
	v_mul_lo_u32 v2, s15, v0
	v_mad_u64_u32 v[6:7], s[2:3], s14, v0, 0
	v_cmp_gt_i64_e64 s[2:3], s[14:15], v[8:9]
	v_lshlrev_b64 v[4:5], 3, v[8:9]
	v_add3_u32 v7, v7, v3, v2
	v_lshlrev_b64 v[8:9], 3, v[6:7]
	v_mov_b32_e32 v3, s17
	v_add_co_u32_e32 v2, vcc, s16, v8
	buffer_store_dword v2, off, s[36:39], 0 ; 4-byte Folded Spill
	v_addc_co_u32_e32 v2, vcc, v3, v9, vcc
	v_add_co_u32_e32 v10, vcc, 31, v0
	v_addc_co_u32_e32 v11, vcc, 0, v1, vcc
	v_mul_lo_u32 v12, s15, v10
	v_mul_lo_u32 v13, s14, v11
	v_mad_u64_u32 v[10:11], s[10:11], s14, v10, 0
	v_mov_b32_e32 v3, s19
	v_add_co_u32_e32 v8, vcc, s18, v8
	v_add3_u32 v11, v11, v13, v12
	buffer_store_dword v8, off, s[36:39], 0 offset:4 ; 4-byte Folded Spill
	v_addc_co_u32_e32 v142, vcc, v3, v9, vcc
	v_lshlrev_b64 v[8:9], 3, v[10:11]
	v_mov_b32_e32 v3, s17
	v_add_co_u32_e32 v143, vcc, s16, v8
	v_addc_co_u32_e32 v144, vcc, v3, v9, vcc
	v_add_co_u32_e32 v10, vcc, 30, v0
	v_addc_co_u32_e32 v11, vcc, 0, v1, vcc
	v_mul_lo_u32 v12, s15, v10
	v_mul_lo_u32 v13, s14, v11
	v_mad_u64_u32 v[10:11], s[10:11], s14, v10, 0
	v_mov_b32_e32 v3, s19
	v_add_co_u32_e32 v145, vcc, s18, v8
	v_add3_u32 v11, v11, v13, v12
	v_addc_co_u32_e32 v146, vcc, v3, v9, vcc
	v_lshlrev_b64 v[8:9], 3, v[10:11]
	v_mov_b32_e32 v3, s17
	v_add_co_u32_e32 v147, vcc, s16, v8
	v_addc_co_u32_e32 v148, vcc, v3, v9, vcc
	v_add_co_u32_e32 v10, vcc, 29, v0
	v_addc_co_u32_e32 v11, vcc, 0, v1, vcc
	v_mul_lo_u32 v12, s15, v10
	v_mul_lo_u32 v13, s14, v11
	v_mad_u64_u32 v[10:11], s[10:11], s14, v10, 0
	v_mov_b32_e32 v3, s19
	v_add_co_u32_e32 v149, vcc, s18, v8
	v_add3_u32 v11, v11, v13, v12
	v_addc_co_u32_e32 v150, vcc, v3, v9, vcc
	v_lshlrev_b64 v[8:9], 3, v[10:11]
	v_mov_b32_e32 v3, s17
	v_add_co_u32_e32 v151, vcc, s16, v8
	v_addc_co_u32_e32 v152, vcc, v3, v9, vcc
	v_add_co_u32_e32 v10, vcc, 28, v0
	v_addc_co_u32_e32 v11, vcc, 0, v1, vcc
	v_mul_lo_u32 v12, s15, v10
	v_mul_lo_u32 v13, s14, v11
	v_mad_u64_u32 v[10:11], s[10:11], s14, v10, 0
	v_mov_b32_e32 v3, s19
	v_add_co_u32_e32 v153, vcc, s18, v8
	v_add3_u32 v11, v11, v13, v12
	v_addc_co_u32_e32 v154, vcc, v3, v9, vcc
	v_lshlrev_b64 v[8:9], 3, v[10:11]
	v_mov_b32_e32 v3, s17
	v_add_co_u32_e32 v155, vcc, s16, v8
	v_addc_co_u32_e32 v156, vcc, v3, v9, vcc
	v_add_co_u32_e32 v10, vcc, 27, v0
	v_addc_co_u32_e32 v11, vcc, 0, v1, vcc
	v_mul_lo_u32 v12, s15, v10
	v_mul_lo_u32 v13, s14, v11
	v_mad_u64_u32 v[10:11], s[10:11], s14, v10, 0
	v_mov_b32_e32 v3, s19
	v_add_co_u32_e32 v157, vcc, s18, v8
	v_add3_u32 v11, v11, v13, v12
	v_addc_co_u32_e32 v158, vcc, v3, v9, vcc
	v_lshlrev_b64 v[8:9], 3, v[10:11]
	v_mov_b32_e32 v3, s17
	v_add_co_u32_e32 v159, vcc, s16, v8
	v_addc_co_u32_e32 v160, vcc, v3, v9, vcc
	v_add_co_u32_e32 v10, vcc, 26, v0
	v_addc_co_u32_e32 v11, vcc, 0, v1, vcc
	v_mul_lo_u32 v12, s15, v10
	v_mul_lo_u32 v13, s14, v11
	v_mad_u64_u32 v[10:11], s[10:11], s14, v10, 0
	v_mov_b32_e32 v3, s19
	v_add_co_u32_e32 v161, vcc, s18, v8
	v_add3_u32 v11, v11, v13, v12
	v_addc_co_u32_e32 v162, vcc, v3, v9, vcc
	v_lshlrev_b64 v[8:9], 3, v[10:11]
	v_mov_b32_e32 v3, s17
	v_add_co_u32_e32 v163, vcc, s16, v8
	v_addc_co_u32_e32 v164, vcc, v3, v9, vcc
	v_add_co_u32_e32 v10, vcc, 25, v0
	v_addc_co_u32_e32 v11, vcc, 0, v1, vcc
	v_mul_lo_u32 v12, s15, v10
	v_mul_lo_u32 v13, s14, v11
	v_mad_u64_u32 v[10:11], s[10:11], s14, v10, 0
	v_mov_b32_e32 v3, s19
	v_add_co_u32_e32 v165, vcc, s18, v8
	v_add3_u32 v11, v11, v13, v12
	v_addc_co_u32_e32 v166, vcc, v3, v9, vcc
	v_lshlrev_b64 v[8:9], 3, v[10:11]
	v_mov_b32_e32 v3, s17
	v_add_co_u32_e32 v167, vcc, s16, v8
	v_addc_co_u32_e32 v168, vcc, v3, v9, vcc
	v_add_co_u32_e32 v10, vcc, 24, v0
	v_addc_co_u32_e32 v11, vcc, 0, v1, vcc
	v_mul_lo_u32 v12, s15, v10
	v_mul_lo_u32 v13, s14, v11
	v_mad_u64_u32 v[10:11], s[10:11], s14, v10, 0
	v_mov_b32_e32 v3, s19
	v_add_co_u32_e32 v169, vcc, s18, v8
	v_add3_u32 v11, v11, v13, v12
	v_addc_co_u32_e32 v170, vcc, v3, v9, vcc
	v_lshlrev_b64 v[8:9], 3, v[10:11]
	v_mov_b32_e32 v3, s17
	v_add_co_u32_e32 v171, vcc, s16, v8
	v_addc_co_u32_e32 v172, vcc, v3, v9, vcc
	v_add_co_u32_e32 v10, vcc, 23, v0
	v_addc_co_u32_e32 v11, vcc, 0, v1, vcc
	v_mul_lo_u32 v12, s15, v10
	v_mul_lo_u32 v13, s14, v11
	v_mad_u64_u32 v[10:11], s[10:11], s14, v10, 0
	v_mov_b32_e32 v3, s19
	v_add_co_u32_e32 v173, vcc, s18, v8
	v_add3_u32 v11, v11, v13, v12
	v_addc_co_u32_e32 v174, vcc, v3, v9, vcc
	v_lshlrev_b64 v[8:9], 3, v[10:11]
	v_mov_b32_e32 v3, s17
	v_add_co_u32_e32 v175, vcc, s16, v8
	v_addc_co_u32_e32 v176, vcc, v3, v9, vcc
	v_add_co_u32_e32 v10, vcc, 22, v0
	v_addc_co_u32_e32 v11, vcc, 0, v1, vcc
	v_mul_lo_u32 v12, s15, v10
	v_mul_lo_u32 v13, s14, v11
	v_mad_u64_u32 v[10:11], s[10:11], s14, v10, 0
	v_mov_b32_e32 v3, s19
	v_add_co_u32_e32 v177, vcc, s18, v8
	v_add3_u32 v11, v11, v13, v12
	v_addc_co_u32_e32 v178, vcc, v3, v9, vcc
	v_lshlrev_b64 v[8:9], 3, v[10:11]
	v_mov_b32_e32 v3, s17
	v_add_co_u32_e32 v179, vcc, s16, v8
	v_addc_co_u32_e32 v180, vcc, v3, v9, vcc
	v_add_co_u32_e32 v10, vcc, 21, v0
	v_addc_co_u32_e32 v11, vcc, 0, v1, vcc
	v_mul_lo_u32 v12, s15, v10
	v_mul_lo_u32 v13, s14, v11
	v_mad_u64_u32 v[10:11], s[10:11], s14, v10, 0
	v_mov_b32_e32 v3, s19
	v_add_co_u32_e32 v181, vcc, s18, v8
	v_add3_u32 v11, v11, v13, v12
	v_addc_co_u32_e32 v182, vcc, v3, v9, vcc
	v_lshlrev_b64 v[8:9], 3, v[10:11]
	v_mov_b32_e32 v3, s17
	v_add_co_u32_e32 v183, vcc, s16, v8
	v_addc_co_u32_e32 v184, vcc, v3, v9, vcc
	v_add_co_u32_e32 v10, vcc, 20, v0
	v_addc_co_u32_e32 v11, vcc, 0, v1, vcc
	v_mul_lo_u32 v12, s15, v10
	v_mul_lo_u32 v13, s14, v11
	v_mad_u64_u32 v[10:11], s[10:11], s14, v10, 0
	v_mov_b32_e32 v3, s19
	v_add_co_u32_e32 v185, vcc, s18, v8
	v_add3_u32 v11, v11, v13, v12
	v_addc_co_u32_e32 v186, vcc, v3, v9, vcc
	v_lshlrev_b64 v[8:9], 3, v[10:11]
	v_mov_b32_e32 v3, s17
	v_add_co_u32_e32 v187, vcc, s16, v8
	v_addc_co_u32_e32 v188, vcc, v3, v9, vcc
	v_add_co_u32_e32 v10, vcc, 19, v0
	v_addc_co_u32_e32 v11, vcc, 0, v1, vcc
	v_mul_lo_u32 v12, s15, v10
	v_mul_lo_u32 v13, s14, v11
	v_mad_u64_u32 v[10:11], s[10:11], s14, v10, 0
	v_mov_b32_e32 v3, s19
	v_add_co_u32_e32 v189, vcc, s18, v8
	v_add3_u32 v11, v11, v13, v12
	v_addc_co_u32_e32 v190, vcc, v3, v9, vcc
	v_lshlrev_b64 v[8:9], 3, v[10:11]
	v_mov_b32_e32 v3, s17
	v_add_co_u32_e32 v191, vcc, s16, v8
	v_addc_co_u32_e32 v192, vcc, v3, v9, vcc
	v_add_co_u32_e32 v10, vcc, 18, v0
	v_addc_co_u32_e32 v11, vcc, 0, v1, vcc
	v_mul_lo_u32 v12, s15, v10
	v_mul_lo_u32 v13, s14, v11
	v_mad_u64_u32 v[10:11], s[10:11], s14, v10, 0
	v_mov_b32_e32 v3, s19
	v_add_co_u32_e32 v193, vcc, s18, v8
	v_add3_u32 v11, v11, v13, v12
	v_addc_co_u32_e32 v194, vcc, v3, v9, vcc
	v_lshlrev_b64 v[8:9], 3, v[10:11]
	v_mov_b32_e32 v3, s17
	v_add_co_u32_e32 v195, vcc, s16, v8
	v_addc_co_u32_e32 v196, vcc, v3, v9, vcc
	v_add_co_u32_e32 v10, vcc, 17, v0
	v_addc_co_u32_e32 v11, vcc, 0, v1, vcc
	v_mul_lo_u32 v12, s15, v10
	v_mul_lo_u32 v13, s14, v11
	v_mad_u64_u32 v[10:11], s[10:11], s14, v10, 0
	v_mov_b32_e32 v3, s19
	v_add_co_u32_e32 v197, vcc, s18, v8
	v_add3_u32 v11, v11, v13, v12
	v_addc_co_u32_e32 v198, vcc, v3, v9, vcc
	v_lshlrev_b64 v[8:9], 3, v[10:11]
	v_mov_b32_e32 v3, s17
	v_add_co_u32_e32 v199, vcc, s16, v8
	v_addc_co_u32_e32 v200, vcc, v3, v9, vcc
	v_add_co_u32_e32 v10, vcc, 16, v0
	v_addc_co_u32_e32 v11, vcc, 0, v1, vcc
	v_mul_lo_u32 v12, s15, v10
	v_mul_lo_u32 v13, s14, v11
	v_mad_u64_u32 v[10:11], s[10:11], s14, v10, 0
	v_mov_b32_e32 v3, s19
	v_add_co_u32_e32 v201, vcc, s18, v8
	v_add3_u32 v11, v11, v13, v12
	v_addc_co_u32_e32 v202, vcc, v3, v9, vcc
	v_lshlrev_b64 v[8:9], 3, v[10:11]
	v_mov_b32_e32 v3, s17
	v_add_co_u32_e32 v203, vcc, s16, v8
	v_addc_co_u32_e32 v204, vcc, v3, v9, vcc
	v_add_co_u32_e32 v10, vcc, 15, v0
	v_addc_co_u32_e32 v11, vcc, 0, v1, vcc
	v_mul_lo_u32 v12, s15, v10
	v_mul_lo_u32 v13, s14, v11
	v_mad_u64_u32 v[10:11], s[10:11], s14, v10, 0
	v_mov_b32_e32 v3, s19
	v_add_co_u32_e32 v205, vcc, s18, v8
	v_add3_u32 v11, v11, v13, v12
	v_addc_co_u32_e32 v206, vcc, v3, v9, vcc
	v_lshlrev_b64 v[8:9], 3, v[10:11]
	v_mov_b32_e32 v3, s17
	v_add_co_u32_e32 v207, vcc, s16, v8
	v_addc_co_u32_e32 v208, vcc, v3, v9, vcc
	v_add_co_u32_e32 v10, vcc, 14, v0
	v_addc_co_u32_e32 v11, vcc, 0, v1, vcc
	v_mul_lo_u32 v12, s15, v10
	v_mul_lo_u32 v13, s14, v11
	v_mad_u64_u32 v[10:11], s[10:11], s14, v10, 0
	v_mov_b32_e32 v3, s19
	v_add_co_u32_e32 v209, vcc, s18, v8
	v_add3_u32 v11, v11, v13, v12
	v_addc_co_u32_e32 v210, vcc, v3, v9, vcc
	v_lshlrev_b64 v[8:9], 3, v[10:11]
	v_mov_b32_e32 v3, s17
	v_add_co_u32_e32 v211, vcc, s16, v8
	v_addc_co_u32_e32 v212, vcc, v3, v9, vcc
	v_add_co_u32_e32 v10, vcc, 13, v0
	v_addc_co_u32_e32 v11, vcc, 0, v1, vcc
	v_mul_lo_u32 v12, s15, v10
	v_mul_lo_u32 v13, s14, v11
	v_mad_u64_u32 v[10:11], s[10:11], s14, v10, 0
	v_mov_b32_e32 v3, s19
	v_add_co_u32_e32 v213, vcc, s18, v8
	v_add3_u32 v11, v11, v13, v12
	v_addc_co_u32_e32 v214, vcc, v3, v9, vcc
	v_lshlrev_b64 v[8:9], 3, v[10:11]
	v_mov_b32_e32 v3, s17
	v_add_co_u32_e32 v215, vcc, s16, v8
	v_addc_co_u32_e32 v216, vcc, v3, v9, vcc
	v_add_co_u32_e32 v10, vcc, 12, v0
	v_addc_co_u32_e32 v11, vcc, 0, v1, vcc
	v_mul_lo_u32 v12, s15, v10
	v_mul_lo_u32 v13, s14, v11
	v_mad_u64_u32 v[10:11], s[10:11], s14, v10, 0
	v_mov_b32_e32 v3, s19
	v_add_co_u32_e32 v217, vcc, s18, v8
	v_add3_u32 v11, v11, v13, v12
	v_addc_co_u32_e32 v218, vcc, v3, v9, vcc
	v_lshlrev_b64 v[8:9], 3, v[10:11]
	v_mov_b32_e32 v3, s17
	v_add_co_u32_e32 v219, vcc, s16, v8
	v_addc_co_u32_e32 v220, vcc, v3, v9, vcc
	v_add_co_u32_e32 v10, vcc, 11, v0
	v_addc_co_u32_e32 v11, vcc, 0, v1, vcc
	v_mul_lo_u32 v12, s15, v10
	v_mul_lo_u32 v13, s14, v11
	v_mad_u64_u32 v[10:11], s[10:11], s14, v10, 0
	v_mov_b32_e32 v3, s19
	v_add_co_u32_e32 v221, vcc, s18, v8
	v_add3_u32 v11, v11, v13, v12
	v_addc_co_u32_e32 v222, vcc, v3, v9, vcc
	v_lshlrev_b64 v[8:9], 3, v[10:11]
	v_mov_b32_e32 v3, s17
	v_add_co_u32_e32 v223, vcc, s16, v8
	v_addc_co_u32_e32 v224, vcc, v3, v9, vcc
	v_add_co_u32_e32 v10, vcc, 10, v0
	v_addc_co_u32_e32 v11, vcc, 0, v1, vcc
	v_mul_lo_u32 v12, s15, v10
	v_mul_lo_u32 v13, s14, v11
	v_mad_u64_u32 v[10:11], s[10:11], s14, v10, 0
	v_mov_b32_e32 v3, s19
	v_add_co_u32_e32 v225, vcc, s18, v8
	v_add3_u32 v11, v11, v13, v12
	v_addc_co_u32_e32 v226, vcc, v3, v9, vcc
	v_lshlrev_b64 v[8:9], 3, v[10:11]
	v_mov_b32_e32 v3, s17
	v_add_co_u32_e32 v227, vcc, s16, v8
	v_addc_co_u32_e32 v228, vcc, v3, v9, vcc
	v_add_co_u32_e32 v10, vcc, 9, v0
	v_addc_co_u32_e32 v11, vcc, 0, v1, vcc
	v_mul_lo_u32 v12, s15, v10
	v_mul_lo_u32 v13, s14, v11
	v_mad_u64_u32 v[10:11], s[10:11], s14, v10, 0
	v_mov_b32_e32 v3, s19
	v_add_co_u32_e32 v229, vcc, s18, v8
	v_add3_u32 v11, v11, v13, v12
	v_addc_co_u32_e32 v230, vcc, v3, v9, vcc
	v_lshlrev_b64 v[8:9], 3, v[10:11]
	v_mov_b32_e32 v3, s17
	v_add_co_u32_e32 v231, vcc, s16, v8
	v_addc_co_u32_e32 v232, vcc, v3, v9, vcc
	v_add_co_u32_e32 v10, vcc, 8, v0
	v_addc_co_u32_e32 v11, vcc, 0, v1, vcc
	v_mul_lo_u32 v12, s15, v10
	v_mul_lo_u32 v13, s14, v11
	v_mad_u64_u32 v[10:11], s[10:11], s14, v10, 0
	v_mov_b32_e32 v3, s19
	v_add_co_u32_e32 v233, vcc, s18, v8
	v_add3_u32 v11, v11, v13, v12
	v_addc_co_u32_e32 v234, vcc, v3, v9, vcc
	v_lshlrev_b64 v[8:9], 3, v[10:11]
	v_mov_b32_e32 v3, s17
	v_add_co_u32_e32 v235, vcc, s16, v8
	v_addc_co_u32_e32 v236, vcc, v3, v9, vcc
	v_add_co_u32_e32 v10, vcc, 7, v0
	v_addc_co_u32_e32 v11, vcc, 0, v1, vcc
	v_mul_lo_u32 v12, s15, v10
	v_mul_lo_u32 v13, s14, v11
	v_mad_u64_u32 v[10:11], s[10:11], s14, v10, 0
	v_mov_b32_e32 v3, s19
	v_add_co_u32_e32 v237, vcc, s18, v8
	v_add3_u32 v11, v11, v13, v12
	v_addc_co_u32_e32 v238, vcc, v3, v9, vcc
	v_lshlrev_b64 v[8:9], 3, v[10:11]
	v_mov_b32_e32 v3, s17
	v_add_co_u32_e32 v239, vcc, s16, v8
	v_addc_co_u32_e32 v240, vcc, v3, v9, vcc
	v_add_co_u32_e32 v10, vcc, 6, v0
	v_addc_co_u32_e32 v11, vcc, 0, v1, vcc
	v_mul_lo_u32 v12, s15, v10
	v_mul_lo_u32 v13, s14, v11
	v_mad_u64_u32 v[10:11], s[10:11], s14, v10, 0
	v_mov_b32_e32 v3, s19
	v_add_co_u32_e32 v241, vcc, s18, v8
	v_add3_u32 v11, v11, v13, v12
	v_addc_co_u32_e32 v242, vcc, v3, v9, vcc
	v_lshlrev_b64 v[8:9], 3, v[10:11]
	v_mov_b32_e32 v3, s17
	v_add_co_u32_e32 v243, vcc, s16, v8
	v_addc_co_u32_e32 v244, vcc, v3, v9, vcc
	v_add_co_u32_e32 v10, vcc, 5, v0
	v_addc_co_u32_e32 v11, vcc, 0, v1, vcc
	v_mul_lo_u32 v12, s15, v10
	v_mul_lo_u32 v13, s14, v11
	v_mad_u64_u32 v[10:11], s[10:11], s14, v10, 0
	v_mov_b32_e32 v3, s19
	v_add_co_u32_e32 v245, vcc, s18, v8
	v_add3_u32 v11, v11, v13, v12
	v_addc_co_u32_e32 v246, vcc, v3, v9, vcc
	v_lshlrev_b64 v[8:9], 3, v[10:11]
	v_mov_b32_e32 v3, s17
	v_add_co_u32_e32 v247, vcc, s16, v8
	v_addc_co_u32_e32 v248, vcc, v3, v9, vcc
	v_add_co_u32_e32 v10, vcc, 4, v0
	v_addc_co_u32_e32 v11, vcc, 0, v1, vcc
	v_mul_lo_u32 v12, s15, v10
	v_mul_lo_u32 v13, s14, v11
	v_mad_u64_u32 v[10:11], s[10:11], s14, v10, 0
	v_mov_b32_e32 v3, s19
	v_add_co_u32_e32 v249, vcc, s18, v8
	v_add3_u32 v11, v11, v13, v12
	v_addc_co_u32_e32 v250, vcc, v3, v9, vcc
	v_lshlrev_b64 v[8:9], 3, v[10:11]
	v_mov_b32_e32 v3, s17
	v_add_co_u32_e32 v251, vcc, s16, v8
	v_addc_co_u32_e32 v252, vcc, v3, v9, vcc
	v_add_co_u32_e32 v10, vcc, 3, v0
	v_addc_co_u32_e32 v11, vcc, 0, v1, vcc
	v_mul_lo_u32 v12, s15, v10
	v_mul_lo_u32 v13, s14, v11
	v_mad_u64_u32 v[10:11], s[10:11], s14, v10, 0
	v_mov_b32_e32 v3, s19
	v_add_co_u32_e32 v253, vcc, s18, v8
	v_add3_u32 v11, v11, v13, v12
	v_addc_co_u32_e32 v254, vcc, v3, v9, vcc
	v_lshlrev_b64 v[8:9], 3, v[10:11]
	v_mov_b32_e32 v3, s17
	v_add_co_u32_e32 v255, vcc, s16, v8
	v_addc_co_u32_e32 v3, vcc, v3, v9, vcc
	v_add_co_u32_e32 v0, vcc, 2, v0
	v_addc_co_u32_e32 v1, vcc, 0, v1, vcc
	v_mul_lo_u32 v11, s15, v0
	v_mul_lo_u32 v12, s14, v1
	v_mad_u64_u32 v[0:1], s[10:11], s14, v0, 0
	v_mov_b32_e32 v10, s19
	v_add_co_u32_e32 v96, vcc, s18, v8
	v_add3_u32 v1, v1, v12, v11
	v_lshlrev_b64 v[0:1], 3, v[0:1]
	v_addc_co_u32_e32 v97, vcc, v10, v9, vcc
	v_mov_b32_e32 v8, s17
	v_add_co_u32_e32 v10, vcc, s16, v0
	v_addc_co_u32_e32 v11, vcc, v8, v1, vcc
	v_mov_b32_e32 v8, s19
	v_add_co_u32_e32 v12, vcc, s18, v0
	v_addc_co_u32_e32 v13, vcc, v8, v1, vcc
	v_mov_b32_e32 v1, s15
	v_add_co_u32_e32 v0, vcc, s14, v6
	v_addc_co_u32_e32 v1, vcc, v7, v1, vcc
	v_lshlrev_b64 v[0:1], 3, v[0:1]
	v_mov_b32_e32 v6, s17
	v_add_co_u32_e32 v14, vcc, s16, v0
	v_addc_co_u32_e32 v15, vcc, v6, v1, vcc
	v_mov_b32_e32 v6, s19
	v_add_co_u32_e32 v16, vcc, s18, v0
	v_addc_co_u32_e32 v17, vcc, v6, v1, vcc
	v_mov_b32_e32 v0, 0
	v_mov_b32_e32 v1, 0
	buffer_store_dword v0, off, s[36:39], 0 offset:8 ; 4-byte Folded Spill
	s_nop 0
	buffer_store_dword v1, off, s[36:39], 0 offset:12 ; 4-byte Folded Spill
	v_mbcnt_lo_u32_b32 v0, -1, 0
	v_mbcnt_hi_u32_b32 v0, -1, v0
	v_lshlrev_b32_e32 v0, 2, v0
	v_and_b32_e32 v18, 0x100, v0
	s_branch .LBB120_5
.LBB120_3:                              ;   in Loop: Header=BB120_5 Depth=1
	s_or_b64 exec, exec, s[10:11]
	v_mul_f64 v[134:135], v[19:20], v[6:7]
	v_mul_f64 v[19:20], v[136:137], v[21:22]
	buffer_load_dword v136, off, s[36:39], 0 offset:8 ; 4-byte Folded Reload
	buffer_load_dword v137, off, s[36:39], 0 offset:12 ; 4-byte Folded Reload
	ds_bpermute_b32 v6, v18, v8
	ds_bpermute_b32 v7, v18, v9
	v_mul_f64 v[21:22], v[27:28], v[29:30]
	s_waitcnt vmcnt(2)
	v_mul_f64 v[0:1], v[128:129], v[0:1]
	s_waitcnt vmcnt(0) lgkmcnt(0)
	v_fma_f64 v[6:7], v[134:135], v[6:7], v[136:137]
	ds_bpermute_b32 v134, v18, v8 offset:4
	ds_bpermute_b32 v135, v18, v9 offset:4
	v_mul_f64 v[136:137], v[23:24], v[25:26]
	v_mul_f64 v[23:24], v[140:141], v[31:32]
	s_waitcnt lgkmcnt(0)
	v_fma_f64 v[6:7], v[19:20], v[134:135], v[6:7]
	ds_bpermute_b32 v19, v18, v8 offset:8
	ds_bpermute_b32 v20, v18, v9 offset:8
	s_waitcnt lgkmcnt(0)
	v_fma_f64 v[6:7], v[136:137], v[19:20], v[6:7]
	ds_bpermute_b32 v19, v18, v8 offset:12
	ds_bpermute_b32 v20, v18, v9 offset:12
	s_waitcnt lgkmcnt(0)
	v_fma_f64 v[6:7], v[21:22], v[19:20], v[6:7]
	buffer_load_dword v21, off, s[36:39], 0 offset:16 ; 4-byte Folded Reload
	buffer_load_dword v22, off, s[36:39], 0 offset:20 ; 4-byte Folded Reload
	;; [unrolled: 1-line block ×4, first 2 shown]
	ds_bpermute_b32 v19, v18, v8 offset:16
	ds_bpermute_b32 v20, v18, v9 offset:16
	s_waitcnt lgkmcnt(0)
	v_fma_f64 v[6:7], v[23:24], v[19:20], v[6:7]
	buffer_load_dword v23, off, s[36:39], 0 offset:36 ; 4-byte Folded Reload
	buffer_load_dword v24, off, s[36:39], 0 offset:40 ; 4-byte Folded Reload
	ds_bpermute_b32 v19, v18, v8 offset:20
	ds_bpermute_b32 v20, v18, v9 offset:20
	s_waitcnt vmcnt(2)
	v_mul_f64 v[21:22], v[21:22], v[25:26]
	s_waitcnt vmcnt(0)
	v_mul_f64 v[23:24], v[33:34], v[23:24]
	s_waitcnt lgkmcnt(0)
	v_fma_f64 v[6:7], v[21:22], v[19:20], v[6:7]
	ds_bpermute_b32 v19, v18, v8 offset:24
	ds_bpermute_b32 v20, v18, v9 offset:24
	v_mul_f64 v[21:22], v[38:39], v[40:41]
	s_waitcnt lgkmcnt(0)
	v_fma_f64 v[6:7], v[23:24], v[19:20], v[6:7]
	ds_bpermute_b32 v19, v18, v8 offset:28
	ds_bpermute_b32 v20, v18, v9 offset:28
	v_mul_f64 v[23:24], v[36:37], v[42:43]
	s_waitcnt lgkmcnt(0)
	v_fma_f64 v[6:7], v[21:22], v[19:20], v[6:7]
	ds_bpermute_b32 v19, v18, v8 offset:32
	ds_bpermute_b32 v20, v18, v9 offset:32
	v_mul_f64 v[21:22], v[46:47], v[48:49]
	s_waitcnt lgkmcnt(0)
	v_fma_f64 v[6:7], v[23:24], v[19:20], v[6:7]
	ds_bpermute_b32 v19, v18, v8 offset:36
	ds_bpermute_b32 v20, v18, v9 offset:36
	v_mul_f64 v[23:24], v[44:45], v[50:51]
	s_waitcnt lgkmcnt(0)
	v_fma_f64 v[6:7], v[21:22], v[19:20], v[6:7]
	ds_bpermute_b32 v19, v18, v8 offset:40
	ds_bpermute_b32 v20, v18, v9 offset:40
	v_mul_f64 v[21:22], v[54:55], v[56:57]
	s_waitcnt lgkmcnt(0)
	v_fma_f64 v[6:7], v[23:24], v[19:20], v[6:7]
	ds_bpermute_b32 v19, v18, v8 offset:44
	ds_bpermute_b32 v20, v18, v9 offset:44
	v_mul_f64 v[23:24], v[52:53], v[58:59]
	s_waitcnt lgkmcnt(0)
	v_fma_f64 v[6:7], v[21:22], v[19:20], v[6:7]
	ds_bpermute_b32 v19, v18, v8 offset:48
	ds_bpermute_b32 v20, v18, v9 offset:48
	v_mul_f64 v[21:22], v[62:63], v[64:65]
	s_waitcnt lgkmcnt(0)
	v_fma_f64 v[6:7], v[23:24], v[19:20], v[6:7]
	ds_bpermute_b32 v19, v18, v8 offset:52
	ds_bpermute_b32 v20, v18, v9 offset:52
	v_mul_f64 v[23:24], v[60:61], v[66:67]
	s_waitcnt lgkmcnt(0)
	v_fma_f64 v[6:7], v[21:22], v[19:20], v[6:7]
	ds_bpermute_b32 v19, v18, v8 offset:56
	ds_bpermute_b32 v20, v18, v9 offset:56
	v_mul_f64 v[21:22], v[70:71], v[72:73]
	s_waitcnt lgkmcnt(0)
	v_fma_f64 v[6:7], v[23:24], v[19:20], v[6:7]
	ds_bpermute_b32 v19, v18, v8 offset:60
	ds_bpermute_b32 v20, v18, v9 offset:60
	v_mul_f64 v[23:24], v[68:69], v[74:75]
	s_waitcnt lgkmcnt(0)
	v_fma_f64 v[6:7], v[21:22], v[19:20], v[6:7]
	ds_bpermute_b32 v19, v18, v8 offset:64
	ds_bpermute_b32 v20, v18, v9 offset:64
	v_mul_f64 v[21:22], v[78:79], v[82:83]
	s_waitcnt lgkmcnt(0)
	v_fma_f64 v[6:7], v[23:24], v[19:20], v[6:7]
	ds_bpermute_b32 v19, v18, v8 offset:68
	ds_bpermute_b32 v20, v18, v9 offset:68
	v_mul_f64 v[23:24], v[76:77], v[84:85]
	s_waitcnt lgkmcnt(0)
	v_fma_f64 v[6:7], v[21:22], v[19:20], v[6:7]
	ds_bpermute_b32 v19, v18, v8 offset:72
	ds_bpermute_b32 v20, v18, v9 offset:72
	v_mul_f64 v[21:22], v[88:89], v[90:91]
	s_waitcnt lgkmcnt(0)
	v_fma_f64 v[6:7], v[23:24], v[19:20], v[6:7]
	ds_bpermute_b32 v19, v18, v8 offset:76
	ds_bpermute_b32 v20, v18, v9 offset:76
	v_mul_f64 v[23:24], v[86:87], v[92:93]
	s_waitcnt lgkmcnt(0)
	v_fma_f64 v[6:7], v[21:22], v[19:20], v[6:7]
	ds_bpermute_b32 v19, v18, v8 offset:80
	ds_bpermute_b32 v20, v18, v9 offset:80
	v_mul_f64 v[21:22], v[98:99], v[100:101]
	s_waitcnt lgkmcnt(0)
	v_fma_f64 v[6:7], v[23:24], v[19:20], v[6:7]
	ds_bpermute_b32 v19, v18, v8 offset:84
	ds_bpermute_b32 v20, v18, v9 offset:84
	v_mul_f64 v[23:24], v[94:95], v[102:103]
	s_waitcnt lgkmcnt(0)
	v_fma_f64 v[6:7], v[21:22], v[19:20], v[6:7]
	ds_bpermute_b32 v19, v18, v8 offset:88
	ds_bpermute_b32 v20, v18, v9 offset:88
	v_mul_f64 v[21:22], v[106:107], v[108:109]
	s_waitcnt lgkmcnt(0)
	v_fma_f64 v[6:7], v[23:24], v[19:20], v[6:7]
	ds_bpermute_b32 v19, v18, v8 offset:92
	ds_bpermute_b32 v20, v18, v9 offset:92
	v_mul_f64 v[23:24], v[104:105], v[110:111]
	s_waitcnt lgkmcnt(0)
	v_fma_f64 v[6:7], v[21:22], v[19:20], v[6:7]
	ds_bpermute_b32 v19, v18, v8 offset:96
	ds_bpermute_b32 v20, v18, v9 offset:96
	v_mul_f64 v[21:22], v[114:115], v[116:117]
	s_waitcnt lgkmcnt(0)
	v_fma_f64 v[6:7], v[23:24], v[19:20], v[6:7]
	ds_bpermute_b32 v19, v18, v8 offset:100
	ds_bpermute_b32 v20, v18, v9 offset:100
	v_mul_f64 v[23:24], v[112:113], v[118:119]
	s_waitcnt lgkmcnt(0)
	v_fma_f64 v[6:7], v[21:22], v[19:20], v[6:7]
	ds_bpermute_b32 v19, v18, v8 offset:104
	ds_bpermute_b32 v20, v18, v9 offset:104
	v_mul_f64 v[21:22], v[122:123], v[124:125]
	s_waitcnt lgkmcnt(0)
	v_fma_f64 v[6:7], v[23:24], v[19:20], v[6:7]
	ds_bpermute_b32 v19, v18, v8 offset:108
	ds_bpermute_b32 v20, v18, v9 offset:108
	v_mul_f64 v[23:24], v[120:121], v[126:127]
	s_waitcnt lgkmcnt(0)
	v_fma_f64 v[6:7], v[21:22], v[19:20], v[6:7]
	ds_bpermute_b32 v19, v18, v8 offset:112
	ds_bpermute_b32 v20, v18, v9 offset:112
	v_mul_f64 v[21:22], v[130:131], v[132:133]
	s_waitcnt lgkmcnt(0)
	v_fma_f64 v[6:7], v[23:24], v[19:20], v[6:7]
	ds_bpermute_b32 v19, v18, v8 offset:116
	ds_bpermute_b32 v20, v18, v9 offset:116
	s_waitcnt lgkmcnt(0)
	v_fma_f64 v[6:7], v[21:22], v[19:20], v[6:7]
	ds_bpermute_b32 v19, v18, v8 offset:120
	ds_bpermute_b32 v20, v18, v9 offset:120
	;; [unrolled: 1-line block ×4, first 2 shown]
	s_waitcnt lgkmcnt(2)
	v_fma_f64 v[0:1], v[0:1], v[19:20], v[6:7]
.LBB120_4:                              ;   in Loop: Header=BB120_5 Depth=1
	s_waitcnt lgkmcnt(0)
	v_fma_f64 v[0:1], v[80:81], v[8:9], v[0:1]
	s_add_u32 s30, s30, s9
	s_addc_u32 s31, s31, 0
	s_add_u32 s28, s28, s9
	s_addc_u32 s29, 0, s29
	buffer_store_dword v0, off, s[36:39], 0 offset:8 ; 4-byte Folded Spill
	s_nop 0
	buffer_store_dword v1, off, s[36:39], 0 offset:12 ; 4-byte Folded Spill
	buffer_load_dword v1, off, s[36:39], 0  ; 4-byte Folded Reload
	v_mov_b32_e32 v0, s27
	s_waitcnt vmcnt(0)
	v_add_co_u32_e32 v1, vcc, s26, v1
	buffer_store_dword v1, off, s[36:39], 0 ; 4-byte Folded Spill
	buffer_load_dword v1, off, s[36:39], 0 offset:4 ; 4-byte Folded Reload
	v_addc_co_u32_e32 v2, vcc, v2, v0, vcc
	s_waitcnt vmcnt(0)
	v_add_co_u32_e32 v1, vcc, s26, v1
	v_addc_co_u32_e32 v142, vcc, v142, v0, vcc
	v_add_co_u32_e32 v143, vcc, s26, v143
	v_addc_co_u32_e32 v144, vcc, v144, v0, vcc
	v_add_co_u32_e32 v145, vcc, s26, v145
	v_addc_co_u32_e32 v146, vcc, v146, v0, vcc
	v_add_co_u32_e32 v147, vcc, s26, v147
	v_addc_co_u32_e32 v148, vcc, v148, v0, vcc
	v_add_co_u32_e32 v149, vcc, s26, v149
	v_addc_co_u32_e32 v150, vcc, v150, v0, vcc
	v_add_co_u32_e32 v151, vcc, s26, v151
	v_addc_co_u32_e32 v152, vcc, v152, v0, vcc
	v_add_co_u32_e32 v153, vcc, s26, v153
	v_addc_co_u32_e32 v154, vcc, v154, v0, vcc
	v_add_co_u32_e32 v155, vcc, s26, v155
	v_addc_co_u32_e32 v156, vcc, v156, v0, vcc
	v_add_co_u32_e32 v157, vcc, s26, v157
	v_addc_co_u32_e32 v158, vcc, v158, v0, vcc
	v_add_co_u32_e32 v159, vcc, s26, v159
	v_addc_co_u32_e32 v160, vcc, v160, v0, vcc
	v_add_co_u32_e32 v161, vcc, s26, v161
	v_addc_co_u32_e32 v162, vcc, v162, v0, vcc
	v_add_co_u32_e32 v163, vcc, s26, v163
	v_addc_co_u32_e32 v164, vcc, v164, v0, vcc
	v_add_co_u32_e32 v165, vcc, s26, v165
	v_addc_co_u32_e32 v166, vcc, v166, v0, vcc
	v_add_co_u32_e32 v167, vcc, s26, v167
	v_addc_co_u32_e32 v168, vcc, v168, v0, vcc
	v_add_co_u32_e32 v169, vcc, s26, v169
	v_addc_co_u32_e32 v170, vcc, v170, v0, vcc
	v_add_co_u32_e32 v171, vcc, s26, v171
	v_addc_co_u32_e32 v172, vcc, v172, v0, vcc
	v_add_co_u32_e32 v173, vcc, s26, v173
	v_addc_co_u32_e32 v174, vcc, v174, v0, vcc
	v_add_co_u32_e32 v175, vcc, s26, v175
	v_addc_co_u32_e32 v176, vcc, v176, v0, vcc
	v_add_co_u32_e32 v177, vcc, s26, v177
	v_addc_co_u32_e32 v178, vcc, v178, v0, vcc
	v_add_co_u32_e32 v179, vcc, s26, v179
	v_addc_co_u32_e32 v180, vcc, v180, v0, vcc
	v_add_co_u32_e32 v181, vcc, s26, v181
	v_addc_co_u32_e32 v182, vcc, v182, v0, vcc
	v_add_co_u32_e32 v183, vcc, s26, v183
	v_addc_co_u32_e32 v184, vcc, v184, v0, vcc
	v_add_co_u32_e32 v185, vcc, s26, v185
	v_addc_co_u32_e32 v186, vcc, v186, v0, vcc
	v_add_co_u32_e32 v187, vcc, s26, v187
	v_addc_co_u32_e32 v188, vcc, v188, v0, vcc
	v_add_co_u32_e32 v189, vcc, s26, v189
	v_addc_co_u32_e32 v190, vcc, v190, v0, vcc
	v_add_co_u32_e32 v191, vcc, s26, v191
	v_addc_co_u32_e32 v192, vcc, v192, v0, vcc
	v_add_co_u32_e32 v193, vcc, s26, v193
	v_addc_co_u32_e32 v194, vcc, v194, v0, vcc
	v_add_co_u32_e32 v195, vcc, s26, v195
	v_addc_co_u32_e32 v196, vcc, v196, v0, vcc
	v_add_co_u32_e32 v197, vcc, s26, v197
	v_addc_co_u32_e32 v198, vcc, v198, v0, vcc
	v_add_co_u32_e32 v199, vcc, s26, v199
	v_addc_co_u32_e32 v200, vcc, v200, v0, vcc
	v_add_co_u32_e32 v201, vcc, s26, v201
	v_addc_co_u32_e32 v202, vcc, v202, v0, vcc
	v_add_co_u32_e32 v203, vcc, s26, v203
	v_addc_co_u32_e32 v204, vcc, v204, v0, vcc
	v_add_co_u32_e32 v205, vcc, s26, v205
	v_addc_co_u32_e32 v206, vcc, v206, v0, vcc
	v_add_co_u32_e32 v207, vcc, s26, v207
	v_addc_co_u32_e32 v208, vcc, v208, v0, vcc
	v_add_co_u32_e32 v209, vcc, s26, v209
	v_addc_co_u32_e32 v210, vcc, v210, v0, vcc
	v_add_co_u32_e32 v211, vcc, s26, v211
	v_addc_co_u32_e32 v212, vcc, v212, v0, vcc
	v_add_co_u32_e32 v213, vcc, s26, v213
	v_addc_co_u32_e32 v214, vcc, v214, v0, vcc
	v_add_co_u32_e32 v215, vcc, s26, v215
	v_addc_co_u32_e32 v216, vcc, v216, v0, vcc
	v_add_co_u32_e32 v217, vcc, s26, v217
	v_addc_co_u32_e32 v218, vcc, v218, v0, vcc
	v_add_co_u32_e32 v219, vcc, s26, v219
	v_addc_co_u32_e32 v220, vcc, v220, v0, vcc
	v_add_co_u32_e32 v221, vcc, s26, v221
	v_addc_co_u32_e32 v222, vcc, v222, v0, vcc
	v_add_co_u32_e32 v223, vcc, s26, v223
	v_addc_co_u32_e32 v224, vcc, v224, v0, vcc
	v_add_co_u32_e32 v225, vcc, s26, v225
	v_addc_co_u32_e32 v226, vcc, v226, v0, vcc
	v_add_co_u32_e32 v227, vcc, s26, v227
	v_addc_co_u32_e32 v228, vcc, v228, v0, vcc
	v_add_co_u32_e32 v229, vcc, s26, v229
	v_addc_co_u32_e32 v230, vcc, v230, v0, vcc
	v_add_co_u32_e32 v231, vcc, s26, v231
	v_addc_co_u32_e32 v232, vcc, v232, v0, vcc
	v_add_co_u32_e32 v233, vcc, s26, v233
	v_addc_co_u32_e32 v234, vcc, v234, v0, vcc
	v_add_co_u32_e32 v235, vcc, s26, v235
	v_addc_co_u32_e32 v236, vcc, v236, v0, vcc
	v_add_co_u32_e32 v237, vcc, s26, v237
	v_addc_co_u32_e32 v238, vcc, v238, v0, vcc
	v_add_co_u32_e32 v239, vcc, s26, v239
	v_addc_co_u32_e32 v240, vcc, v240, v0, vcc
	v_add_co_u32_e32 v241, vcc, s26, v241
	v_addc_co_u32_e32 v242, vcc, v242, v0, vcc
	v_add_co_u32_e32 v243, vcc, s26, v243
	v_addc_co_u32_e32 v244, vcc, v244, v0, vcc
	v_add_co_u32_e32 v245, vcc, s26, v245
	v_addc_co_u32_e32 v246, vcc, v246, v0, vcc
	v_add_co_u32_e32 v247, vcc, s26, v247
	v_addc_co_u32_e32 v248, vcc, v248, v0, vcc
	v_add_co_u32_e32 v249, vcc, s26, v249
	v_addc_co_u32_e32 v250, vcc, v250, v0, vcc
	v_add_co_u32_e32 v251, vcc, s26, v251
	v_addc_co_u32_e32 v252, vcc, v252, v0, vcc
	v_add_co_u32_e32 v253, vcc, s26, v253
	v_addc_co_u32_e32 v254, vcc, v254, v0, vcc
	v_add_co_u32_e32 v255, vcc, s26, v255
	v_addc_co_u32_e32 v3, vcc, v3, v0, vcc
	v_add_co_u32_e32 v96, vcc, s26, v96
	v_addc_co_u32_e32 v97, vcc, v97, v0, vcc
	v_add_co_u32_e32 v10, vcc, s26, v10
	v_addc_co_u32_e32 v11, vcc, v11, v0, vcc
	v_add_co_u32_e32 v12, vcc, s26, v12
	v_addc_co_u32_e32 v13, vcc, v13, v0, vcc
	v_add_co_u32_e32 v14, vcc, s26, v14
	v_addc_co_u32_e32 v15, vcc, v15, v0, vcc
	v_add_co_u32_e32 v16, vcc, s26, v16
	v_addc_co_u32_e32 v17, vcc, v17, v0, vcc
	buffer_store_dword v1, off, s[36:39], 0 offset:4 ; 4-byte Folded Spill
	v_add_co_u32_e32 v138, vcc, s9, v138
	v_mov_b32_e32 v0, s12
	v_addc_co_u32_e32 v139, vcc, 0, v139, vcc
	v_mov_b32_e32 v1, s13
	v_cmp_lt_i64_e32 vcc, s[30:31], v[0:1]
	s_cbranch_vccz .LBB120_145
.LBB120_5:                              ; =>This Inner Loop Header: Depth=1
	s_add_u32 s10, s22, s28
	v_mov_b32_e32 v0, s12
	s_addc_u32 s11, 0, s29
	v_mov_b32_e32 v1, s13
	v_cmp_ge_i64_e32 vcc, s[10:11], v[0:1]
	v_add_co_u32_e64 v6, s[10:11], s22, v138
	v_addc_co_u32_e64 v7, s[10:11], 0, v139, s[10:11]
	s_mov_b64 s[10:11], -1
                                        ; implicit-def: $vgpr0_vgpr1
                                        ; implicit-def: $vgpr80_vgpr81
                                        ; implicit-def: $vgpr8
	s_cbranch_vccz .LBB120_75
; %bb.6:                                ;   in Loop: Header=BB120_5 Depth=1
	s_load_dword s10, s[24:25], 0xc
	buffer_load_dword v0, off, s[36:39], 0 offset:548 ; 4-byte Folded Reload
	buffer_load_dword v1, off, s[36:39], 0 offset:552 ; 4-byte Folded Reload
	;; [unrolled: 1-line block ×3, first 2 shown]
	v_mov_b32_e32 v24, 0
	v_mov_b32_e32 v8, 0
	s_waitcnt lgkmcnt(0)
	s_and_b32 s10, s10, 0xffff
	v_mov_b32_e32 v25, 0
	v_mov_b32_e32 v9, 0
	s_waitcnt vmcnt(0)
	v_mad_u32_u24 v0, v0, s10, v1
	v_and_b32_e32 v0, 63, v0
	v_cmp_gt_u32_e32 vcc, 32, v0
	s_and_saveexec_b64 s[10:11], vcc
	s_cbranch_execz .LBB120_10
; %bb.7:                                ;   in Loop: Header=BB120_5 Depth=1
	v_add_co_u32_e32 v0, vcc, v6, v0
	v_addc_co_u32_e32 v1, vcc, 0, v7, vcc
	v_cmp_gt_i64_e32 vcc, s[12:13], v[0:1]
	v_mov_b32_e32 v8, 0
	v_mov_b32_e32 v9, 0
	s_and_saveexec_b64 s[34:35], vcc
	s_cbranch_execz .LBB120_9
; %bb.8:                                ;   in Loop: Header=BB120_5 Depth=1
	v_lshlrev_b64 v[0:1], 3, v[0:1]
	v_mov_b32_e32 v8, s21
	v_add_co_u32_e32 v0, vcc, s20, v0
	v_addc_co_u32_e32 v1, vcc, v8, v1, vcc
	global_load_dwordx2 v[8:9], v[0:1], off
.LBB120_9:                              ;   in Loop: Header=BB120_5 Depth=1
	s_or_b64 exec, exec, s[34:35]
.LBB120_10:                             ;   in Loop: Header=BB120_5 Depth=1
	s_or_b64 exec, exec, s[10:11]
	v_cmp_gt_i64_e32 vcc, s[12:13], v[6:7]
	v_mov_b32_e32 v0, 0
	v_mov_b32_e32 v1, 0
	s_and_b64 s[34:35], s[2:3], vcc
	buffer_store_dword v0, off, s[36:39], 0 offset:16 ; 4-byte Folded Spill
	s_nop 0
	buffer_store_dword v1, off, s[36:39], 0 offset:20 ; 4-byte Folded Spill
	s_and_saveexec_b64 s[10:11], s[34:35]
	s_cbranch_execz .LBB120_12
; %bb.11:                               ;   in Loop: Header=BB120_5 Depth=1
	buffer_load_dword v0, off, s[36:39], 0  ; 4-byte Folded Reload
	s_waitcnt vmcnt(0)
	v_add_co_u32_e32 v0, vcc, v0, v4
	v_addc_co_u32_e32 v1, vcc, v2, v5, vcc
	global_load_dwordx2 v[24:25], v[0:1], off
	s_nop 0
	buffer_load_dword v0, off, s[36:39], 0 offset:4 ; 4-byte Folded Reload
	s_waitcnt vmcnt(0)
	v_add_co_u32_e32 v0, vcc, v0, v4
	v_addc_co_u32_e32 v1, vcc, v142, v5, vcc
	global_load_dwordx2 v[0:1], v[0:1], off
	s_waitcnt vmcnt(0)
	buffer_store_dword v0, off, s[36:39], 0 offset:16 ; 4-byte Folded Spill
	s_nop 0
	buffer_store_dword v1, off, s[36:39], 0 offset:20 ; 4-byte Folded Spill
.LBB120_12:                             ;   in Loop: Header=BB120_5 Depth=1
	s_or_b64 exec, exec, s[10:11]
	v_add_co_u32_e32 v0, vcc, 1, v6
	v_addc_co_u32_e32 v1, vcc, 0, v7, vcc
	v_cmp_gt_i64_e32 vcc, s[12:13], v[0:1]
	v_mov_b32_e32 v0, 0
	v_mov_b32_e32 v1, 0
	buffer_store_dword v0, off, s[36:39], 0 offset:24 ; 4-byte Folded Spill
	s_nop 0
	buffer_store_dword v1, off, s[36:39], 0 offset:28 ; 4-byte Folded Spill
	v_mov_b32_e32 v0, 0
	v_mov_b32_e32 v1, 0
	buffer_store_dword v0, off, s[36:39], 0 offset:36 ; 4-byte Folded Spill
	s_nop 0
	buffer_store_dword v1, off, s[36:39], 0 offset:40 ; 4-byte Folded Spill
	v_mov_b32_e32 v0, 0
	v_mov_b32_e32 v1, 0
	s_and_b64 s[34:35], s[2:3], vcc
	buffer_store_dword v0, off, s[36:39], 0 offset:44 ; 4-byte Folded Spill
	s_nop 0
	buffer_store_dword v1, off, s[36:39], 0 offset:48 ; 4-byte Folded Spill
	s_and_saveexec_b64 s[10:11], s[34:35]
	s_cbranch_execz .LBB120_14
; %bb.13:                               ;   in Loop: Header=BB120_5 Depth=1
	v_add_co_u32_e32 v0, vcc, v14, v4
	v_addc_co_u32_e32 v1, vcc, v15, v5, vcc
	global_load_dwordx2 v[0:1], v[0:1], off
	s_waitcnt vmcnt(0)
	buffer_store_dword v0, off, s[36:39], 0 offset:36 ; 4-byte Folded Spill
	s_nop 0
	buffer_store_dword v1, off, s[36:39], 0 offset:40 ; 4-byte Folded Spill
	v_add_co_u32_e32 v0, vcc, v16, v4
	v_addc_co_u32_e32 v1, vcc, v17, v5, vcc
	global_load_dwordx2 v[0:1], v[0:1], off
	s_waitcnt vmcnt(0)
	buffer_store_dword v0, off, s[36:39], 0 offset:44 ; 4-byte Folded Spill
	s_nop 0
	buffer_store_dword v1, off, s[36:39], 0 offset:48 ; 4-byte Folded Spill
.LBB120_14:                             ;   in Loop: Header=BB120_5 Depth=1
	s_or_b64 exec, exec, s[10:11]
	v_add_co_u32_e32 v19, vcc, 2, v6
	v_addc_co_u32_e32 v20, vcc, 0, v7, vcc
	v_cmp_gt_i64_e32 vcc, s[12:13], v[19:20]
	v_mov_b32_e32 v19, 0
	v_mov_b32_e32 v20, 0
	s_and_b64 s[34:35], s[2:3], vcc
	s_and_saveexec_b64 s[10:11], s[34:35]
	s_cbranch_execz .LBB120_16
; %bb.15:                               ;   in Loop: Header=BB120_5 Depth=1
	v_add_co_u32_e32 v19, vcc, v10, v4
	v_addc_co_u32_e32 v20, vcc, v11, v5, vcc
	global_load_dwordx2 v[0:1], v[19:20], off
	v_add_co_u32_e32 v19, vcc, v12, v4
	v_addc_co_u32_e32 v20, vcc, v13, v5, vcc
	s_waitcnt vmcnt(0)
	buffer_store_dword v0, off, s[36:39], 0 offset:24 ; 4-byte Folded Spill
	s_nop 0
	buffer_store_dword v1, off, s[36:39], 0 offset:28 ; 4-byte Folded Spill
	global_load_dwordx2 v[19:20], v[19:20], off
.LBB120_16:                             ;   in Loop: Header=BB120_5 Depth=1
	s_or_b64 exec, exec, s[10:11]
	v_add_co_u32_e32 v22, vcc, 3, v6
	v_mov_b32_e32 v0, 0
	v_addc_co_u32_e32 v23, vcc, 0, v7, vcc
	v_mov_b32_e32 v1, 0
	v_cmp_gt_i64_e32 vcc, s[12:13], v[22:23]
	buffer_store_dword v0, off, s[36:39], 0 offset:52 ; 4-byte Folded Spill
	s_nop 0
	buffer_store_dword v1, off, s[36:39], 0 offset:56 ; 4-byte Folded Spill
	v_mov_b32_e32 v21, 0
	v_mov_b32_e32 v0, 0
	;; [unrolled: 1-line block ×4, first 2 shown]
	s_and_b64 s[34:35], s[2:3], vcc
	s_and_saveexec_b64 s[10:11], s[34:35]
	s_cbranch_execz .LBB120_18
; %bb.17:                               ;   in Loop: Header=BB120_5 Depth=1
	v_mov_b32_e32 v0, v24
	v_mov_b32_e32 v1, v25
	v_add_co_u32_e32 v24, vcc, v255, v4
	v_addc_co_u32_e32 v25, vcc, v3, v5, vcc
	global_load_dwordx2 v[23:24], v[24:25], off
	v_add_co_u32_e32 v26, vcc, v96, v4
	v_addc_co_u32_e32 v27, vcc, v97, v5, vcc
	s_waitcnt vmcnt(0)
	buffer_store_dword v23, off, s[36:39], 0 offset:52 ; 4-byte Folded Spill
	s_nop 0
	buffer_store_dword v24, off, s[36:39], 0 offset:56 ; 4-byte Folded Spill
	v_mov_b32_e32 v25, v1
	v_mov_b32_e32 v24, v0
	global_load_dwordx2 v[0:1], v[26:27], off
.LBB120_18:                             ;   in Loop: Header=BB120_5 Depth=1
	s_or_b64 exec, exec, s[10:11]
	v_add_co_u32_e32 v28, vcc, 4, v6
	v_addc_co_u32_e32 v29, vcc, 0, v7, vcc
	v_cmp_gt_i64_e32 vcc, s[12:13], v[28:29]
	v_mov_b32_e32 v26, 0
	v_mov_b32_e32 v27, 0
	s_and_b64 s[34:35], s[2:3], vcc
	buffer_store_dword v26, off, s[36:39], 0 offset:60 ; 4-byte Folded Spill
	s_nop 0
	buffer_store_dword v27, off, s[36:39], 0 offset:64 ; 4-byte Folded Spill
	s_and_saveexec_b64 s[10:11], s[34:35]
	s_cbranch_execz .LBB120_20
; %bb.19:                               ;   in Loop: Header=BB120_5 Depth=1
	v_add_co_u32_e32 v22, vcc, v251, v4
	v_addc_co_u32_e32 v23, vcc, v252, v5, vcc
	v_add_co_u32_e32 v28, vcc, v253, v4
	v_addc_co_u32_e32 v29, vcc, v254, v5, vcc
	global_load_dwordx2 v[21:22], v[22:23], off
	s_nop 0
	global_load_dwordx2 v[26:27], v[28:29], off
	s_waitcnt vmcnt(0)
	buffer_store_dword v26, off, s[36:39], 0 offset:60 ; 4-byte Folded Spill
	s_nop 0
	buffer_store_dword v27, off, s[36:39], 0 offset:64 ; 4-byte Folded Spill
.LBB120_20:                             ;   in Loop: Header=BB120_5 Depth=1
	s_or_b64 exec, exec, s[10:11]
	v_add_co_u32_e32 v30, vcc, 5, v6
	v_addc_co_u32_e32 v31, vcc, 0, v7, vcc
	v_cmp_gt_i64_e32 vcc, s[12:13], v[30:31]
	v_mov_b32_e32 v26, 0
	v_mov_b32_e32 v32, 0
	;; [unrolled: 1-line block ×6, first 2 shown]
	s_and_b64 s[34:35], s[2:3], vcc
	buffer_store_dword v26, off, s[36:39], 0 offset:68 ; 4-byte Folded Spill
	s_nop 0
	buffer_store_dword v27, off, s[36:39], 0 offset:72 ; 4-byte Folded Spill
	s_and_saveexec_b64 s[10:11], s[34:35]
	s_cbranch_execz .LBB120_22
; %bb.21:                               ;   in Loop: Header=BB120_5 Depth=1
	v_add_co_u32_e32 v32, vcc, v247, v4
	v_addc_co_u32_e32 v33, vcc, v248, v5, vcc
	v_add_co_u32_e32 v34, vcc, v249, v4
	v_addc_co_u32_e32 v35, vcc, v250, v5, vcc
	global_load_dwordx2 v[32:33], v[32:33], off
	s_nop 0
	global_load_dwordx2 v[34:35], v[34:35], off
.LBB120_22:                             ;   in Loop: Header=BB120_5 Depth=1
	s_or_b64 exec, exec, s[10:11]
	v_add_co_u32_e32 v36, vcc, 6, v6
	v_addc_co_u32_e32 v37, vcc, 0, v7, vcc
	v_cmp_gt_i64_e32 vcc, s[12:13], v[36:37]
	v_mov_b32_e32 v36, 0
	v_mov_b32_e32 v37, 0
	s_and_b64 s[34:35], s[2:3], vcc
	s_and_saveexec_b64 s[10:11], s[34:35]
	s_cbranch_execz .LBB120_24
; %bb.23:                               ;   in Loop: Header=BB120_5 Depth=1
	v_add_co_u32_e32 v30, vcc, v243, v4
	v_addc_co_u32_e32 v31, vcc, v244, v5, vcc
	global_load_dwordx2 v[26:27], v[30:31], off
	v_add_co_u32_e32 v36, vcc, v245, v4
	v_addc_co_u32_e32 v37, vcc, v246, v5, vcc
	s_waitcnt vmcnt(0)
	buffer_store_dword v26, off, s[36:39], 0 offset:68 ; 4-byte Folded Spill
	s_nop 0
	buffer_store_dword v27, off, s[36:39], 0 offset:72 ; 4-byte Folded Spill
	global_load_dwordx2 v[36:37], v[36:37], off
.LBB120_24:                             ;   in Loop: Header=BB120_5 Depth=1
	s_or_b64 exec, exec, s[10:11]
	v_add_co_u32_e32 v38, vcc, 7, v6
	v_addc_co_u32_e32 v39, vcc, 0, v7, vcc
	v_cmp_gt_i64_e32 vcc, s[12:13], v[38:39]
	v_mov_b32_e32 v38, 0
	v_mov_b32_e32 v40, 0
	v_mov_b32_e32 v42, 0
	v_mov_b32_e32 v39, 0
	v_mov_b32_e32 v41, 0
	v_mov_b32_e32 v43, 0
	s_and_b64 s[34:35], s[2:3], vcc
	s_and_saveexec_b64 s[10:11], s[34:35]
	s_cbranch_execz .LBB120_26
; %bb.25:                               ;   in Loop: Header=BB120_5 Depth=1
	v_add_co_u32_e32 v40, vcc, v239, v4
	v_addc_co_u32_e32 v41, vcc, v240, v5, vcc
	v_add_co_u32_e32 v42, vcc, v241, v4
	v_addc_co_u32_e32 v43, vcc, v242, v5, vcc
	global_load_dwordx2 v[40:41], v[40:41], off
	s_nop 0
	global_load_dwordx2 v[42:43], v[42:43], off
.LBB120_26:                             ;   in Loop: Header=BB120_5 Depth=1
	s_or_b64 exec, exec, s[10:11]
	v_add_co_u32_e32 v44, vcc, 8, v6
	v_addc_co_u32_e32 v45, vcc, 0, v7, vcc
	v_cmp_gt_i64_e32 vcc, s[12:13], v[44:45]
	v_mov_b32_e32 v44, 0
	v_mov_b32_e32 v45, 0
	s_and_b64 s[34:35], s[2:3], vcc
	s_and_saveexec_b64 s[10:11], s[34:35]
	s_cbranch_execz .LBB120_28
; %bb.27:                               ;   in Loop: Header=BB120_5 Depth=1
	v_add_co_u32_e32 v38, vcc, v235, v4
	v_addc_co_u32_e32 v39, vcc, v236, v5, vcc
	v_add_co_u32_e32 v44, vcc, v237, v4
	v_addc_co_u32_e32 v45, vcc, v238, v5, vcc
	global_load_dwordx2 v[38:39], v[38:39], off
	s_nop 0
	global_load_dwordx2 v[44:45], v[44:45], off
.LBB120_28:                             ;   in Loop: Header=BB120_5 Depth=1
	s_or_b64 exec, exec, s[10:11]
	v_add_co_u32_e32 v46, vcc, 9, v6
	v_addc_co_u32_e32 v47, vcc, 0, v7, vcc
	v_cmp_gt_i64_e32 vcc, s[12:13], v[46:47]
	v_mov_b32_e32 v46, 0
	v_mov_b32_e32 v48, 0
	v_mov_b32_e32 v50, 0
	v_mov_b32_e32 v47, 0
	v_mov_b32_e32 v49, 0
	v_mov_b32_e32 v51, 0
	s_and_b64 s[34:35], s[2:3], vcc
	s_and_saveexec_b64 s[10:11], s[34:35]
	s_cbranch_execz .LBB120_30
; %bb.29:                               ;   in Loop: Header=BB120_5 Depth=1
	v_add_co_u32_e32 v48, vcc, v231, v4
	v_addc_co_u32_e32 v49, vcc, v232, v5, vcc
	v_add_co_u32_e32 v50, vcc, v233, v4
	v_addc_co_u32_e32 v51, vcc, v234, v5, vcc
	global_load_dwordx2 v[48:49], v[48:49], off
	s_nop 0
	global_load_dwordx2 v[50:51], v[50:51], off
.LBB120_30:                             ;   in Loop: Header=BB120_5 Depth=1
	s_or_b64 exec, exec, s[10:11]
	v_add_co_u32_e32 v52, vcc, 10, v6
	v_addc_co_u32_e32 v53, vcc, 0, v7, vcc
	v_cmp_gt_i64_e32 vcc, s[12:13], v[52:53]
	v_mov_b32_e32 v52, 0
	v_mov_b32_e32 v53, 0
	s_and_b64 s[34:35], s[2:3], vcc
	s_and_saveexec_b64 s[10:11], s[34:35]
	s_cbranch_execz .LBB120_32
; %bb.31:                               ;   in Loop: Header=BB120_5 Depth=1
	v_add_co_u32_e32 v46, vcc, v227, v4
	v_addc_co_u32_e32 v47, vcc, v228, v5, vcc
	v_add_co_u32_e32 v52, vcc, v229, v4
	v_addc_co_u32_e32 v53, vcc, v230, v5, vcc
	global_load_dwordx2 v[46:47], v[46:47], off
	s_nop 0
	global_load_dwordx2 v[52:53], v[52:53], off
.LBB120_32:                             ;   in Loop: Header=BB120_5 Depth=1
	;; [unrolled: 40-line block ×5, first 2 shown]
	s_or_b64 exec, exec, s[10:11]
	v_add_co_u32_e32 v78, vcc, 17, v6
	v_addc_co_u32_e32 v79, vcc, 0, v7, vcc
	v_cmp_gt_i64_e32 vcc, s[12:13], v[78:79]
	v_mov_b32_e32 v78, 0
	v_mov_b32_e32 v82, 0
	;; [unrolled: 1-line block ×6, first 2 shown]
	s_and_b64 s[34:35], s[2:3], vcc
	s_and_saveexec_b64 s[10:11], s[34:35]
	s_cbranch_execz .LBB120_46
; %bb.45:                               ;   in Loop: Header=BB120_5 Depth=1
	v_add_co_u32_e32 v80, vcc, v199, v4
	v_addc_co_u32_e32 v81, vcc, v200, v5, vcc
	global_load_dwordx2 v[82:83], v[80:81], off
	v_add_co_u32_e32 v80, vcc, v201, v4
	v_addc_co_u32_e32 v81, vcc, v202, v5, vcc
	global_load_dwordx2 v[84:85], v[80:81], off
.LBB120_46:                             ;   in Loop: Header=BB120_5 Depth=1
	s_or_b64 exec, exec, s[10:11]
	v_add_co_u32_e32 v80, vcc, 18, v6
	v_addc_co_u32_e32 v81, vcc, 0, v7, vcc
	v_cmp_gt_i64_e32 vcc, s[12:13], v[80:81]
	v_mov_b32_e32 v86, 0
	v_mov_b32_e32 v87, 0
	s_and_b64 s[34:35], s[2:3], vcc
	s_and_saveexec_b64 s[10:11], s[34:35]
	s_cbranch_execz .LBB120_48
; %bb.47:                               ;   in Loop: Header=BB120_5 Depth=1
	v_add_co_u32_e32 v78, vcc, v195, v4
	v_addc_co_u32_e32 v79, vcc, v196, v5, vcc
	v_add_co_u32_e32 v80, vcc, v197, v4
	v_addc_co_u32_e32 v81, vcc, v198, v5, vcc
	global_load_dwordx2 v[78:79], v[78:79], off
	s_nop 0
	global_load_dwordx2 v[86:87], v[80:81], off
.LBB120_48:                             ;   in Loop: Header=BB120_5 Depth=1
	s_or_b64 exec, exec, s[10:11]
	v_add_co_u32_e32 v80, vcc, 19, v6
	v_addc_co_u32_e32 v81, vcc, 0, v7, vcc
	v_cmp_gt_i64_e32 vcc, s[12:13], v[80:81]
	v_mov_b32_e32 v88, 0
	v_mov_b32_e32 v90, 0
	v_mov_b32_e32 v92, 0
	v_mov_b32_e32 v89, 0
	v_mov_b32_e32 v91, 0
	v_mov_b32_e32 v93, 0
	s_and_b64 s[34:35], s[2:3], vcc
	s_and_saveexec_b64 s[10:11], s[34:35]
	s_cbranch_execz .LBB120_50
; %bb.49:                               ;   in Loop: Header=BB120_5 Depth=1
	v_add_co_u32_e32 v80, vcc, v191, v4
	v_addc_co_u32_e32 v81, vcc, v192, v5, vcc
	global_load_dwordx2 v[90:91], v[80:81], off
	v_add_co_u32_e32 v80, vcc, v193, v4
	v_addc_co_u32_e32 v81, vcc, v194, v5, vcc
	global_load_dwordx2 v[92:93], v[80:81], off
.LBB120_50:                             ;   in Loop: Header=BB120_5 Depth=1
	s_or_b64 exec, exec, s[10:11]
	v_add_co_u32_e32 v80, vcc, 20, v6
	v_addc_co_u32_e32 v81, vcc, 0, v7, vcc
	v_cmp_gt_i64_e32 vcc, s[12:13], v[80:81]
	v_mov_b32_e32 v94, 0
	v_mov_b32_e32 v95, 0
	s_and_b64 s[34:35], s[2:3], vcc
	s_and_saveexec_b64 s[10:11], s[34:35]
	s_cbranch_execz .LBB120_52
; %bb.51:                               ;   in Loop: Header=BB120_5 Depth=1
	v_add_co_u32_e32 v80, vcc, v187, v4
	v_addc_co_u32_e32 v81, vcc, v188, v5, vcc
	global_load_dwordx2 v[88:89], v[80:81], off
	v_add_co_u32_e32 v80, vcc, v189, v4
	v_addc_co_u32_e32 v81, vcc, v190, v5, vcc
	global_load_dwordx2 v[94:95], v[80:81], off
.LBB120_52:                             ;   in Loop: Header=BB120_5 Depth=1
	s_or_b64 exec, exec, s[10:11]
	v_add_co_u32_e32 v80, vcc, 21, v6
	v_addc_co_u32_e32 v81, vcc, 0, v7, vcc
	v_cmp_gt_i64_e32 vcc, s[12:13], v[80:81]
	v_mov_b32_e32 v98, 0
	v_mov_b32_e32 v100, 0
	v_mov_b32_e32 v102, 0
	v_mov_b32_e32 v99, 0
	v_mov_b32_e32 v101, 0
	v_mov_b32_e32 v103, 0
	s_and_b64 s[34:35], s[2:3], vcc
	s_and_saveexec_b64 s[10:11], s[34:35]
	s_cbranch_execz .LBB120_54
; %bb.53:                               ;   in Loop: Header=BB120_5 Depth=1
	v_add_co_u32_e32 v80, vcc, v183, v4
	v_addc_co_u32_e32 v81, vcc, v184, v5, vcc
	global_load_dwordx2 v[100:101], v[80:81], off
	v_add_co_u32_e32 v80, vcc, v185, v4
	v_addc_co_u32_e32 v81, vcc, v186, v5, vcc
	global_load_dwordx2 v[102:103], v[80:81], off
.LBB120_54:                             ;   in Loop: Header=BB120_5 Depth=1
	s_or_b64 exec, exec, s[10:11]
	v_add_co_u32_e32 v80, vcc, 22, v6
	v_addc_co_u32_e32 v81, vcc, 0, v7, vcc
	v_cmp_gt_i64_e32 vcc, s[12:13], v[80:81]
	v_mov_b32_e32 v104, 0
	v_mov_b32_e32 v105, 0
	s_and_b64 s[34:35], s[2:3], vcc
	s_and_saveexec_b64 s[10:11], s[34:35]
	s_cbranch_execz .LBB120_56
; %bb.55:                               ;   in Loop: Header=BB120_5 Depth=1
	v_add_co_u32_e32 v80, vcc, v179, v4
	v_addc_co_u32_e32 v81, vcc, v180, v5, vcc
	global_load_dwordx2 v[98:99], v[80:81], off
	v_add_co_u32_e32 v80, vcc, v181, v4
	v_addc_co_u32_e32 v81, vcc, v182, v5, vcc
	global_load_dwordx2 v[104:105], v[80:81], off
.LBB120_56:                             ;   in Loop: Header=BB120_5 Depth=1
	;; [unrolled: 38-line block ×6, first 2 shown]
	s_or_b64 exec, exec, s[10:11]
	v_add_co_u32_e32 v80, vcc, 31, v6
	v_addc_co_u32_e32 v81, vcc, 0, v7, vcc
	v_cmp_gt_i64_e32 vcc, s[12:13], v[80:81]
	s_waitcnt vmcnt(4)
	v_mov_b32_e32 v31, v1
	v_mov_b32_e32 v29, v22
	;; [unrolled: 1-line block ×8, first 2 shown]
	s_and_b64 s[34:35], s[2:3], vcc
	s_and_saveexec_b64 s[10:11], s[34:35]
	s_cbranch_execz .LBB120_74
; %bb.73:                               ;   in Loop: Header=BB120_5 Depth=1
	v_add_co_u32_e32 v80, vcc, v143, v4
	v_addc_co_u32_e32 v81, vcc, v144, v5, vcc
	v_add_co_u32_e32 v0, vcc, v145, v4
	v_addc_co_u32_e32 v1, vcc, v146, v5, vcc
	global_load_dwordx2 v[80:81], v[80:81], off
	s_nop 0
	global_load_dwordx2 v[0:1], v[0:1], off
	s_waitcnt vmcnt(0)
	v_mul_f64 v[80:81], v[80:81], v[0:1]
.LBB120_74:                             ;   in Loop: Header=BB120_5 Depth=1
	s_or_b64 exec, exec, s[10:11]
	buffer_load_dword v0, off, s[36:39], 0 offset:16 ; 4-byte Folded Reload
	buffer_load_dword v1, off, s[36:39], 0 offset:20 ; 4-byte Folded Reload
	ds_bpermute_b32 v19, v18, v8
	ds_bpermute_b32 v20, v18, v9
	s_mov_b64 s[10:11], 0
	s_waitcnt vmcnt(0)
	v_mul_f64 v[0:1], v[24:25], v[0:1]
	buffer_load_dword v21, off, s[36:39], 0 offset:36 ; 4-byte Folded Reload
	buffer_load_dword v22, off, s[36:39], 0 offset:40 ; 4-byte Folded Reload
	;; [unrolled: 1-line block ×4, first 2 shown]
	s_waitcnt vmcnt(0)
	v_mul_f64 v[21:22], v[21:22], v[23:24]
	buffer_load_dword v23, off, s[36:39], 0 offset:8 ; 4-byte Folded Reload
	buffer_load_dword v24, off, s[36:39], 0 offset:12 ; 4-byte Folded Reload
	s_waitcnt vmcnt(0) lgkmcnt(0)
	v_fma_f64 v[0:1], v[0:1], v[19:20], v[23:24]
	buffer_load_dword v23, off, s[36:39], 0 offset:24 ; 4-byte Folded Reload
	buffer_load_dword v24, off, s[36:39], 0 offset:28 ; 4-byte Folded Reload
	ds_bpermute_b32 v19, v18, v8 offset:4
	ds_bpermute_b32 v20, v18, v9 offset:4
	s_waitcnt lgkmcnt(0)
	v_fma_f64 v[0:1], v[21:22], v[19:20], v[0:1]
	buffer_load_dword v21, off, s[36:39], 0 offset:52 ; 4-byte Folded Reload
	buffer_load_dword v22, off, s[36:39], 0 offset:56 ; 4-byte Folded Reload
	ds_bpermute_b32 v19, v18, v8 offset:8
	ds_bpermute_b32 v20, v18, v9 offset:8
	s_waitcnt vmcnt(2)
	v_mul_f64 v[23:24], v[23:24], v[26:27]
	s_waitcnt lgkmcnt(0)
	v_fma_f64 v[0:1], v[23:24], v[19:20], v[0:1]
	buffer_load_dword v23, off, s[36:39], 0 offset:60 ; 4-byte Folded Reload
	buffer_load_dword v24, off, s[36:39], 0 offset:64 ; 4-byte Folded Reload
	s_waitcnt vmcnt(2)
	v_mul_f64 v[21:22], v[21:22], v[30:31]
	ds_bpermute_b32 v19, v18, v8 offset:12
	ds_bpermute_b32 v20, v18, v9 offset:12
	s_waitcnt lgkmcnt(0)
	v_fma_f64 v[0:1], v[21:22], v[19:20], v[0:1]
	ds_bpermute_b32 v19, v18, v8 offset:16
	ds_bpermute_b32 v20, v18, v9 offset:16
	v_mul_f64 v[21:22], v[32:33], v[34:35]
	s_waitcnt vmcnt(0)
	v_mul_f64 v[23:24], v[28:29], v[23:24]
	s_waitcnt lgkmcnt(0)
	v_fma_f64 v[0:1], v[23:24], v[19:20], v[0:1]
	buffer_load_dword v23, off, s[36:39], 0 offset:68 ; 4-byte Folded Reload
	buffer_load_dword v24, off, s[36:39], 0 offset:72 ; 4-byte Folded Reload
	ds_bpermute_b32 v19, v18, v8 offset:20
	ds_bpermute_b32 v20, v18, v9 offset:20
	s_waitcnt lgkmcnt(0)
	v_fma_f64 v[0:1], v[21:22], v[19:20], v[0:1]
	ds_bpermute_b32 v19, v18, v8 offset:24
	ds_bpermute_b32 v20, v18, v9 offset:24
	v_mul_f64 v[21:22], v[40:41], v[42:43]
	s_waitcnt vmcnt(0)
	v_mul_f64 v[23:24], v[23:24], v[36:37]
	s_waitcnt lgkmcnt(0)
	v_fma_f64 v[0:1], v[23:24], v[19:20], v[0:1]
	ds_bpermute_b32 v19, v18, v8 offset:28
	ds_bpermute_b32 v20, v18, v9 offset:28
	v_mul_f64 v[23:24], v[38:39], v[44:45]
	s_waitcnt lgkmcnt(0)
	v_fma_f64 v[0:1], v[21:22], v[19:20], v[0:1]
	ds_bpermute_b32 v19, v18, v8 offset:32
	ds_bpermute_b32 v20, v18, v9 offset:32
	;; [unrolled: 5-line block ×23, first 2 shown]
	s_waitcnt lgkmcnt(0)
	v_fma_f64 v[0:1], v[21:22], v[19:20], v[0:1]
	v_mul_f64 v[19:20], v[130:131], v[136:137]
	ds_bpermute_b32 v21, v18, v8 offset:120
	ds_bpermute_b32 v22, v18, v9 offset:120
	;; [unrolled: 1-line block ×4, first 2 shown]
	s_waitcnt lgkmcnt(2)
	v_fma_f64 v[0:1], v[19:20], v[21:22], v[0:1]
.LBB120_75:                             ;   in Loop: Header=BB120_5 Depth=1
	s_and_b64 vcc, exec, s[10:11]
	s_cbranch_vccz .LBB120_4
; %bb.76:                               ;   in Loop: Header=BB120_5 Depth=1
	s_load_dword s10, s[24:25], 0x0
	buffer_load_dword v0, off, s[36:39], 0 offset:76 ; 4-byte Folded Reload
	buffer_load_dword v1, off, s[36:39], 0 offset:80 ; 4-byte Folded Reload
	v_mov_b32_e32 v19, 0
	v_mov_b32_e32 v20, 0
	s_waitcnt lgkmcnt(0)
	s_cmp_lt_u32 s6, s10
	s_cselect_b32 s10, 12, 18
	s_add_u32 s10, s24, s10
	s_addc_u32 s11, s25, 0
	s_waitcnt vmcnt(0)
	global_load_ushort v0, v1, s[10:11]
	buffer_load_dword v8, off, s[36:39], 0 offset:548 ; 4-byte Folded Reload
	buffer_load_dword v9, off, s[36:39], 0 offset:552 ; 4-byte Folded Reload
	s_nop 0
	buffer_load_dword v1, off, s[36:39], 0 offset:32 ; 4-byte Folded Reload
	s_waitcnt vmcnt(0)
	v_mad_u32_u24 v0, v8, v0, v1
	v_and_b32_e32 v0, 63, v0
	v_mov_b32_e32 v8, 0
	v_mov_b32_e32 v9, 0
	v_cmp_gt_u32_e32 vcc, 32, v0
	s_and_saveexec_b64 s[10:11], vcc
	s_cbranch_execz .LBB120_80
; %bb.77:                               ;   in Loop: Header=BB120_5 Depth=1
	v_add_co_u32_e32 v0, vcc, v6, v0
	v_addc_co_u32_e32 v1, vcc, 0, v7, vcc
	v_cmp_gt_i64_e32 vcc, s[12:13], v[0:1]
	v_mov_b32_e32 v8, 0
	v_mov_b32_e32 v9, 0
	s_and_saveexec_b64 s[34:35], vcc
	s_cbranch_execz .LBB120_79
; %bb.78:                               ;   in Loop: Header=BB120_5 Depth=1
	v_lshlrev_b64 v[0:1], 3, v[0:1]
	v_mov_b32_e32 v6, s21
	v_add_co_u32_e32 v0, vcc, s20, v0
	v_addc_co_u32_e32 v1, vcc, v6, v1, vcc
	global_load_dwordx2 v[8:9], v[0:1], off
.LBB120_79:                             ;   in Loop: Header=BB120_5 Depth=1
	s_or_b64 exec, exec, s[34:35]
.LBB120_80:                             ;   in Loop: Header=BB120_5 Depth=1
	s_or_b64 exec, exec, s[10:11]
	v_mov_b32_e32 v6, 0
	v_mov_b32_e32 v7, 0
	s_and_saveexec_b64 s[10:11], s[2:3]
	s_cbranch_execz .LBB120_82
; %bb.81:                               ;   in Loop: Header=BB120_5 Depth=1
	buffer_load_dword v0, off, s[36:39], 0  ; 4-byte Folded Reload
	s_waitcnt vmcnt(0)
	v_add_co_u32_e32 v0, vcc, v0, v4
	v_addc_co_u32_e32 v1, vcc, v2, v5, vcc
	global_load_dwordx2 v[19:20], v[0:1], off
	s_nop 0
	buffer_load_dword v0, off, s[36:39], 0 offset:4 ; 4-byte Folded Reload
	s_waitcnt vmcnt(0)
	v_add_co_u32_e32 v0, vcc, v0, v4
	v_addc_co_u32_e32 v1, vcc, v142, v5, vcc
	global_load_dwordx2 v[6:7], v[0:1], off
.LBB120_82:                             ;   in Loop: Header=BB120_5 Depth=1
	s_or_b64 exec, exec, s[10:11]
	v_mov_b32_e32 v80, 0
	v_mov_b32_e32 v136, 0
	v_mov_b32_e32 v21, 0
	v_mov_b32_e32 v81, 0
	v_mov_b32_e32 v137, 0
	v_mov_b32_e32 v22, 0
	s_and_saveexec_b64 s[10:11], s[2:3]
	s_cbranch_execz .LBB120_84
; %bb.83:                               ;   in Loop: Header=BB120_5 Depth=1
	v_add_co_u32_e32 v0, vcc, v14, v4
	v_addc_co_u32_e32 v1, vcc, v15, v5, vcc
	global_load_dwordx2 v[136:137], v[0:1], off
	v_add_co_u32_e32 v0, vcc, v16, v4
	v_addc_co_u32_e32 v1, vcc, v17, v5, vcc
	global_load_dwordx2 v[21:22], v[0:1], off
.LBB120_84:                             ;   in Loop: Header=BB120_5 Depth=1
	s_or_b64 exec, exec, s[10:11]
	v_mov_b32_e32 v23, 0
	v_mov_b32_e32 v24, 0
	s_and_saveexec_b64 s[10:11], s[2:3]
	s_cbranch_execz .LBB120_86
; %bb.85:                               ;   in Loop: Header=BB120_5 Depth=1
	v_add_co_u32_e32 v0, vcc, v10, v4
	v_addc_co_u32_e32 v1, vcc, v11, v5, vcc
	global_load_dwordx2 v[80:81], v[0:1], off
	v_add_co_u32_e32 v0, vcc, v12, v4
	v_addc_co_u32_e32 v1, vcc, v13, v5, vcc
	global_load_dwordx2 v[23:24], v[0:1], off
.LBB120_86:                             ;   in Loop: Header=BB120_5 Depth=1
	s_or_b64 exec, exec, s[10:11]
	v_mov_b32_e32 v140, 0
	v_mov_b32_e32 v27, 0
	v_mov_b32_e32 v29, 0
	v_mov_b32_e32 v141, 0
	v_mov_b32_e32 v28, 0
	v_mov_b32_e32 v30, 0
	s_and_saveexec_b64 s[10:11], s[2:3]
	s_cbranch_execz .LBB120_88
; %bb.87:                               ;   in Loop: Header=BB120_5 Depth=1
	v_add_co_u32_e32 v0, vcc, v255, v4
	v_addc_co_u32_e32 v1, vcc, v3, v5, vcc
	global_load_dwordx2 v[27:28], v[0:1], off
	v_add_co_u32_e32 v0, vcc, v96, v4
	v_addc_co_u32_e32 v1, vcc, v97, v5, vcc
	global_load_dwordx2 v[29:30], v[0:1], off
.LBB120_88:                             ;   in Loop: Header=BB120_5 Depth=1
	s_or_b64 exec, exec, s[10:11]
	v_mov_b32_e32 v31, 0
	v_mov_b32_e32 v32, 0
	s_and_saveexec_b64 s[10:11], s[2:3]
	s_cbranch_execz .LBB120_90
; %bb.89:                               ;   in Loop: Header=BB120_5 Depth=1
	v_add_co_u32_e32 v0, vcc, v251, v4
	v_addc_co_u32_e32 v1, vcc, v252, v5, vcc
	global_load_dwordx2 v[140:141], v[0:1], off
	v_add_co_u32_e32 v0, vcc, v253, v4
	v_addc_co_u32_e32 v1, vcc, v254, v5, vcc
	global_load_dwordx2 v[31:32], v[0:1], off
.LBB120_90:                             ;   in Loop: Header=BB120_5 Depth=1
	s_or_b64 exec, exec, s[10:11]
	v_mov_b32_e32 v0, 0
	v_mov_b32_e32 v1, 0
	buffer_store_dword v0, off, s[36:39], 0 offset:16 ; 4-byte Folded Spill
	s_nop 0
	buffer_store_dword v1, off, s[36:39], 0 offset:20 ; 4-byte Folded Spill
	v_mov_b32_e32 v33, 0
	v_mov_b32_e32 v0, 0
	;; [unrolled: 1-line block ×4, first 2 shown]
	buffer_store_dword v0, off, s[36:39], 0 offset:24 ; 4-byte Folded Spill
	s_nop 0
	buffer_store_dword v1, off, s[36:39], 0 offset:28 ; 4-byte Folded Spill
	s_and_saveexec_b64 s[10:11], s[2:3]
	s_cbranch_execz .LBB120_92
; %bb.91:                               ;   in Loop: Header=BB120_5 Depth=1
	v_add_co_u32_e32 v0, vcc, v247, v4
	v_addc_co_u32_e32 v1, vcc, v248, v5, vcc
	global_load_dwordx2 v[0:1], v[0:1], off
	s_waitcnt vmcnt(0)
	buffer_store_dword v0, off, s[36:39], 0 offset:16 ; 4-byte Folded Spill
	s_nop 0
	buffer_store_dword v1, off, s[36:39], 0 offset:20 ; 4-byte Folded Spill
	v_add_co_u32_e32 v0, vcc, v249, v4
	v_addc_co_u32_e32 v1, vcc, v250, v5, vcc
	global_load_dwordx2 v[0:1], v[0:1], off
	s_waitcnt vmcnt(0)
	buffer_store_dword v0, off, s[36:39], 0 offset:24 ; 4-byte Folded Spill
	s_nop 0
	buffer_store_dword v1, off, s[36:39], 0 offset:28 ; 4-byte Folded Spill
.LBB120_92:                             ;   in Loop: Header=BB120_5 Depth=1
	s_or_b64 exec, exec, s[10:11]
	v_mov_b32_e32 v0, 0
	v_mov_b32_e32 v1, 0
	buffer_store_dword v0, off, s[36:39], 0 offset:36 ; 4-byte Folded Spill
	s_nop 0
	buffer_store_dword v1, off, s[36:39], 0 offset:40 ; 4-byte Folded Spill
	s_and_saveexec_b64 s[10:11], s[2:3]
	s_cbranch_execz .LBB120_94
; %bb.93:                               ;   in Loop: Header=BB120_5 Depth=1
	v_add_co_u32_e32 v0, vcc, v243, v4
	v_addc_co_u32_e32 v1, vcc, v244, v5, vcc
	global_load_dwordx2 v[33:34], v[0:1], off
	v_add_co_u32_e32 v0, vcc, v245, v4
	v_addc_co_u32_e32 v1, vcc, v246, v5, vcc
	global_load_dwordx2 v[0:1], v[0:1], off
	s_waitcnt vmcnt(0)
	buffer_store_dword v0, off, s[36:39], 0 offset:36 ; 4-byte Folded Spill
	s_nop 0
	buffer_store_dword v1, off, s[36:39], 0 offset:40 ; 4-byte Folded Spill
.LBB120_94:                             ;   in Loop: Header=BB120_5 Depth=1
	s_or_b64 exec, exec, s[10:11]
	v_mov_b32_e32 v36, 0
	v_mov_b32_e32 v38, 0
	;; [unrolled: 1-line block ×6, first 2 shown]
	s_and_saveexec_b64 s[10:11], s[2:3]
	s_cbranch_execz .LBB120_96
; %bb.95:                               ;   in Loop: Header=BB120_5 Depth=1
	v_add_co_u32_e32 v0, vcc, v239, v4
	v_addc_co_u32_e32 v1, vcc, v240, v5, vcc
	global_load_dwordx2 v[38:39], v[0:1], off
	v_add_co_u32_e32 v0, vcc, v241, v4
	v_addc_co_u32_e32 v1, vcc, v242, v5, vcc
	global_load_dwordx2 v[40:41], v[0:1], off
.LBB120_96:                             ;   in Loop: Header=BB120_5 Depth=1
	s_or_b64 exec, exec, s[10:11]
	v_mov_b32_e32 v42, 0
	v_mov_b32_e32 v43, 0
	s_and_saveexec_b64 s[10:11], s[2:3]
	s_cbranch_execz .LBB120_98
; %bb.97:                               ;   in Loop: Header=BB120_5 Depth=1
	v_add_co_u32_e32 v0, vcc, v235, v4
	v_addc_co_u32_e32 v1, vcc, v236, v5, vcc
	global_load_dwordx2 v[36:37], v[0:1], off
	v_add_co_u32_e32 v0, vcc, v237, v4
	v_addc_co_u32_e32 v1, vcc, v238, v5, vcc
	global_load_dwordx2 v[42:43], v[0:1], off
.LBB120_98:                             ;   in Loop: Header=BB120_5 Depth=1
	s_or_b64 exec, exec, s[10:11]
	v_mov_b32_e32 v44, 0
	v_mov_b32_e32 v46, 0
	;; [unrolled: 1-line block ×6, first 2 shown]
	s_and_saveexec_b64 s[10:11], s[2:3]
	s_cbranch_execz .LBB120_100
; %bb.99:                               ;   in Loop: Header=BB120_5 Depth=1
	v_add_co_u32_e32 v0, vcc, v231, v4
	v_addc_co_u32_e32 v1, vcc, v232, v5, vcc
	global_load_dwordx2 v[46:47], v[0:1], off
	v_add_co_u32_e32 v0, vcc, v233, v4
	v_addc_co_u32_e32 v1, vcc, v234, v5, vcc
	global_load_dwordx2 v[48:49], v[0:1], off
.LBB120_100:                            ;   in Loop: Header=BB120_5 Depth=1
	s_or_b64 exec, exec, s[10:11]
	v_mov_b32_e32 v50, 0
	v_mov_b32_e32 v51, 0
	s_and_saveexec_b64 s[10:11], s[2:3]
	s_cbranch_execz .LBB120_102
; %bb.101:                              ;   in Loop: Header=BB120_5 Depth=1
	v_add_co_u32_e32 v0, vcc, v227, v4
	v_addc_co_u32_e32 v1, vcc, v228, v5, vcc
	global_load_dwordx2 v[44:45], v[0:1], off
	v_add_co_u32_e32 v0, vcc, v229, v4
	v_addc_co_u32_e32 v1, vcc, v230, v5, vcc
	global_load_dwordx2 v[50:51], v[0:1], off
.LBB120_102:                            ;   in Loop: Header=BB120_5 Depth=1
	s_or_b64 exec, exec, s[10:11]
	v_mov_b32_e32 v52, 0
	v_mov_b32_e32 v54, 0
	v_mov_b32_e32 v56, 0
	v_mov_b32_e32 v53, 0
	v_mov_b32_e32 v55, 0
	v_mov_b32_e32 v57, 0
	s_and_saveexec_b64 s[10:11], s[2:3]
	s_cbranch_execz .LBB120_104
; %bb.103:                              ;   in Loop: Header=BB120_5 Depth=1
	v_add_co_u32_e32 v0, vcc, v223, v4
	v_addc_co_u32_e32 v1, vcc, v224, v5, vcc
	global_load_dwordx2 v[54:55], v[0:1], off
	v_add_co_u32_e32 v0, vcc, v225, v4
	v_addc_co_u32_e32 v1, vcc, v226, v5, vcc
	global_load_dwordx2 v[56:57], v[0:1], off
.LBB120_104:                            ;   in Loop: Header=BB120_5 Depth=1
	s_or_b64 exec, exec, s[10:11]
	v_mov_b32_e32 v58, 0
	v_mov_b32_e32 v59, 0
	s_and_saveexec_b64 s[10:11], s[2:3]
	s_cbranch_execz .LBB120_106
; %bb.105:                              ;   in Loop: Header=BB120_5 Depth=1
	v_add_co_u32_e32 v0, vcc, v219, v4
	v_addc_co_u32_e32 v1, vcc, v220, v5, vcc
	global_load_dwordx2 v[52:53], v[0:1], off
	v_add_co_u32_e32 v0, vcc, v221, v4
	v_addc_co_u32_e32 v1, vcc, v222, v5, vcc
	global_load_dwordx2 v[58:59], v[0:1], off
.LBB120_106:                            ;   in Loop: Header=BB120_5 Depth=1
	s_or_b64 exec, exec, s[10:11]
	v_mov_b32_e32 v60, 0
	v_mov_b32_e32 v62, 0
	v_mov_b32_e32 v64, 0
	v_mov_b32_e32 v61, 0
	v_mov_b32_e32 v63, 0
	v_mov_b32_e32 v65, 0
	s_and_saveexec_b64 s[10:11], s[2:3]
	s_cbranch_execz .LBB120_108
; %bb.107:                              ;   in Loop: Header=BB120_5 Depth=1
	v_add_co_u32_e32 v0, vcc, v215, v4
	v_addc_co_u32_e32 v1, vcc, v216, v5, vcc
	global_load_dwordx2 v[62:63], v[0:1], off
	v_add_co_u32_e32 v0, vcc, v217, v4
	v_addc_co_u32_e32 v1, vcc, v218, v5, vcc
	global_load_dwordx2 v[64:65], v[0:1], off
.LBB120_108:                            ;   in Loop: Header=BB120_5 Depth=1
	;; [unrolled: 30-line block ×10, first 2 shown]
	s_or_b64 exec, exec, s[10:11]
	v_mov_b32_e32 v0, 0
	v_mov_b32_e32 v1, 0
	s_and_saveexec_b64 s[10:11], s[2:3]
	s_cbranch_execz .LBB120_142
; %bb.141:                              ;   in Loop: Header=BB120_5 Depth=1
	v_add_co_u32_e32 v0, vcc, v147, v4
	v_addc_co_u32_e32 v1, vcc, v148, v5, vcc
	global_load_dwordx2 v[128:129], v[0:1], off
	v_add_co_u32_e32 v0, vcc, v149, v4
	v_addc_co_u32_e32 v1, vcc, v150, v5, vcc
	global_load_dwordx2 v[0:1], v[0:1], off
.LBB120_142:                            ;   in Loop: Header=BB120_5 Depth=1
	s_or_b64 exec, exec, s[10:11]
	s_waitcnt vmcnt(6)
	v_mov_b32_e32 v26, v24
	v_mov_b32_e32 v25, v23
	;; [unrolled: 1-line block ×6, first 2 shown]
	s_and_saveexec_b64 s[10:11], s[2:3]
	s_cbranch_execz .LBB120_3
; %bb.143:                              ;   in Loop: Header=BB120_5 Depth=1
	v_add_co_u32_e32 v80, vcc, v143, v4
	v_addc_co_u32_e32 v81, vcc, v144, v5, vcc
	v_add_co_u32_e32 v134, vcc, v145, v4
	v_addc_co_u32_e32 v135, vcc, v146, v5, vcc
	global_load_dwordx2 v[80:81], v[80:81], off
	s_nop 0
	global_load_dwordx2 v[134:135], v[134:135], off
	s_waitcnt vmcnt(0)
	v_mul_f64 v[80:81], v[80:81], v[134:135]
	s_branch .LBB120_3
.LBB120_144:
                                        ; implicit-def: $vgpr96_vgpr97
	s_load_dwordx2 s[2:3], s[4:5], 0x30
	s_branch .LBB120_147
.LBB120_145:
	buffer_load_dword v96, off, s[36:39], 0 offset:8 ; 4-byte Folded Reload
	buffer_load_dword v97, off, s[36:39], 0 offset:12 ; 4-byte Folded Reload
.LBB120_146:
	s_load_dwordx2 s[2:3], s[4:5], 0x30
	s_cbranch_execnz .LBB120_227
.LBB120_147:
	s_waitcnt vmcnt(0)
	v_mov_b32_e32 v96, 0
	v_mov_b32_e32 v97, 0
	s_and_b64 vcc, exec, s[0:1]
	s_cbranch_vccnz .LBB120_227
; %bb.148:
	buffer_load_dword v0, off, s[36:39], 0 offset:548 ; 4-byte Folded Reload
	buffer_load_dword v1, off, s[36:39], 0 offset:552 ; 4-byte Folded Reload
	v_mov_b32_e32 v4, s17
	s_add_u32 s10, s4, 64
	s_addc_u32 s11, s5, 0
	v_mov_b32_e32 v127, s17
	v_mov_b32_e32 v129, s19
	;; [unrolled: 1-line block ×6, first 2 shown]
	s_mov_b64 s[24:25], s[22:23]
	v_mov_b32_e32 v141, 0
	s_waitcnt vmcnt(1)
	v_mov_b32_e32 v5, v0
	v_lshlrev_b32_e32 v0, 5, v5
	buffer_store_dword v0, off, s[36:39], 0 ; 4-byte Folded Spill
	v_add_co_u32_e32 v0, vcc, s22, v0
	s_waitcnt vmcnt(1)
	v_addc_co_u32_e64 v1, s[0:1], 0, 0, vcc
	v_mul_lo_u32 v2, s15, v0
	v_mul_lo_u32 v3, s14, v1
	v_mad_u64_u32 v[8:9], s[0:1], s14, v0, 0
	s_lshl_b64 s[0:1], s[22:23], 3
	v_add3_u32 v9, v9, v3, v2
	v_lshlrev_b64 v[2:3], 3, v[8:9]
	v_add_co_u32_e32 v6, vcc, s16, v2
	v_addc_co_u32_e32 v4, vcc, v4, v3, vcc
	buffer_store_dword v4, off, s[36:39], 0 offset:8 ; 4-byte Folded Spill
	v_mov_b32_e32 v4, s19
	v_add_co_u32_e32 v2, vcc, s18, v2
	buffer_store_dword v2, off, s[36:39], 0 offset:16 ; 4-byte Folded Spill
	v_addc_co_u32_e32 v2, vcc, v4, v3, vcc
	buffer_store_dword v2, off, s[36:39], 0 offset:24 ; 4-byte Folded Spill
	v_lshlrev_b32_e32 v2, 8, v5
	v_mov_b32_e32 v3, s1
	v_add_co_u32_e32 v124, vcc, s0, v2
	v_addc_co_u32_e32 v125, vcc, 0, v3, vcc
	v_add_co_u32_e32 v4, vcc, 8, v124
	v_addc_co_u32_e32 v5, vcc, 0, v125, vcc
	v_mad_u64_u32 v[2:3], s[0:1], s14, v4, v[126:127]
	v_mul_lo_u32 v11, s14, v5
	v_mul_lo_u32 v12, s15, v4
	v_mad_u64_u32 v[4:5], s[0:1], s14, v4, v[128:129]
	v_add_co_u32_e32 v13, vcc, 16, v124
	buffer_store_dword v6, off, s[36:39], 0 offset:4 ; 4-byte Folded Spill
	v_addc_co_u32_e32 v6, vcc, 0, v125, vcc
	v_add_co_u32_e32 v96, vcc, s14, v8
	v_addc_co_u32_e32 v97, vcc, v9, v10, vcc
	v_add3_u32 v3, v12, v3, v11
	v_add3_u32 v5, v12, v5, v11
	v_add_co_u32_e32 v12, vcc, 24, v124
	v_mul_lo_u32 v16, s14, v6
	v_mul_lo_u32 v17, s15, v13
	v_mad_u64_u32 v[6:7], s[0:1], s14, v13, v[126:127]
	v_mad_u64_u32 v[8:9], s[0:1], s14, v13, v[128:129]
	v_addc_co_u32_e32 v10, vcc, 0, v125, vcc
	v_mul_lo_u32 v18, s14, v10
	v_mul_lo_u32 v19, s15, v12
	v_mad_u64_u32 v[10:11], s[0:1], s14, v12, v[126:127]
	v_mad_u64_u32 v[12:13], s[0:1], s14, v12, v[128:129]
	v_add_co_u32_e32 v20, vcc, 32, v124
	v_addc_co_u32_e32 v14, vcc, 0, v125, vcc
	v_add3_u32 v7, v17, v7, v16
	v_mul_lo_u32 v24, s14, v14
	v_mul_lo_u32 v25, s15, v20
	v_mad_u64_u32 v[14:15], s[0:1], s14, v20, v[126:127]
	v_add3_u32 v9, v17, v9, v16
	v_mad_u64_u32 v[16:17], s[0:1], s14, v20, v[128:129]
	v_add_co_u32_e32 v20, vcc, 40, v124
	v_add3_u32 v11, v19, v11, v18
	v_add3_u32 v13, v19, v13, v18
	v_addc_co_u32_e32 v18, vcc, 0, v125, vcc
	v_mul_lo_u32 v26, s14, v18
	v_mul_lo_u32 v27, s15, v20
	v_mad_u64_u32 v[18:19], s[0:1], s14, v20, v[126:127]
	v_mad_u64_u32 v[20:21], s[0:1], s14, v20, v[128:129]
	v_add_co_u32_e32 v28, vcc, 48, v124
	v_addc_co_u32_e32 v22, vcc, 0, v125, vcc
	v_add3_u32 v15, v25, v15, v24
	v_mul_lo_u32 v32, s14, v22
	v_mul_lo_u32 v33, s15, v28
	v_mad_u64_u32 v[22:23], s[0:1], s14, v28, v[126:127]
	v_add3_u32 v17, v25, v17, v24
	v_mad_u64_u32 v[24:25], s[0:1], s14, v28, v[128:129]
	v_add_co_u32_e32 v28, vcc, 56, v124
	v_add3_u32 v19, v27, v19, v26
	v_add3_u32 v21, v27, v21, v26
	v_addc_co_u32_e32 v26, vcc, 0, v125, vcc
	v_add_co_u32_e32 v36, vcc, 64, v124
	v_mul_lo_u32 v34, s14, v26
	v_mul_lo_u32 v35, s15, v28
	v_mad_u64_u32 v[26:27], s[0:1], s14, v28, v[126:127]
	v_mad_u64_u32 v[28:29], s[0:1], s14, v28, v[128:129]
	v_addc_co_u32_e32 v30, vcc, 0, v125, vcc
	v_add3_u32 v23, v33, v23, v32
	v_mul_lo_u32 v40, s14, v30
	v_mad_u64_u32 v[30:31], s[0:1], s14, v36, v[126:127]
	v_add3_u32 v25, v33, v25, v32
	v_mad_u64_u32 v[32:33], s[0:1], s14, v36, v[128:129]
	s_movk_i32 s0, 0x48
	v_mul_lo_u32 v41, s15, v36
	v_add_co_u32_e32 v36, vcc, s0, v124
	v_add3_u32 v27, v35, v27, v34
	v_add3_u32 v29, v35, v29, v34
	v_addc_co_u32_e32 v34, vcc, 0, v125, vcc
	v_mul_lo_u32 v42, s14, v34
	v_mul_lo_u32 v43, s15, v36
	v_mad_u64_u32 v[34:35], s[0:1], s14, v36, v[126:127]
	v_mad_u64_u32 v[36:37], s[0:1], s14, v36, v[128:129]
	s_movk_i32 s0, 0x50
	v_add_co_u32_e32 v44, vcc, s0, v124
	v_addc_co_u32_e32 v38, vcc, 0, v125, vcc
	v_add3_u32 v31, v41, v31, v40
	v_mul_lo_u32 v48, s14, v38
	v_mad_u64_u32 v[38:39], s[0:1], s14, v44, v[126:127]
	v_add3_u32 v33, v41, v33, v40
	v_mad_u64_u32 v[40:41], s[0:1], s14, v44, v[128:129]
	s_movk_i32 s0, 0x58
	v_mul_lo_u32 v49, s15, v44
	v_add_co_u32_e32 v44, vcc, s0, v124
	v_add3_u32 v35, v43, v35, v42
	v_add3_u32 v37, v43, v37, v42
	v_addc_co_u32_e32 v42, vcc, 0, v125, vcc
	v_mul_lo_u32 v50, s14, v42
	v_mul_lo_u32 v51, s15, v44
	v_mad_u64_u32 v[42:43], s[0:1], s14, v44, v[126:127]
	v_mad_u64_u32 v[44:45], s[0:1], s14, v44, v[128:129]
	s_movk_i32 s0, 0x60
	v_add_co_u32_e32 v52, vcc, s0, v124
	;; [unrolled: 18-line block ×11, first 2 shown]
	v_addc_co_u32_e32 v120, vcc, 0, v125, vcc
	v_add3_u32 v113, v123, v113, v122
	v_mul_lo_u32 v133, s14, v120
	v_mad_u64_u32 v[120:121], s[0:1], s14, v132, v[126:127]
	v_add3_u32 v115, v123, v115, v122
	v_mad_u64_u32 v[122:123], s[0:1], s14, v132, v[128:129]
	s_movk_i32 s0, 0xf8
	v_add3_u32 v117, v131, v117, v130
	v_add3_u32 v119, v131, v119, v130
	v_add_co_u32_e32 v130, vcc, s0, v124
	v_addc_co_u32_e32 v131, vcc, 0, v125, vcc
	v_mad_u64_u32 v[124:125], s[0:1], s14, v130, v[126:127]
	v_mad_u64_u32 v[126:127], s[0:1], s14, v130, v[128:129]
	v_add_co_u32_e32 v128, vcc, 31, v0
	v_addc_co_u32_e32 v129, vcc, 0, v1, vcc
	v_mul_lo_u32 v134, s15, v132
	v_mul_lo_u32 v132, s14, v129
	;; [unrolled: 1-line block ×3, first 2 shown]
	v_mad_u64_u32 v[128:129], s[0:1], s14, v128, 0
	v_mul_lo_u32 v131, s14, v131
	v_mul_lo_u32 v130, s15, v130
	v_add3_u32 v129, v129, v132, v135
	v_lshlrev_b64 v[128:129], 3, v[128:129]
	v_add3_u32 v121, v134, v121, v133
	v_add3_u32 v125, v130, v125, v131
	;; [unrolled: 1-line block ×3, first 2 shown]
	v_mov_b32_e32 v130, s17
	v_add_co_u32_e32 v131, vcc, s16, v128
	v_addc_co_u32_e32 v130, vcc, v130, v129, vcc
	buffer_store_dword v130, off, s[36:39], 0 offset:44 ; 4-byte Folded Spill
	v_add_co_u32_e32 v130, vcc, 30, v0
	buffer_store_dword v131, off, s[36:39], 0 offset:36 ; 4-byte Folded Spill
	v_addc_co_u32_e32 v131, vcc, 0, v1, vcc
	v_add3_u32 v123, v134, v123, v133
	v_mul_lo_u32 v133, s14, v131
	v_mul_lo_u32 v134, s15, v130
	v_mad_u64_u32 v[130:131], s[0:1], s14, v130, 0
	v_mov_b32_e32 v132, s19
	v_add_co_u32_e32 v128, vcc, s18, v128
	buffer_store_dword v128, off, s[36:39], 0 offset:52 ; 4-byte Folded Spill
	v_addc_co_u32_e32 v128, vcc, v132, v129, vcc
	v_add3_u32 v131, v131, v133, v134
	buffer_store_dword v128, off, s[36:39], 0 offset:60 ; 4-byte Folded Spill
	v_lshlrev_b64 v[128:129], 3, v[130:131]
	v_mov_b32_e32 v130, s17
	v_add_co_u32_e32 v131, vcc, s16, v128
	v_addc_co_u32_e32 v130, vcc, v130, v129, vcc
	buffer_store_dword v130, off, s[36:39], 0 offset:76 ; 4-byte Folded Spill
	v_add_co_u32_e32 v130, vcc, 29, v0
	buffer_store_dword v131, off, s[36:39], 0 offset:68 ; 4-byte Folded Spill
	v_addc_co_u32_e32 v131, vcc, 0, v1, vcc
	v_mul_lo_u32 v133, s14, v131
	v_mul_lo_u32 v134, s15, v130
	v_mad_u64_u32 v[130:131], s[0:1], s14, v130, 0
	v_add_co_u32_e32 v128, vcc, s18, v128
	buffer_store_dword v128, off, s[36:39], 0 offset:84 ; 4-byte Folded Spill
	v_addc_co_u32_e32 v128, vcc, v132, v129, vcc
	v_add3_u32 v131, v131, v133, v134
	buffer_store_dword v128, off, s[36:39], 0 offset:88 ; 4-byte Folded Spill
	v_lshlrev_b64 v[128:129], 3, v[130:131]
	v_mov_b32_e32 v130, s17
	v_add_co_u32_e32 v131, vcc, s16, v128
	v_addc_co_u32_e32 v130, vcc, v130, v129, vcc
	buffer_store_dword v130, off, s[36:39], 0 offset:96 ; 4-byte Folded Spill
	v_add_co_u32_e32 v130, vcc, 28, v0
	buffer_store_dword v131, off, s[36:39], 0 offset:92 ; 4-byte Folded Spill
	v_addc_co_u32_e32 v131, vcc, 0, v1, vcc
	v_mul_lo_u32 v133, s14, v131
	v_mul_lo_u32 v134, s15, v130
	v_mad_u64_u32 v[130:131], s[0:1], s14, v130, 0
	;; [unrolled: 16-line block ×26, first 2 shown]
	v_add_co_u32_e32 v128, vcc, s18, v128
	buffer_store_dword v128, off, s[36:39], 0 offset:484 ; 4-byte Folded Spill
	v_addc_co_u32_e32 v128, vcc, v132, v129, vcc
	v_add3_u32 v131, v131, v133, v134
	buffer_store_dword v128, off, s[36:39], 0 offset:488 ; 4-byte Folded Spill
	v_lshlrev_b64 v[128:129], 3, v[130:131]
	v_mov_b32_e32 v130, s17
	v_add_co_u32_e32 v131, vcc, s16, v128
	v_addc_co_u32_e32 v130, vcc, v130, v129, vcc
	buffer_store_dword v130, off, s[36:39], 0 offset:496 ; 4-byte Folded Spill
	v_mov_b32_e32 v130, s19
	v_add_co_u32_e32 v128, vcc, s18, v128
	buffer_store_dword v128, off, s[36:39], 0 offset:500 ; 4-byte Folded Spill
	v_addc_co_u32_e32 v128, vcc, v130, v129, vcc
	buffer_store_dword v128, off, s[36:39], 0 offset:504 ; 4-byte Folded Spill
	v_add_co_u32_e32 v128, vcc, 3, v0
	v_addc_co_u32_e32 v129, vcc, 0, v1, vcc
	buffer_store_dword v131, off, s[36:39], 0 offset:492 ; 4-byte Folded Spill
	v_mul_lo_u32 v130, s14, v129
	v_mul_lo_u32 v131, s15, v128
	v_mad_u64_u32 v[128:129], s[0:1], s14, v128, 0
	v_add3_u32 v129, v129, v130, v131
	v_lshlrev_b64 v[128:129], 3, v[128:129]
	v_mov_b32_e32 v130, s17
	v_add_co_u32_e32 v131, vcc, s16, v128
	v_addc_co_u32_e32 v130, vcc, v130, v129, vcc
	buffer_store_dword v130, off, s[36:39], 0 offset:512 ; 4-byte Folded Spill
	v_mov_b32_e32 v130, s19
	v_add_co_u32_e32 v128, vcc, s18, v128
	buffer_store_dword v128, off, s[36:39], 0 offset:516 ; 4-byte Folded Spill
	v_addc_co_u32_e32 v128, vcc, v130, v129, vcc
	v_add_co_u32_e32 v0, vcc, 2, v0
	v_addc_co_u32_e32 v1, vcc, 0, v1, vcc
	buffer_store_dword v128, off, s[36:39], 0 offset:520 ; 4-byte Folded Spill
	v_mul_lo_u32 v128, s14, v1
	v_mul_lo_u32 v129, s15, v0
	v_mad_u64_u32 v[0:1], s[0:1], s14, v0, 0
	s_load_dword s0, s[4:5], 0x44
	buffer_store_dword v131, off, s[36:39], 0 offset:508 ; 4-byte Folded Spill
	v_add3_u32 v1, v1, v128, v129
	v_lshlrev_b64 v[0:1], 3, v[0:1]
	v_mov_b32_e32 v128, s17
	v_add_co_u32_e32 v129, vcc, s16, v0
	v_addc_co_u32_e32 v128, vcc, v128, v1, vcc
	buffer_store_dword v128, off, s[36:39], 0 offset:528 ; 4-byte Folded Spill
	v_mov_b32_e32 v128, s19
	v_add_co_u32_e32 v0, vcc, s18, v0
	buffer_store_dword v0, off, s[36:39], 0 offset:532 ; 4-byte Folded Spill
	v_addc_co_u32_e32 v0, vcc, v128, v1, vcc
	buffer_store_dword v0, off, s[36:39], 0 offset:536 ; 4-byte Folded Spill
	v_lshlrev_b64 v[0:1], 3, v[96:97]
	v_mov_b32_e32 v96, s17
	v_add_co_u32_e32 v97, vcc, s16, v0
	v_addc_co_u32_e32 v96, vcc, v96, v1, vcc
	v_add_co_u32_e32 v146, vcc, s18, v0
	buffer_load_dword v0, off, s[36:39], 0 offset:32 ; 4-byte Folded Reload
	s_nop 0
	buffer_store_dword v96, off, s[36:39], 0 offset:544 ; 4-byte Folded Spill
	v_mov_b32_e32 v96, s19
	v_addc_co_u32_e32 v147, vcc, v96, v1, vcc
	buffer_store_dword v97, off, s[36:39], 0 offset:540 ; 4-byte Folded Spill
	v_mov_b32_e32 v97, 0
	s_mov_b64 s[18:19], 31
	v_mov_b32_e32 v145, v97
	v_mov_b32_e32 v1, v97
	buffer_store_dword v129, off, s[36:39], 0 offset:524 ; 4-byte Folded Spill
	s_waitcnt vmcnt(3)
	v_add_u32_e32 v96, s7, v0
	s_waitcnt lgkmcnt(0)
	s_lshl_b32 s7, s0, 5
	v_mbcnt_lo_u32_b32 v0, -1, 0
	s_mul_i32 s0, s15, s7
	s_mul_hi_u32 s1, s14, s7
	v_mbcnt_hi_u32_b32 v0, -1, v0
	s_add_i32 s1, s1, s0
	s_mul_i32 s0, s14, s7
	v_lshlrev_b32_e32 v0, 2, v0
	v_lshlrev_b64 v[130:131], 3, v[96:97]
	s_lshl_b64 s[16:17], s[0:1], 3
	v_and_b32_e32 v144, 0x100, v0
	buffer_store_dword v0, off, s[36:39], 0 offset:588 ; 4-byte Folded Spill
	s_nop 0
	buffer_store_dword v1, off, s[36:39], 0 offset:592 ; 4-byte Folded Spill
.LBB120_149:                            ; =>This Inner Loop Header: Depth=1
	s_add_u32 s0, s22, s18
	v_mov_b32_e32 v0, s12
	s_addc_u32 s1, 0, s19
	v_mov_b32_e32 v1, s13
	v_cmp_ge_i64_e32 vcc, s[0:1], v[0:1]
	buffer_load_dword v0, off, s[36:39], 0  ; 4-byte Folded Reload
	s_and_b64 vcc, exec, vcc
                                        ; implicit-def: $vgpr96_vgpr97
	s_waitcnt vmcnt(0)
	v_add_co_u32_e64 v134, s[0:1], s22, v0
	v_addc_co_u32_e64 v135, s[0:1], 0, v145, s[0:1]
	s_mov_b64 s[0:1], -1
	s_cbranch_vccz .LBB120_219
; %bb.150:                              ;   in Loop: Header=BB120_149 Depth=1
	s_load_dword s0, s[10:11], 0xc
	buffer_load_dword v0, off, s[36:39], 0 offset:548 ; 4-byte Folded Reload
	buffer_load_dword v1, off, s[36:39], 0 offset:552 ; 4-byte Folded Reload
	;; [unrolled: 1-line block ×3, first 2 shown]
	v_mov_b32_e32 v138, 0
	v_mov_b32_e32 v96, 0
	s_waitcnt lgkmcnt(0)
	s_and_b32 s0, s0, 0xffff
	v_mov_b32_e32 v139, 0
	v_mov_b32_e32 v97, 0
	s_waitcnt vmcnt(0)
	v_mad_u32_u24 v0, v0, s0, v1
	v_and_b32_e32 v0, 63, v0
	v_cmp_gt_u32_e32 vcc, 32, v0
	s_and_saveexec_b64 s[0:1], vcc
	s_cbranch_execz .LBB120_154
; %bb.151:                              ;   in Loop: Header=BB120_149 Depth=1
	v_add_co_u32_e32 v0, vcc, v134, v0
	v_addc_co_u32_e32 v1, vcc, 0, v135, vcc
	v_cmp_gt_i64_e32 vcc, s[12:13], v[0:1]
	v_mov_b32_e32 v96, 0
	v_mov_b32_e32 v97, 0
	s_and_saveexec_b64 s[26:27], vcc
	s_cbranch_execz .LBB120_153
; %bb.152:                              ;   in Loop: Header=BB120_149 Depth=1
	v_lshlrev_b64 v[0:1], 3, v[0:1]
	v_mov_b32_e32 v96, s21
	v_add_co_u32_e32 v0, vcc, s20, v0
	v_addc_co_u32_e32 v1, vcc, v96, v1, vcc
	global_load_dwordx2 v[96:97], v[0:1], off
.LBB120_153:                            ;   in Loop: Header=BB120_149 Depth=1
	s_or_b64 exec, exec, s[26:27]
.LBB120_154:                            ;   in Loop: Header=BB120_149 Depth=1
	s_or_b64 exec, exec, s[0:1]
	v_cmp_gt_i64_e32 vcc, s[12:13], v[134:135]
	v_mov_b32_e32 v148, 0
	v_mov_b32_e32 v149, 0
	s_and_saveexec_b64 s[0:1], vcc
	s_cbranch_execz .LBB120_156
; %bb.155:                              ;   in Loop: Header=BB120_149 Depth=1
	buffer_load_dword v0, off, s[36:39], 0 offset:4 ; 4-byte Folded Reload
	buffer_load_dword v1, off, s[36:39], 0 offset:8 ; 4-byte Folded Reload
	s_waitcnt vmcnt(1)
	v_add_co_u32_e32 v0, vcc, v0, v130
	s_waitcnt vmcnt(0)
	v_addc_co_u32_e32 v1, vcc, v1, v131, vcc
	global_load_dwordx2 v[138:139], v[0:1], off
	s_nop 0
	buffer_load_dword v0, off, s[36:39], 0 offset:16 ; 4-byte Folded Reload
	buffer_load_dword v1, off, s[36:39], 0 offset:24 ; 4-byte Folded Reload
	s_waitcnt vmcnt(1)
	v_add_co_u32_e32 v0, vcc, v0, v130
	s_waitcnt vmcnt(0)
	v_addc_co_u32_e32 v1, vcc, v1, v131, vcc
	global_load_dwordx2 v[148:149], v[0:1], off
.LBB120_156:                            ;   in Loop: Header=BB120_149 Depth=1
	s_or_b64 exec, exec, s[0:1]
	v_add_co_u32_e32 v0, vcc, 1, v134
	v_addc_co_u32_e32 v1, vcc, 0, v135, vcc
	v_cmp_gt_i64_e32 vcc, s[12:13], v[0:1]
	v_mov_b32_e32 v142, 0
	v_mov_b32_e32 v150, 0
	;; [unrolled: 1-line block ×6, first 2 shown]
	buffer_store_dword v0, off, s[36:39], 0 offset:556 ; 4-byte Folded Spill
	s_nop 0
	buffer_store_dword v1, off, s[36:39], 0 offset:560 ; 4-byte Folded Spill
	s_and_saveexec_b64 s[0:1], vcc
	s_cbranch_execz .LBB120_158
; %bb.157:                              ;   in Loop: Header=BB120_149 Depth=1
	buffer_load_dword v0, off, s[36:39], 0 offset:540 ; 4-byte Folded Reload
	buffer_load_dword v1, off, s[36:39], 0 offset:544 ; 4-byte Folded Reload
	s_waitcnt vmcnt(1)
	v_add_co_u32_e32 v0, vcc, v0, v130
	s_waitcnt vmcnt(0)
	v_addc_co_u32_e32 v1, vcc, v1, v131, vcc
	global_load_dwordx2 v[150:151], v[0:1], off
	v_add_co_u32_e32 v0, vcc, v146, v130
	v_addc_co_u32_e32 v1, vcc, v147, v131, vcc
	global_load_dwordx2 v[0:1], v[0:1], off
	s_waitcnt vmcnt(0)
	buffer_store_dword v0, off, s[36:39], 0 offset:556 ; 4-byte Folded Spill
	s_nop 0
	buffer_store_dword v1, off, s[36:39], 0 offset:560 ; 4-byte Folded Spill
.LBB120_158:                            ;   in Loop: Header=BB120_149 Depth=1
	s_or_b64 exec, exec, s[0:1]
	v_add_co_u32_e32 v0, vcc, 2, v134
	v_addc_co_u32_e32 v1, vcc, 0, v135, vcc
	v_cmp_gt_i64_e32 vcc, s[12:13], v[0:1]
	v_mov_b32_e32 v0, 0
	v_mov_b32_e32 v1, 0
	buffer_store_dword v0, off, s[36:39], 0 offset:564 ; 4-byte Folded Spill
	s_nop 0
	buffer_store_dword v1, off, s[36:39], 0 offset:568 ; 4-byte Folded Spill
	s_and_saveexec_b64 s[0:1], vcc
	s_cbranch_execz .LBB120_160
; %bb.159:                              ;   in Loop: Header=BB120_149 Depth=1
	buffer_load_dword v0, off, s[36:39], 0 offset:524 ; 4-byte Folded Reload
	buffer_load_dword v1, off, s[36:39], 0 offset:528 ; 4-byte Folded Reload
	s_waitcnt vmcnt(1)
	v_add_co_u32_e32 v0, vcc, v0, v130
	s_waitcnt vmcnt(0)
	v_addc_co_u32_e32 v1, vcc, v1, v131, vcc
	global_load_dwordx2 v[142:143], v[0:1], off
	s_nop 0
	buffer_load_dword v0, off, s[36:39], 0 offset:532 ; 4-byte Folded Reload
	buffer_load_dword v1, off, s[36:39], 0 offset:536 ; 4-byte Folded Reload
	s_waitcnt vmcnt(1)
	v_add_co_u32_e32 v0, vcc, v0, v130
	s_waitcnt vmcnt(0)
	v_addc_co_u32_e32 v1, vcc, v1, v131, vcc
	global_load_dwordx2 v[0:1], v[0:1], off
	s_waitcnt vmcnt(0)
	buffer_store_dword v0, off, s[36:39], 0 offset:564 ; 4-byte Folded Spill
	s_nop 0
	buffer_store_dword v1, off, s[36:39], 0 offset:568 ; 4-byte Folded Spill
.LBB120_160:                            ;   in Loop: Header=BB120_149 Depth=1
	s_or_b64 exec, exec, s[0:1]
	v_add_co_u32_e32 v0, vcc, 3, v134
	v_addc_co_u32_e32 v1, vcc, 0, v135, vcc
	v_cmp_gt_i64_e32 vcc, s[12:13], v[0:1]
	v_mov_b32_e32 v0, 0
	v_mov_b32_e32 v1, 0
	buffer_store_dword v0, off, s[36:39], 0 offset:572 ; 4-byte Folded Spill
	s_nop 0
	buffer_store_dword v1, off, s[36:39], 0 offset:576 ; 4-byte Folded Spill
	v_mov_b32_e32 v0, 0
	v_mov_b32_e32 v152, 0
	;; [unrolled: 1-line block ×4, first 2 shown]
	buffer_store_dword v0, off, s[36:39], 0 offset:580 ; 4-byte Folded Spill
	s_nop 0
	buffer_store_dword v1, off, s[36:39], 0 offset:584 ; 4-byte Folded Spill
	s_and_saveexec_b64 s[0:1], vcc
	s_cbranch_execz .LBB120_162
; %bb.161:                              ;   in Loop: Header=BB120_149 Depth=1
	buffer_load_dword v0, off, s[36:39], 0 offset:508 ; 4-byte Folded Reload
	buffer_load_dword v1, off, s[36:39], 0 offset:512 ; 4-byte Folded Reload
	s_waitcnt vmcnt(1)
	v_add_co_u32_e32 v0, vcc, v0, v130
	s_waitcnt vmcnt(0)
	v_addc_co_u32_e32 v1, vcc, v1, v131, vcc
	global_load_dwordx2 v[0:1], v[0:1], off
	s_waitcnt vmcnt(0)
	buffer_store_dword v0, off, s[36:39], 0 offset:580 ; 4-byte Folded Spill
	s_nop 0
	buffer_store_dword v1, off, s[36:39], 0 offset:584 ; 4-byte Folded Spill
	buffer_load_dword v0, off, s[36:39], 0 offset:516 ; 4-byte Folded Reload
	s_nop 0
	buffer_load_dword v1, off, s[36:39], 0 offset:520 ; 4-byte Folded Reload
	s_waitcnt vmcnt(1)
	v_add_co_u32_e32 v0, vcc, v0, v130
	s_waitcnt vmcnt(0)
	v_addc_co_u32_e32 v1, vcc, v1, v131, vcc
	global_load_dwordx2 v[152:153], v[0:1], off
.LBB120_162:                            ;   in Loop: Header=BB120_149 Depth=1
	s_or_b64 exec, exec, s[0:1]
	v_add_co_u32_e32 v0, vcc, 4, v134
	v_addc_co_u32_e32 v1, vcc, 0, v135, vcc
	v_cmp_gt_i64_e32 vcc, s[12:13], v[0:1]
	v_mov_b32_e32 v154, 0
	v_mov_b32_e32 v155, 0
	s_and_saveexec_b64 s[0:1], vcc
	s_cbranch_execz .LBB120_164
; %bb.163:                              ;   in Loop: Header=BB120_149 Depth=1
	buffer_load_dword v0, off, s[36:39], 0 offset:492 ; 4-byte Folded Reload
	buffer_load_dword v1, off, s[36:39], 0 offset:496 ; 4-byte Folded Reload
	s_waitcnt vmcnt(1)
	v_add_co_u32_e32 v0, vcc, v0, v130
	s_waitcnt vmcnt(0)
	v_addc_co_u32_e32 v1, vcc, v1, v131, vcc
	global_load_dwordx2 v[0:1], v[0:1], off
	s_waitcnt vmcnt(0)
	buffer_store_dword v0, off, s[36:39], 0 offset:572 ; 4-byte Folded Spill
	s_nop 0
	buffer_store_dword v1, off, s[36:39], 0 offset:576 ; 4-byte Folded Spill
	buffer_load_dword v0, off, s[36:39], 0 offset:500 ; 4-byte Folded Reload
	s_nop 0
	buffer_load_dword v1, off, s[36:39], 0 offset:504 ; 4-byte Folded Reload
	s_waitcnt vmcnt(1)
	v_add_co_u32_e32 v0, vcc, v0, v130
	s_waitcnt vmcnt(0)
	v_addc_co_u32_e32 v1, vcc, v1, v131, vcc
	global_load_dwordx2 v[154:155], v[0:1], off
.LBB120_164:                            ;   in Loop: Header=BB120_149 Depth=1
	s_or_b64 exec, exec, s[0:1]
	v_add_co_u32_e32 v0, vcc, 5, v134
	v_addc_co_u32_e32 v1, vcc, 0, v135, vcc
	v_cmp_gt_i64_e32 vcc, s[12:13], v[0:1]
	v_mov_b32_e32 v156, 0
	v_mov_b32_e32 v158, 0
	v_mov_b32_e32 v160, 0
	v_mov_b32_e32 v157, 0
	v_mov_b32_e32 v159, 0
	v_mov_b32_e32 v161, 0
	s_and_saveexec_b64 s[0:1], vcc
	s_cbranch_execz .LBB120_166
; %bb.165:                              ;   in Loop: Header=BB120_149 Depth=1
	buffer_load_dword v0, off, s[36:39], 0 offset:476 ; 4-byte Folded Reload
	buffer_load_dword v1, off, s[36:39], 0 offset:480 ; 4-byte Folded Reload
	s_waitcnt vmcnt(1)
	v_add_co_u32_e32 v0, vcc, v0, v130
	s_waitcnt vmcnt(0)
	v_addc_co_u32_e32 v1, vcc, v1, v131, vcc
	global_load_dwordx2 v[158:159], v[0:1], off
	s_nop 0
	buffer_load_dword v0, off, s[36:39], 0 offset:484 ; 4-byte Folded Reload
	buffer_load_dword v1, off, s[36:39], 0 offset:488 ; 4-byte Folded Reload
	s_waitcnt vmcnt(1)
	v_add_co_u32_e32 v0, vcc, v0, v130
	s_waitcnt vmcnt(0)
	v_addc_co_u32_e32 v1, vcc, v1, v131, vcc
	global_load_dwordx2 v[160:161], v[0:1], off
.LBB120_166:                            ;   in Loop: Header=BB120_149 Depth=1
	s_or_b64 exec, exec, s[0:1]
	v_add_co_u32_e32 v0, vcc, 6, v134
	v_addc_co_u32_e32 v1, vcc, 0, v135, vcc
	v_cmp_gt_i64_e32 vcc, s[12:13], v[0:1]
	v_mov_b32_e32 v162, 0
	v_mov_b32_e32 v163, 0
	s_and_saveexec_b64 s[0:1], vcc
	s_cbranch_execz .LBB120_168
; %bb.167:                              ;   in Loop: Header=BB120_149 Depth=1
	buffer_load_dword v0, off, s[36:39], 0 offset:460 ; 4-byte Folded Reload
	buffer_load_dword v1, off, s[36:39], 0 offset:464 ; 4-byte Folded Reload
	s_waitcnt vmcnt(1)
	v_add_co_u32_e32 v0, vcc, v0, v130
	s_waitcnt vmcnt(0)
	v_addc_co_u32_e32 v1, vcc, v1, v131, vcc
	global_load_dwordx2 v[156:157], v[0:1], off
	s_nop 0
	buffer_load_dword v0, off, s[36:39], 0 offset:468 ; 4-byte Folded Reload
	buffer_load_dword v1, off, s[36:39], 0 offset:472 ; 4-byte Folded Reload
	s_waitcnt vmcnt(1)
	v_add_co_u32_e32 v0, vcc, v0, v130
	s_waitcnt vmcnt(0)
	v_addc_co_u32_e32 v1, vcc, v1, v131, vcc
	global_load_dwordx2 v[162:163], v[0:1], off
.LBB120_168:                            ;   in Loop: Header=BB120_149 Depth=1
	s_or_b64 exec, exec, s[0:1]
	v_add_co_u32_e32 v0, vcc, 7, v134
	v_addc_co_u32_e32 v1, vcc, 0, v135, vcc
	v_cmp_gt_i64_e32 vcc, s[12:13], v[0:1]
	v_mov_b32_e32 v164, 0
	v_mov_b32_e32 v166, 0
	v_mov_b32_e32 v168, 0
	v_mov_b32_e32 v165, 0
	v_mov_b32_e32 v167, 0
	v_mov_b32_e32 v169, 0
	s_and_saveexec_b64 s[0:1], vcc
	s_cbranch_execz .LBB120_170
; %bb.169:                              ;   in Loop: Header=BB120_149 Depth=1
	buffer_load_dword v0, off, s[36:39], 0 offset:444 ; 4-byte Folded Reload
	buffer_load_dword v1, off, s[36:39], 0 offset:448 ; 4-byte Folded Reload
	s_waitcnt vmcnt(1)
	v_add_co_u32_e32 v0, vcc, v0, v130
	s_waitcnt vmcnt(0)
	v_addc_co_u32_e32 v1, vcc, v1, v131, vcc
	global_load_dwordx2 v[166:167], v[0:1], off
	s_nop 0
	buffer_load_dword v0, off, s[36:39], 0 offset:452 ; 4-byte Folded Reload
	buffer_load_dword v1, off, s[36:39], 0 offset:456 ; 4-byte Folded Reload
	s_waitcnt vmcnt(1)
	v_add_co_u32_e32 v0, vcc, v0, v130
	s_waitcnt vmcnt(0)
	v_addc_co_u32_e32 v1, vcc, v1, v131, vcc
	global_load_dwordx2 v[168:169], v[0:1], off
.LBB120_170:                            ;   in Loop: Header=BB120_149 Depth=1
	s_or_b64 exec, exec, s[0:1]
	v_add_co_u32_e32 v0, vcc, 8, v134
	v_addc_co_u32_e32 v1, vcc, 0, v135, vcc
	v_cmp_gt_i64_e32 vcc, s[12:13], v[0:1]
	v_mov_b32_e32 v170, 0
	v_mov_b32_e32 v171, 0
	s_and_saveexec_b64 s[0:1], vcc
	s_cbranch_execz .LBB120_172
; %bb.171:                              ;   in Loop: Header=BB120_149 Depth=1
	buffer_load_dword v0, off, s[36:39], 0 offset:428 ; 4-byte Folded Reload
	buffer_load_dword v1, off, s[36:39], 0 offset:432 ; 4-byte Folded Reload
	s_waitcnt vmcnt(1)
	v_add_co_u32_e32 v0, vcc, v0, v130
	s_waitcnt vmcnt(0)
	v_addc_co_u32_e32 v1, vcc, v1, v131, vcc
	global_load_dwordx2 v[164:165], v[0:1], off
	s_nop 0
	buffer_load_dword v0, off, s[36:39], 0 offset:436 ; 4-byte Folded Reload
	buffer_load_dword v1, off, s[36:39], 0 offset:440 ; 4-byte Folded Reload
	s_waitcnt vmcnt(1)
	v_add_co_u32_e32 v0, vcc, v0, v130
	s_waitcnt vmcnt(0)
	v_addc_co_u32_e32 v1, vcc, v1, v131, vcc
	global_load_dwordx2 v[170:171], v[0:1], off
.LBB120_172:                            ;   in Loop: Header=BB120_149 Depth=1
	;; [unrolled: 54-line block ×13, first 2 shown]
	s_or_b64 exec, exec, s[0:1]
	v_add_co_u32_e32 v0, vcc, 31, v134
	v_addc_co_u32_e32 v1, vcc, 0, v135, vcc
	v_cmp_gt_i64_e32 vcc, s[12:13], v[0:1]
	v_mov_b32_e32 v0, 0
	v_mov_b32_e32 v1, 0
	s_and_saveexec_b64 s[0:1], vcc
	s_cbranch_execz .LBB120_218
; %bb.217:                              ;   in Loop: Header=BB120_149 Depth=1
	buffer_load_dword v0, off, s[36:39], 0 offset:36 ; 4-byte Folded Reload
	buffer_load_dword v1, off, s[36:39], 0 offset:44 ; 4-byte Folded Reload
	;; [unrolled: 1-line block ×4, first 2 shown]
	s_waitcnt vmcnt(3)
	v_add_co_u32_e32 v0, vcc, v0, v130
	s_waitcnt vmcnt(2)
	v_addc_co_u32_e32 v1, vcc, v1, v131, vcc
	s_waitcnt vmcnt(1)
	v_add_co_u32_e32 v136, vcc, v136, v130
	s_waitcnt vmcnt(0)
	v_addc_co_u32_e32 v137, vcc, v137, v131, vcc
	global_load_dwordx2 v[0:1], v[0:1], off
	s_nop 0
	global_load_dwordx2 v[136:137], v[136:137], off
	s_waitcnt vmcnt(0)
	v_mul_f64 v[0:1], v[0:1], v[136:137]
.LBB120_218:                            ;   in Loop: Header=BB120_149 Depth=1
	s_or_b64 exec, exec, s[0:1]
	s_waitcnt vmcnt(8)
	v_mul_f64 v[136:137], v[138:139], v[148:149]
	buffer_load_dword v148, off, s[36:39], 0 offset:556 ; 4-byte Folded Reload
	buffer_load_dword v149, off, s[36:39], 0 offset:560 ; 4-byte Folded Reload
	ds_bpermute_b32 v138, v144, v96
	ds_bpermute_b32 v139, v144, v97
	s_waitcnt vmcnt(2)
	v_mul_f64 v[128:129], v[254:255], v[128:129]
	v_mul_f64 v[132:133], v[252:253], v[132:133]
	s_mov_b64 s[0:1], 0
	s_waitcnt lgkmcnt(0)
	v_fma_f64 v[136:137], v[136:137], v[138:139], v[140:141]
	ds_bpermute_b32 v138, v144, v96 offset:4
	ds_bpermute_b32 v139, v144, v97 offset:4
	s_waitcnt vmcnt(0)
	v_mul_f64 v[148:149], v[150:151], v[148:149]
	v_mov_b32_e32 v151, v141
	v_mov_b32_e32 v150, v140
	buffer_load_dword v140, off, s[36:39], 0 offset:564 ; 4-byte Folded Reload
	buffer_load_dword v141, off, s[36:39], 0 offset:568 ; 4-byte Folded Reload
	s_waitcnt lgkmcnt(0)
	v_fma_f64 v[136:137], v[148:149], v[138:139], v[136:137]
	ds_bpermute_b32 v138, v144, v96 offset:8
	ds_bpermute_b32 v139, v144, v97 offset:8
	s_waitcnt vmcnt(0)
	v_mul_f64 v[140:141], v[142:143], v[140:141]
	buffer_load_dword v142, off, s[36:39], 0 offset:580 ; 4-byte Folded Reload
	buffer_load_dword v143, off, s[36:39], 0 offset:584 ; 4-byte Folded Reload
	s_waitcnt lgkmcnt(0)
	v_fma_f64 v[136:137], v[140:141], v[138:139], v[136:137]
	buffer_load_dword v140, off, s[36:39], 0 offset:572 ; 4-byte Folded Reload
	buffer_load_dword v141, off, s[36:39], 0 offset:576 ; 4-byte Folded Reload
	ds_bpermute_b32 v138, v144, v96 offset:12
	ds_bpermute_b32 v139, v144, v97 offset:12
	s_waitcnt vmcnt(2)
	v_mul_f64 v[148:149], v[142:143], v[152:153]
	s_waitcnt vmcnt(0)
	v_mul_f64 v[140:141], v[140:141], v[154:155]
	s_waitcnt lgkmcnt(0)
	v_fma_f64 v[136:137], v[148:149], v[138:139], v[136:137]
	ds_bpermute_b32 v138, v144, v96 offset:16
	ds_bpermute_b32 v139, v144, v97 offset:16
	v_mul_f64 v[148:149], v[158:159], v[160:161]
	s_waitcnt lgkmcnt(0)
	v_fma_f64 v[136:137], v[140:141], v[138:139], v[136:137]
	ds_bpermute_b32 v138, v144, v96 offset:20
	ds_bpermute_b32 v139, v144, v97 offset:20
	;; [unrolled: 5-line block ×25, first 2 shown]
	s_waitcnt lgkmcnt(0)
	v_fma_f64 v[136:137], v[140:141], v[138:139], v[136:137]
	ds_bpermute_b32 v138, v144, v96 offset:116
	ds_bpermute_b32 v139, v144, v97 offset:116
	v_mov_b32_e32 v140, v150
	v_mov_b32_e32 v141, v151
	s_waitcnt lgkmcnt(0)
	v_fma_f64 v[128:129], v[128:129], v[138:139], v[136:137]
	ds_bpermute_b32 v136, v144, v96 offset:120
	ds_bpermute_b32 v137, v144, v97 offset:120
	;; [unrolled: 1-line block ×4, first 2 shown]
	s_waitcnt lgkmcnt(2)
	v_fma_f64 v[128:129], v[132:133], v[136:137], v[128:129]
	s_waitcnt lgkmcnt(0)
	v_fma_f64 v[96:97], v[0:1], v[96:97], v[128:129]
.LBB120_219:                            ;   in Loop: Header=BB120_149 Depth=1
	s_and_b64 vcc, exec, s[0:1]
	s_cbranch_vccz .LBB120_225
; %bb.220:                              ;   in Loop: Header=BB120_149 Depth=1
	s_load_dword s0, s[10:11], 0x0
	buffer_load_dword v0, off, s[36:39], 0 offset:588 ; 4-byte Folded Reload
	buffer_load_dword v1, off, s[36:39], 0 offset:592 ; 4-byte Folded Reload
	s_waitcnt lgkmcnt(0)
	s_cmp_lt_u32 s6, s0
	s_cselect_b32 s0, 12, 18
	s_add_u32 s0, s10, s0
	s_addc_u32 s1, s11, 0
	s_waitcnt vmcnt(0)
	global_load_ushort v0, v1, s[0:1]
	buffer_load_dword v96, off, s[36:39], 0 offset:548 ; 4-byte Folded Reload
	buffer_load_dword v97, off, s[36:39], 0 offset:552 ; 4-byte Folded Reload
	s_nop 0
	buffer_load_dword v1, off, s[36:39], 0 offset:32 ; 4-byte Folded Reload
	s_waitcnt vmcnt(0)
	v_mad_u32_u24 v0, v96, v0, v1
	v_and_b32_e32 v0, 63, v0
	v_mov_b32_e32 v96, 0
	v_mov_b32_e32 v97, 0
	v_cmp_gt_u32_e32 vcc, 32, v0
	s_and_saveexec_b64 s[0:1], vcc
	s_cbranch_execz .LBB120_224
; %bb.221:                              ;   in Loop: Header=BB120_149 Depth=1
	v_add_co_u32_e32 v0, vcc, v134, v0
	v_addc_co_u32_e32 v1, vcc, 0, v135, vcc
	v_cmp_gt_i64_e32 vcc, s[12:13], v[0:1]
	v_mov_b32_e32 v96, 0
	v_mov_b32_e32 v97, 0
	s_and_saveexec_b64 s[26:27], vcc
	s_cbranch_execz .LBB120_223
; %bb.222:                              ;   in Loop: Header=BB120_149 Depth=1
	v_lshlrev_b64 v[0:1], 3, v[0:1]
	v_mov_b32_e32 v96, s21
	v_add_co_u32_e32 v0, vcc, s20, v0
	v_addc_co_u32_e32 v1, vcc, v96, v1, vcc
	global_load_dwordx2 v[96:97], v[0:1], off
.LBB120_223:                            ;   in Loop: Header=BB120_149 Depth=1
	s_or_b64 exec, exec, s[26:27]
.LBB120_224:                            ;   in Loop: Header=BB120_149 Depth=1
	s_or_b64 exec, exec, s[0:1]
	buffer_load_dword v0, off, s[36:39], 0 offset:4 ; 4-byte Folded Reload
	buffer_load_dword v1, off, s[36:39], 0 offset:8 ; 4-byte Folded Reload
	;; [unrolled: 1-line block ×4, first 2 shown]
	s_waitcnt vmcnt(3)
	v_add_co_u32_e32 v0, vcc, v0, v130
	s_waitcnt vmcnt(2)
	v_addc_co_u32_e32 v1, vcc, v1, v131, vcc
	s_waitcnt vmcnt(1)
	v_add_co_u32_e32 v128, vcc, v128, v130
	s_waitcnt vmcnt(0)
	v_addc_co_u32_e32 v129, vcc, v129, v131, vcc
	global_load_dwordx2 v[0:1], v[0:1], off
	v_add_co_u32_e32 v132, vcc, v2, v130
	global_load_dwordx2 v[128:129], v[128:129], off
	v_addc_co_u32_e32 v133, vcc, v3, v131, vcc
	v_add_co_u32_e32 v134, vcc, v4, v130
	v_addc_co_u32_e32 v135, vcc, v5, v131, vcc
	v_add_co_u32_e32 v150, vcc, v6, v130
	global_load_dwordx2 v[132:133], v[132:133], off
	v_addc_co_u32_e32 v151, vcc, v7, v131, vcc
	global_load_dwordx2 v[134:135], v[134:135], off
	v_add_co_u32_e32 v152, vcc, v8, v130
	v_addc_co_u32_e32 v153, vcc, v9, v131, vcc
	v_add_co_u32_e32 v154, vcc, v10, v130
	v_addc_co_u32_e32 v155, vcc, v11, v131, vcc
	v_add_co_u32_e32 v156, vcc, v12, v130
	v_addc_co_u32_e32 v157, vcc, v13, v131, vcc
	v_add_co_u32_e32 v158, vcc, v14, v130
	global_load_dwordx2 v[150:151], v[150:151], off
	v_addc_co_u32_e32 v159, vcc, v15, v131, vcc
	global_load_dwordx2 v[152:153], v[152:153], off
	v_add_co_u32_e32 v160, vcc, v16, v130
	v_addc_co_u32_e32 v161, vcc, v17, v131, vcc
	v_add_co_u32_e32 v162, vcc, v18, v130
	;; [unrolled: 10-line block ×9, first 2 shown]
	v_addc_co_u32_e32 v219, vcc, v75, v131, vcc
	v_add_co_u32_e32 v220, vcc, v76, v130
	v_addc_co_u32_e32 v221, vcc, v77, v131, vcc
	v_add_co_u32_e32 v222, vcc, v78, v130
	global_load_dwordx2 v[182:183], v[182:183], off
	v_addc_co_u32_e32 v223, vcc, v79, v131, vcc
	global_load_dwordx2 v[184:185], v[184:185], off
	s_waitcnt vmcnt(20)
	v_mul_f64 v[0:1], v[0:1], v[128:129]
	v_add_co_u32_e32 v224, vcc, v80, v130
	v_addc_co_u32_e32 v225, vcc, v81, v131, vcc
	global_load_dwordx2 v[128:129], v[224:225], off
	ds_bpermute_b32 v224, v144, v96
	ds_bpermute_b32 v225, v144, v97
	global_load_dwordx2 v[186:187], v[186:187], off
	s_waitcnt vmcnt(20)
	v_mul_f64 v[132:133], v[132:133], v[134:135]
	global_load_dwordx2 v[188:189], v[188:189], off
	v_add_co_u32_e32 v226, vcc, v82, v130
	s_waitcnt lgkmcnt(0)
	v_fma_f64 v[0:1], v[0:1], v[224:225], v[140:141]
	ds_bpermute_b32 v224, v144, v96 offset:4
	ds_bpermute_b32 v225, v144, v97 offset:4
	global_load_dwordx2 v[190:191], v[190:191], off
	v_addc_co_u32_e32 v227, vcc, v83, v131, vcc
	global_load_dwordx2 v[192:193], v[192:193], off
	s_waitcnt lgkmcnt(0)
	v_fma_f64 v[0:1], v[132:133], v[224:225], v[0:1]
	s_waitcnt vmcnt(21)
	v_mul_f64 v[132:133], v[150:151], v[152:153]
	ds_bpermute_b32 v152, v144, v96 offset:8
	ds_bpermute_b32 v153, v144, v97 offset:8
	global_load_dwordx2 v[194:195], v[194:195], off
	s_waitcnt lgkmcnt(0)
	v_fma_f64 v[0:1], v[132:133], v[152:153], v[0:1]
	global_load_dwordx2 v[196:197], v[196:197], off
	s_waitcnt vmcnt(21)
	v_mul_f64 v[132:133], v[154:155], v[156:157]
	ds_bpermute_b32 v154, v144, v96 offset:12
	ds_bpermute_b32 v155, v144, v97 offset:12
	global_load_dwordx2 v[134:135], v[226:227], off
	v_add_co_u32_e32 v226, vcc, v84, v130
	v_addc_co_u32_e32 v227, vcc, v85, v131, vcc
	v_add_co_u32_e32 v224, vcc, v86, v130
	global_load_dwordx2 v[198:199], v[198:199], off
	v_addc_co_u32_e32 v225, vcc, v87, v131, vcc
	global_load_dwordx2 v[200:201], v[200:201], off
	s_waitcnt lgkmcnt(0)
	v_fma_f64 v[0:1], v[132:133], v[154:155], v[0:1]
	s_waitcnt vmcnt(22)
	v_mul_f64 v[132:133], v[158:159], v[160:161]
	v_add_co_u32_e32 v156, vcc, v88, v130
	v_addc_co_u32_e32 v157, vcc, v89, v131, vcc
	global_load_dwordx2 v[154:155], v[156:157], off
	ds_bpermute_b32 v156, v144, v96 offset:16
	ds_bpermute_b32 v157, v144, v97 offset:16
	global_load_dwordx2 v[202:203], v[202:203], off
	v_add_co_u32_e32 v158, vcc, v90, v130
	global_load_dwordx2 v[204:205], v[204:205], off
	s_waitcnt lgkmcnt(0)
	v_fma_f64 v[0:1], v[132:133], v[156:157], v[0:1]
	s_waitcnt vmcnt(23)
	v_mul_f64 v[132:133], v[162:163], v[164:165]
	v_addc_co_u32_e32 v159, vcc, v91, v131, vcc
	global_load_dwordx2 v[156:157], v[158:159], off
	ds_bpermute_b32 v158, v144, v96 offset:20
	ds_bpermute_b32 v159, v144, v97 offset:20
	global_load_dwordx2 v[206:207], v[206:207], off
	v_add_co_u32_e32 v160, vcc, v92, v130
	global_load_dwordx2 v[208:209], v[208:209], off
	s_waitcnt lgkmcnt(0)
	v_fma_f64 v[0:1], v[132:133], v[158:159], v[0:1]
	s_waitcnt vmcnt(24)
	v_mul_f64 v[132:133], v[166:167], v[168:169]
	;; [unrolled: 11-line block ×5, first 2 shown]
	v_addc_co_u32_e32 v167, vcc, v101, v131, vcc
	global_load_dwordx2 v[164:165], v[166:167], off
	ds_bpermute_b32 v166, v144, v96 offset:36
	ds_bpermute_b32 v167, v144, v97 offset:36
	global_load_dwordx2 v[222:223], v[222:223], off
	v_add_co_u32_e32 v168, vcc, v102, v130
	v_addc_co_u32_e32 v169, vcc, v103, v131, vcc
	s_waitcnt lgkmcnt(0)
	v_fma_f64 v[0:1], v[132:133], v[166:167], v[0:1]
	s_waitcnt vmcnt(27)
	v_mul_f64 v[132:133], v[182:183], v[184:185]
	global_load_dwordx2 v[166:167], v[168:169], off
	ds_bpermute_b32 v168, v144, v96 offset:40
	ds_bpermute_b32 v169, v144, v97 offset:40
	global_load_dwordx2 v[150:151], v[226:227], off
	v_add_co_u32_e32 v170, vcc, v104, v130
	v_addc_co_u32_e32 v171, vcc, v105, v131, vcc
	s_waitcnt lgkmcnt(0)
	v_fma_f64 v[0:1], v[132:133], v[168:169], v[0:1]
	s_waitcnt vmcnt(26)
	v_mul_f64 v[132:133], v[186:187], v[188:189]
	global_load_dwordx2 v[168:169], v[170:171], off
	ds_bpermute_b32 v170, v144, v96 offset:44
	ds_bpermute_b32 v171, v144, v97 offset:44
	v_add_co_u32_e32 v172, vcc, v106, v130
	v_addc_co_u32_e32 v173, vcc, v107, v131, vcc
	s_waitcnt lgkmcnt(0)
	v_fma_f64 v[0:1], v[132:133], v[170:171], v[0:1]
	s_waitcnt vmcnt(25)
	v_mul_f64 v[132:133], v[190:191], v[192:193]
	global_load_dwordx2 v[170:171], v[172:173], off
	ds_bpermute_b32 v172, v144, v96 offset:48
	ds_bpermute_b32 v173, v144, v97 offset:48
	global_load_dwordx2 v[152:153], v[224:225], off
	v_add_co_u32_e32 v174, vcc, v108, v130
	v_addc_co_u32_e32 v175, vcc, v109, v131, vcc
	s_waitcnt lgkmcnt(0)
	v_fma_f64 v[0:1], v[132:133], v[172:173], v[0:1]
	s_waitcnt vmcnt(25)
	v_mul_f64 v[132:133], v[194:195], v[196:197]
	global_load_dwordx2 v[172:173], v[174:175], off
	ds_bpermute_b32 v174, v144, v96 offset:52
	ds_bpermute_b32 v175, v144, v97 offset:52
	v_add_co_u32_e32 v176, vcc, v110, v130
	v_addc_co_u32_e32 v177, vcc, v111, v131, vcc
	s_waitcnt lgkmcnt(0)
	v_fma_f64 v[0:1], v[132:133], v[174:175], v[0:1]
	s_waitcnt vmcnt(23)
	v_mul_f64 v[132:133], v[198:199], v[200:201]
	global_load_dwordx2 v[174:175], v[176:177], off
	ds_bpermute_b32 v176, v144, v96 offset:56
	ds_bpermute_b32 v177, v144, v97 offset:56
	;; [unrolled: 9-line block ×7, first 2 shown]
	s_waitcnt vmcnt(12)
	v_mul_f64 v[128:129], v[222:223], v[128:129]
	v_add_co_u32_e32 v188, vcc, v122, v130
	v_addc_co_u32_e32 v189, vcc, v123, v131, vcc
	s_waitcnt lgkmcnt(0)
	v_fma_f64 v[0:1], v[132:133], v[186:187], v[0:1]
	ds_bpermute_b32 v186, v144, v96 offset:80
	ds_bpermute_b32 v187, v144, v97 offset:80
	global_load_dwordx2 v[132:133], v[188:189], off
	v_add_co_u32_e32 v188, vcc, v124, v130
	v_addc_co_u32_e32 v189, vcc, v125, v131, vcc
	s_waitcnt lgkmcnt(0)
	v_fma_f64 v[0:1], v[128:129], v[186:187], v[0:1]
	s_waitcnt vmcnt(11)
	v_mul_f64 v[128:129], v[134:135], v[150:151]
	ds_bpermute_b32 v150, v144, v96 offset:84
	ds_bpermute_b32 v151, v144, v97 offset:84
	v_add_co_u32_e32 v186, vcc, v126, v130
	v_addc_co_u32_e32 v187, vcc, v127, v131, vcc
	global_load_dwordx2 v[134:135], v[188:189], off
	s_waitcnt lgkmcnt(0)
	v_fma_f64 v[0:1], v[128:129], v[150:151], v[0:1]
	global_load_dwordx2 v[150:151], v[186:187], off
	s_waitcnt vmcnt(10)
	v_mul_f64 v[128:129], v[152:153], v[154:155]
	ds_bpermute_b32 v152, v144, v96 offset:88
	ds_bpermute_b32 v153, v144, v97 offset:88
	s_waitcnt lgkmcnt(0)
	v_fma_f64 v[0:1], v[128:129], v[152:153], v[0:1]
	v_mul_f64 v[128:129], v[156:157], v[158:159]
	ds_bpermute_b32 v152, v144, v96 offset:92
	ds_bpermute_b32 v153, v144, v97 offset:92
	s_waitcnt lgkmcnt(0)
	v_fma_f64 v[0:1], v[128:129], v[152:153], v[0:1]
	;; [unrolled: 5-line block ×5, first 2 shown]
	s_waitcnt vmcnt(8)
	v_mul_f64 v[128:129], v[172:173], v[174:175]
	ds_bpermute_b32 v152, v144, v96 offset:108
	ds_bpermute_b32 v153, v144, v97 offset:108
	s_waitcnt lgkmcnt(0)
	v_fma_f64 v[0:1], v[128:129], v[152:153], v[0:1]
	s_waitcnt vmcnt(6)
	v_mul_f64 v[128:129], v[176:177], v[178:179]
	ds_bpermute_b32 v152, v144, v96 offset:112
	ds_bpermute_b32 v153, v144, v97 offset:112
	s_waitcnt lgkmcnt(0)
	v_fma_f64 v[0:1], v[128:129], v[152:153], v[0:1]
	;; [unrolled: 6-line block ×3, first 2 shown]
	s_waitcnt vmcnt(2)
	v_mul_f64 v[128:129], v[184:185], v[132:133]
	ds_bpermute_b32 v132, v144, v96 offset:120
	ds_bpermute_b32 v133, v144, v97 offset:120
	;; [unrolled: 1-line block ×4, first 2 shown]
	s_waitcnt lgkmcnt(2)
	v_fma_f64 v[0:1], v[128:129], v[132:133], v[0:1]
	s_waitcnt vmcnt(0)
	v_mul_f64 v[128:129], v[134:135], v[150:151]
	s_waitcnt lgkmcnt(0)
	v_fma_f64 v[96:97], v[128:129], v[96:97], v[0:1]
.LBB120_225:                            ;   in Loop: Header=BB120_149 Depth=1
	buffer_load_dword v0, off, s[36:39], 0 offset:4 ; 4-byte Folded Reload
	buffer_load_dword v1, off, s[36:39], 0 offset:8 ; 4-byte Folded Reload
	s_add_u32 s24, s24, s7
	s_addc_u32 s25, s25, 0
	s_add_u32 s18, s18, s7
	s_addc_u32 s19, 0, s19
	s_waitcnt vmcnt(1)
	v_add_co_u32_e32 v0, vcc, s16, v0
	buffer_store_dword v0, off, s[36:39], 0 offset:4 ; 4-byte Folded Spill
	v_mov_b32_e32 v0, s17
	s_waitcnt vmcnt(1)
	v_addc_co_u32_e32 v1, vcc, v1, v0, vcc
	buffer_store_dword v1, off, s[36:39], 0 offset:8 ; 4-byte Folded Spill
	buffer_load_dword v1, off, s[36:39], 0 offset:16 ; 4-byte Folded Reload
	s_waitcnt vmcnt(0)
	v_add_co_u32_e32 v1, vcc, s16, v1
	buffer_store_dword v1, off, s[36:39], 0 offset:16 ; 4-byte Folded Spill
	buffer_load_dword v1, off, s[36:39], 0 offset:24 ; 4-byte Folded Reload
	s_waitcnt vmcnt(0)
	v_addc_co_u32_e32 v1, vcc, v1, v0, vcc
	buffer_store_dword v1, off, s[36:39], 0 offset:24 ; 4-byte Folded Spill
	buffer_load_dword v1, off, s[36:39], 0  ; 4-byte Folded Reload
	s_waitcnt vmcnt(0)
	v_add_co_u32_e32 v1, vcc, s7, v1
	v_addc_co_u32_e32 v145, vcc, 0, v145, vcc
	v_add_co_u32_e32 v2, vcc, s16, v2
	v_addc_co_u32_e32 v3, vcc, v3, v0, vcc
	;; [unrolled: 2-line block ×23, first 2 shown]
	buffer_store_dword v1, off, s[36:39], 0 ; 4-byte Folded Spill
	v_add_co_u32_e32 v90, vcc, s16, v90
	buffer_load_dword v1, off, s[36:39], 0 offset:36 ; 4-byte Folded Reload
	v_addc_co_u32_e32 v91, vcc, v91, v0, vcc
	v_add_co_u32_e32 v94, vcc, s16, v94
	v_addc_co_u32_e32 v95, vcc, v95, v0, vcc
	v_add_co_u32_e32 v100, vcc, s16, v100
	;; [unrolled: 2-line block ×39, first 2 shown]
	v_addc_co_u32_e32 v127, vcc, v127, v0, vcc
	s_waitcnt vmcnt(0)
	v_add_co_u32_e32 v1, vcc, s16, v1
	buffer_store_dword v1, off, s[36:39], 0 offset:36 ; 4-byte Folded Spill
	buffer_load_dword v1, off, s[36:39], 0 offset:44 ; 4-byte Folded Reload
	s_waitcnt vmcnt(0)
	v_addc_co_u32_e32 v1, vcc, v1, v0, vcc
	buffer_store_dword v1, off, s[36:39], 0 offset:44 ; 4-byte Folded Spill
	buffer_load_dword v1, off, s[36:39], 0 offset:52 ; 4-byte Folded Reload
	s_waitcnt vmcnt(0)
	v_add_co_u32_e32 v1, vcc, s16, v1
	buffer_store_dword v1, off, s[36:39], 0 offset:52 ; 4-byte Folded Spill
	buffer_load_dword v1, off, s[36:39], 0 offset:60 ; 4-byte Folded Reload
	s_waitcnt vmcnt(0)
	v_addc_co_u32_e32 v1, vcc, v1, v0, vcc
	buffer_store_dword v1, off, s[36:39], 0 offset:60 ; 4-byte Folded Spill
	buffer_load_dword v1, off, s[36:39], 0 offset:68 ; 4-byte Folded Reload
	;; [unrolled: 8-line block ×60, first 2 shown]
	s_waitcnt vmcnt(0)
	v_add_co_u32_e32 v1, vcc, s16, v1
	buffer_store_dword v1, off, s[36:39], 0 offset:540 ; 4-byte Folded Spill
	buffer_load_dword v1, off, s[36:39], 0 offset:544 ; 4-byte Folded Reload
	s_waitcnt vmcnt(0)
	v_addc_co_u32_e32 v1, vcc, v1, v0, vcc
	v_add_co_u32_e32 v146, vcc, s16, v146
	buffer_store_dword v1, off, s[36:39], 0 offset:544 ; 4-byte Folded Spill
	v_addc_co_u32_e32 v147, vcc, v147, v0, vcc
	v_mov_b32_e32 v0, s12
	v_mov_b32_e32 v1, s13
	v_cmp_ge_i64_e32 vcc, s[24:25], v[0:1]
	s_cbranch_vccnz .LBB120_227
; %bb.226:                              ;   in Loop: Header=BB120_149 Depth=1
	v_mov_b32_e32 v141, v97
	v_mov_b32_e32 v140, v96
	s_branch .LBB120_149
.LBB120_227:
	buffer_load_dword v0, off, s[36:39], 0 offset:32 ; 4-byte Folded Reload
	s_mov_b32 s7, 0
	s_lshl_b64 s[0:1], s[6:7], 6
	v_mov_b32_e32 v1, s1
	s_waitcnt lgkmcnt(0)
	s_cmp_lg_u64 s[2:3], 0
	s_waitcnt vmcnt(0)
	v_or_b32_e32 v0, s0, v0
	v_cmp_gt_i64_e32 vcc, s[14:15], v[0:1]
	s_cselect_b64 s[0:1], -1, 0
	s_and_b64 s[0:1], vcc, s[0:1]
	s_and_saveexec_b64 s[6:7], s[0:1]
	s_cbranch_execz .LBB120_229
; %bb.228:
	s_load_dword s0, s[4:5], 0x4c
	buffer_load_dword v2, off, s[36:39], 0 offset:548 ; 4-byte Folded Reload
	buffer_load_dword v3, off, s[36:39], 0 offset:552 ; 4-byte Folded Reload
	v_mov_b32_e32 v4, 0
	v_mov_b32_e32 v6, s3
	v_lshlrev_b64 v[0:1], 3, v[0:1]
	s_waitcnt lgkmcnt(0)
	s_lshr_b32 s0, s0, 16
	s_waitcnt vmcnt(0)
	v_mov_b32_e32 v3, v2
	v_mov_b32_e32 v2, s8
	v_mad_u64_u32 v[2:3], s[0:1], s0, v2, v[3:4]
	v_mul_lo_u32 v4, v3, s14
	v_mul_lo_u32 v5, v2, s15
	v_mad_u64_u32 v[2:3], s[0:1], v2, s14, 0
	v_add3_u32 v3, v3, v5, v4
	v_lshlrev_b64 v[2:3], 3, v[2:3]
	v_add_co_u32_e32 v2, vcc, s2, v2
	v_addc_co_u32_e32 v3, vcc, v6, v3, vcc
	v_add_co_u32_e32 v0, vcc, v2, v0
	v_addc_co_u32_e32 v1, vcc, v3, v1, vcc
	global_store_dwordx2 v[0:1], v[96:97], off
.LBB120_229:
	s_endpgm
	.section	.rodata,"a",@progbits
	.p2align	6, 0x0
	.amdhsa_kernel _ZN2at6native12_GLOBAL__N_135GammaBetaBackwardCUDAKernelTemplateIddLj64ELj1ELj32ELb1ELb0ELb1EEEvllPKT_S5_PKT0_S8_PS3_S9_
		.amdhsa_group_segment_fixed_size 0
		.amdhsa_private_segment_fixed_size 600
		.amdhsa_kernarg_size 320
		.amdhsa_user_sgpr_count 6
		.amdhsa_user_sgpr_private_segment_buffer 1
		.amdhsa_user_sgpr_dispatch_ptr 0
		.amdhsa_user_sgpr_queue_ptr 0
		.amdhsa_user_sgpr_kernarg_segment_ptr 1
		.amdhsa_user_sgpr_dispatch_id 0
		.amdhsa_user_sgpr_flat_scratch_init 0
		.amdhsa_user_sgpr_private_segment_size 0
		.amdhsa_uses_dynamic_stack 0
		.amdhsa_system_sgpr_private_segment_wavefront_offset 1
		.amdhsa_system_sgpr_workgroup_id_x 1
		.amdhsa_system_sgpr_workgroup_id_y 1
		.amdhsa_system_sgpr_workgroup_id_z 0
		.amdhsa_system_sgpr_workgroup_info 0
		.amdhsa_system_vgpr_workitem_id 1
		.amdhsa_next_free_vgpr 256
		.amdhsa_next_free_sgpr 40
		.amdhsa_reserve_vcc 1
		.amdhsa_reserve_flat_scratch 0
		.amdhsa_float_round_mode_32 0
		.amdhsa_float_round_mode_16_64 0
		.amdhsa_float_denorm_mode_32 3
		.amdhsa_float_denorm_mode_16_64 3
		.amdhsa_dx10_clamp 1
		.amdhsa_ieee_mode 1
		.amdhsa_fp16_overflow 0
		.amdhsa_exception_fp_ieee_invalid_op 0
		.amdhsa_exception_fp_denorm_src 0
		.amdhsa_exception_fp_ieee_div_zero 0
		.amdhsa_exception_fp_ieee_overflow 0
		.amdhsa_exception_fp_ieee_underflow 0
		.amdhsa_exception_fp_ieee_inexact 0
		.amdhsa_exception_int_div_zero 0
	.end_amdhsa_kernel
	.section	.text._ZN2at6native12_GLOBAL__N_135GammaBetaBackwardCUDAKernelTemplateIddLj64ELj1ELj32ELb1ELb0ELb1EEEvllPKT_S5_PKT0_S8_PS3_S9_,"axG",@progbits,_ZN2at6native12_GLOBAL__N_135GammaBetaBackwardCUDAKernelTemplateIddLj64ELj1ELj32ELb1ELb0ELb1EEEvllPKT_S5_PKT0_S8_PS3_S9_,comdat
.Lfunc_end120:
	.size	_ZN2at6native12_GLOBAL__N_135GammaBetaBackwardCUDAKernelTemplateIddLj64ELj1ELj32ELb1ELb0ELb1EEEvllPKT_S5_PKT0_S8_PS3_S9_, .Lfunc_end120-_ZN2at6native12_GLOBAL__N_135GammaBetaBackwardCUDAKernelTemplateIddLj64ELj1ELj32ELb1ELb0ELb1EEEvllPKT_S5_PKT0_S8_PS3_S9_
                                        ; -- End function
	.set _ZN2at6native12_GLOBAL__N_135GammaBetaBackwardCUDAKernelTemplateIddLj64ELj1ELj32ELb1ELb0ELb1EEEvllPKT_S5_PKT0_S8_PS3_S9_.num_vgpr, 256
	.set _ZN2at6native12_GLOBAL__N_135GammaBetaBackwardCUDAKernelTemplateIddLj64ELj1ELj32ELb1ELb0ELb1EEEvllPKT_S5_PKT0_S8_PS3_S9_.num_agpr, 0
	.set _ZN2at6native12_GLOBAL__N_135GammaBetaBackwardCUDAKernelTemplateIddLj64ELj1ELj32ELb1ELb0ELb1EEEvllPKT_S5_PKT0_S8_PS3_S9_.numbered_sgpr, 40
	.set _ZN2at6native12_GLOBAL__N_135GammaBetaBackwardCUDAKernelTemplateIddLj64ELj1ELj32ELb1ELb0ELb1EEEvllPKT_S5_PKT0_S8_PS3_S9_.num_named_barrier, 0
	.set _ZN2at6native12_GLOBAL__N_135GammaBetaBackwardCUDAKernelTemplateIddLj64ELj1ELj32ELb1ELb0ELb1EEEvllPKT_S5_PKT0_S8_PS3_S9_.private_seg_size, 600
	.set _ZN2at6native12_GLOBAL__N_135GammaBetaBackwardCUDAKernelTemplateIddLj64ELj1ELj32ELb1ELb0ELb1EEEvllPKT_S5_PKT0_S8_PS3_S9_.uses_vcc, 1
	.set _ZN2at6native12_GLOBAL__N_135GammaBetaBackwardCUDAKernelTemplateIddLj64ELj1ELj32ELb1ELb0ELb1EEEvllPKT_S5_PKT0_S8_PS3_S9_.uses_flat_scratch, 0
	.set _ZN2at6native12_GLOBAL__N_135GammaBetaBackwardCUDAKernelTemplateIddLj64ELj1ELj32ELb1ELb0ELb1EEEvllPKT_S5_PKT0_S8_PS3_S9_.has_dyn_sized_stack, 0
	.set _ZN2at6native12_GLOBAL__N_135GammaBetaBackwardCUDAKernelTemplateIddLj64ELj1ELj32ELb1ELb0ELb1EEEvllPKT_S5_PKT0_S8_PS3_S9_.has_recursion, 0
	.set _ZN2at6native12_GLOBAL__N_135GammaBetaBackwardCUDAKernelTemplateIddLj64ELj1ELj32ELb1ELb0ELb1EEEvllPKT_S5_PKT0_S8_PS3_S9_.has_indirect_call, 0
	.section	.AMDGPU.csdata,"",@progbits
; Kernel info:
; codeLenInByte = 28316
; TotalNumSgprs: 44
; NumVgprs: 256
; ScratchSize: 600
; MemoryBound: 1
; FloatMode: 240
; IeeeMode: 1
; LDSByteSize: 0 bytes/workgroup (compile time only)
; SGPRBlocks: 5
; VGPRBlocks: 63
; NumSGPRsForWavesPerEU: 44
; NumVGPRsForWavesPerEU: 256
; Occupancy: 1
; WaveLimiterHint : 0
; COMPUTE_PGM_RSRC2:SCRATCH_EN: 1
; COMPUTE_PGM_RSRC2:USER_SGPR: 6
; COMPUTE_PGM_RSRC2:TRAP_HANDLER: 0
; COMPUTE_PGM_RSRC2:TGID_X_EN: 1
; COMPUTE_PGM_RSRC2:TGID_Y_EN: 1
; COMPUTE_PGM_RSRC2:TGID_Z_EN: 0
; COMPUTE_PGM_RSRC2:TIDIG_COMP_CNT: 1
	.section	.text._ZN2at6native12_GLOBAL__N_135GammaBetaBackwardCUDAKernelTemplateIddLj64ELj1ELj8ELb1ELb1ELb1EEEvllPKT_S5_PKT0_S8_PS3_S9_,"axG",@progbits,_ZN2at6native12_GLOBAL__N_135GammaBetaBackwardCUDAKernelTemplateIddLj64ELj1ELj8ELb1ELb1ELb1EEEvllPKT_S5_PKT0_S8_PS3_S9_,comdat
	.globl	_ZN2at6native12_GLOBAL__N_135GammaBetaBackwardCUDAKernelTemplateIddLj64ELj1ELj8ELb1ELb1ELb1EEEvllPKT_S5_PKT0_S8_PS3_S9_ ; -- Begin function _ZN2at6native12_GLOBAL__N_135GammaBetaBackwardCUDAKernelTemplateIddLj64ELj1ELj8ELb1ELb1ELb1EEEvllPKT_S5_PKT0_S8_PS3_S9_
	.p2align	8
	.type	_ZN2at6native12_GLOBAL__N_135GammaBetaBackwardCUDAKernelTemplateIddLj64ELj1ELj8ELb1ELb1ELb1EEEvllPKT_S5_PKT0_S8_PS3_S9_,@function
_ZN2at6native12_GLOBAL__N_135GammaBetaBackwardCUDAKernelTemplateIddLj64ELj1ELj8ELb1ELb1ELb1EEEvllPKT_S5_PKT0_S8_PS3_S9_: ; @_ZN2at6native12_GLOBAL__N_135GammaBetaBackwardCUDAKernelTemplateIddLj64ELj1ELj8ELb1ELb1ELb1EEEvllPKT_S5_PKT0_S8_PS3_S9_
; %bb.0:
	s_load_dwordx4 s[8:11], s[4:5], 0x0
	s_load_dwordx2 s[16:17], s[4:5], 0x30
	s_lshl_b32 s18, s7, 3
	s_mov_b32 s19, 0
	v_mov_b32_e32 v2, s18
	v_mov_b32_e32 v3, s19
	s_waitcnt lgkmcnt(0)
	v_cmp_le_i64_e32 vcc, s[8:9], v[2:3]
	v_mov_b32_e32 v8, 0
	v_mov_b32_e32 v9, 0
	s_cbranch_vccnz .LBB121_7
; %bb.1:
	s_load_dword s0, s[4:5], 0x4c
	s_load_dword s22, s[4:5], 0x44
	s_load_dwordx4 s[12:15], s[4:5], 0x10
	s_load_dwordx2 s[2:3], s[4:5], 0x28
	v_lshlrev_b32_e32 v2, 3, v1
	s_waitcnt lgkmcnt(0)
	s_and_b32 s0, s0, 0xffff
	v_mad_u32_u24 v3, v1, s0, v0
	v_and_b32_e32 v3, 63, v3
	v_mbcnt_lo_u32_b32 v4, -1, 0
	v_add_co_u32_e32 v8, vcc, s18, v2
	v_mbcnt_hi_u32_b32 v4, -1, v4
	v_addc_co_u32_e64 v9, s[20:21], 0, 0, vcc
	v_add_co_u32_e32 v2, vcc, v8, v3
	v_cmp_gt_u32_e64 s[0:1], 8, v3
	v_lshlrev_b32_e32 v4, 2, v4
	v_addc_co_u32_e32 v3, vcc, 0, v9, vcc
	v_and_b32_e32 v10, 0x100, v4
	v_lshlrev_b64 v[4:5], 3, v[2:3]
	v_mov_b32_e32 v14, s3
	v_add_co_u32_e32 v4, vcc, s2, v4
	v_mul_lo_u32 v17, s11, v8
	v_mul_lo_u32 v18, s10, v9
	v_mad_u64_u32 v[8:9], s[2:3], s10, v8, 0
	v_mov_b32_e32 v7, 0
	v_lshl_or_b32 v6, s6, 6, v0
	v_add3_u32 v9, v9, v18, v17
	v_lshlrev_b64 v[8:9], 3, v[8:9]
	v_lshlrev_b64 v[6:7], 3, v[6:7]
	v_addc_co_u32_e32 v5, vcc, v14, v5, vcc
	s_lshl_b32 s20, s22, 3
	v_add_co_u32_e32 v18, vcc, v8, v6
	s_mul_i32 s2, s11, s20
	s_mul_hi_u32 s3, s10, s20
	s_mov_b32 s21, s19
	v_addc_co_u32_e32 v19, vcc, v9, v7, vcc
	s_add_i32 s3, s3, s2
	s_mul_i32 s2, s10, s20
	v_mov_b32_e32 v8, 0
	v_or_b32_e32 v11, 4, v10
	v_or_b32_e32 v12, 8, v10
	v_or_b32_e32 v13, 12, v10
	v_or_b32_e32 v14, 16, v10
	v_or_b32_e32 v15, 20, v10
	v_or_b32_e32 v16, 24, v10
	v_or_b32_e32 v17, 28, v10
	s_lshl_b64 s[22:23], s[20:21], 3
	s_lshl_b64 s[24:25], s[2:3], 3
	v_mov_b32_e32 v9, 0
	s_lshl_b64 s[26:27], s[10:11], 3
	s_branch .LBB121_4
.LBB121_2:                              ;   in Loop: Header=BB121_4 Depth=1
	s_or_b64 exec, exec, s[28:29]
.LBB121_3:                              ;   in Loop: Header=BB121_4 Depth=1
	s_or_b64 exec, exec, s[2:3]
	v_mov_b32_e32 v21, s13
	v_add_co_u32_e32 v20, vcc, s12, v18
	v_addc_co_u32_e32 v21, vcc, v21, v19, vcc
	v_mov_b32_e32 v23, s15
	v_add_co_u32_e32 v22, vcc, s14, v18
	v_addc_co_u32_e32 v23, vcc, v23, v19, vcc
	global_load_dwordx2 v[24:25], v[20:21], off
	global_load_dwordx2 v[26:27], v[22:23], off
	v_mov_b32_e32 v28, s27
	v_add_co_u32_e32 v20, vcc, s26, v20
	v_addc_co_u32_e32 v21, vcc, v21, v28, vcc
	v_add_co_u32_e32 v22, vcc, s26, v22
	v_addc_co_u32_e32 v23, vcc, v23, v28, vcc
	s_add_u32 s18, s18, s20
	s_addc_u32 s19, s19, 0
	v_add_co_u32_e64 v18, s[2:3], s24, v18
	s_waitcnt vmcnt(0)
	v_mul_f64 v[24:25], v[24:25], v[26:27]
	ds_bpermute_b32 v26, v10, v6
	ds_bpermute_b32 v27, v10, v7
	s_waitcnt lgkmcnt(0)
	v_fma_f64 v[8:9], v[24:25], v[26:27], v[8:9]
	global_load_dwordx2 v[24:25], v[20:21], off
	global_load_dwordx2 v[26:27], v[22:23], off
	v_add_co_u32_e32 v20, vcc, s26, v20
	v_addc_co_u32_e32 v21, vcc, v21, v28, vcc
	v_add_co_u32_e32 v22, vcc, s26, v22
	v_addc_co_u32_e32 v23, vcc, v23, v28, vcc
	s_waitcnt vmcnt(0)
	v_mul_f64 v[24:25], v[24:25], v[26:27]
	ds_bpermute_b32 v26, v11, v6
	ds_bpermute_b32 v27, v11, v7
	s_waitcnt lgkmcnt(0)
	v_fma_f64 v[8:9], v[24:25], v[26:27], v[8:9]
	global_load_dwordx2 v[24:25], v[20:21], off
	global_load_dwordx2 v[26:27], v[22:23], off
	v_add_co_u32_e32 v20, vcc, s26, v20
	v_addc_co_u32_e32 v21, vcc, v21, v28, vcc
	v_add_co_u32_e32 v22, vcc, s26, v22
	v_addc_co_u32_e32 v23, vcc, v23, v28, vcc
	;; [unrolled: 12-line block ×5, first 2 shown]
	s_waitcnt vmcnt(0)
	v_mul_f64 v[24:25], v[24:25], v[26:27]
	ds_bpermute_b32 v26, v15, v6
	ds_bpermute_b32 v27, v15, v7
	s_waitcnt lgkmcnt(0)
	v_fma_f64 v[8:9], v[24:25], v[26:27], v[8:9]
	global_load_dwordx2 v[24:25], v[20:21], off
	v_add_co_u32_e32 v20, vcc, s26, v20
	v_addc_co_u32_e32 v21, vcc, v21, v28, vcc
	v_add_co_u32_e32 v26, vcc, s26, v22
	v_addc_co_u32_e32 v27, vcc, v23, v28, vcc
	global_load_dwordx2 v[28:29], v[22:23], off
	global_load_dwordx2 v[30:31], v[20:21], off
                                        ; kill: killed $vgpr20 killed $vgpr21
                                        ; kill: killed $vgpr22 killed $vgpr23
	s_nop 0
	global_load_dwordx2 v[20:21], v[26:27], off
	ds_bpermute_b32 v22, v16, v6
	ds_bpermute_b32 v23, v16, v7
	;; [unrolled: 1-line block ×4, first 2 shown]
	v_add_co_u32_e32 v2, vcc, s20, v2
	v_addc_co_u32_e32 v3, vcc, 0, v3, vcc
	v_mov_b32_e32 v27, s9
	v_add_co_u32_e32 v4, vcc, s22, v4
	v_mov_b32_e32 v26, s8
	s_waitcnt vmcnt(2)
	v_mul_f64 v[24:25], v[24:25], v[28:29]
	v_mov_b32_e32 v28, s23
	v_addc_co_u32_e32 v5, vcc, v5, v28, vcc
	s_waitcnt vmcnt(0)
	v_mul_f64 v[20:21], v[30:31], v[20:21]
	v_cmp_lt_i64_e32 vcc, s[18:19], v[26:27]
	s_and_b64 vcc, exec, vcc
	s_waitcnt lgkmcnt(2)
	v_fma_f64 v[8:9], v[24:25], v[22:23], v[8:9]
	s_waitcnt lgkmcnt(0)
	v_fma_f64 v[8:9], v[20:21], v[6:7], v[8:9]
	v_mov_b32_e32 v6, s25
	v_addc_co_u32_e64 v19, s[2:3], v19, v6, s[2:3]
	s_cbranch_vccz .LBB121_7
.LBB121_4:                              ; =>This Inner Loop Header: Depth=1
	v_mov_b32_e32 v6, 0
	v_mov_b32_e32 v7, 0
	s_and_saveexec_b64 s[2:3], s[0:1]
	s_cbranch_execz .LBB121_3
; %bb.5:                                ;   in Loop: Header=BB121_4 Depth=1
	v_cmp_gt_i64_e32 vcc, s[8:9], v[2:3]
	v_mov_b32_e32 v6, 0
	v_mov_b32_e32 v7, 0
	s_and_saveexec_b64 s[28:29], vcc
	s_cbranch_execz .LBB121_2
; %bb.6:                                ;   in Loop: Header=BB121_4 Depth=1
	global_load_dwordx2 v[6:7], v[4:5], off
	s_branch .LBB121_2
.LBB121_7:
	s_cmp_eq_u64 s[16:17], 0
	s_cbranch_scc1 .LBB121_9
; %bb.8:
	s_load_dword s0, s[4:5], 0x4c
	v_mov_b32_e32 v2, 0
	v_mov_b32_e32 v3, s7
	s_mov_b32 s7, 0
	v_mov_b32_e32 v5, s17
	s_waitcnt lgkmcnt(0)
	s_lshr_b32 s0, s0, 16
	v_mad_u64_u32 v[1:2], s[0:1], s0, v3, v[1:2]
	v_lshlrev_b32_e32 v0, 3, v0
	v_mul_lo_u32 v3, v2, s10
	v_mul_lo_u32 v4, v1, s11
	v_mad_u64_u32 v[1:2], s[0:1], v1, s10, 0
	s_lshl_b64 s[0:1], s[6:7], 9
	v_add3_u32 v2, v2, v4, v3
	v_lshlrev_b64 v[1:2], 3, v[1:2]
	v_mov_b32_e32 v3, s1
	v_add_co_u32_e32 v1, vcc, s16, v1
	v_addc_co_u32_e32 v2, vcc, v5, v2, vcc
	v_add_co_u32_e32 v1, vcc, s0, v1
	v_addc_co_u32_e32 v2, vcc, v2, v3, vcc
	;; [unrolled: 2-line block ×3, first 2 shown]
	global_store_dwordx2 v[0:1], v[8:9], off
.LBB121_9:
	s_endpgm
	.section	.rodata,"a",@progbits
	.p2align	6, 0x0
	.amdhsa_kernel _ZN2at6native12_GLOBAL__N_135GammaBetaBackwardCUDAKernelTemplateIddLj64ELj1ELj8ELb1ELb1ELb1EEEvllPKT_S5_PKT0_S8_PS3_S9_
		.amdhsa_group_segment_fixed_size 0
		.amdhsa_private_segment_fixed_size 0
		.amdhsa_kernarg_size 320
		.amdhsa_user_sgpr_count 6
		.amdhsa_user_sgpr_private_segment_buffer 1
		.amdhsa_user_sgpr_dispatch_ptr 0
		.amdhsa_user_sgpr_queue_ptr 0
		.amdhsa_user_sgpr_kernarg_segment_ptr 1
		.amdhsa_user_sgpr_dispatch_id 0
		.amdhsa_user_sgpr_flat_scratch_init 0
		.amdhsa_user_sgpr_private_segment_size 0
		.amdhsa_uses_dynamic_stack 0
		.amdhsa_system_sgpr_private_segment_wavefront_offset 0
		.amdhsa_system_sgpr_workgroup_id_x 1
		.amdhsa_system_sgpr_workgroup_id_y 1
		.amdhsa_system_sgpr_workgroup_id_z 0
		.amdhsa_system_sgpr_workgroup_info 0
		.amdhsa_system_vgpr_workitem_id 1
		.amdhsa_next_free_vgpr 32
		.amdhsa_next_free_sgpr 30
		.amdhsa_reserve_vcc 1
		.amdhsa_reserve_flat_scratch 0
		.amdhsa_float_round_mode_32 0
		.amdhsa_float_round_mode_16_64 0
		.amdhsa_float_denorm_mode_32 3
		.amdhsa_float_denorm_mode_16_64 3
		.amdhsa_dx10_clamp 1
		.amdhsa_ieee_mode 1
		.amdhsa_fp16_overflow 0
		.amdhsa_exception_fp_ieee_invalid_op 0
		.amdhsa_exception_fp_denorm_src 0
		.amdhsa_exception_fp_ieee_div_zero 0
		.amdhsa_exception_fp_ieee_overflow 0
		.amdhsa_exception_fp_ieee_underflow 0
		.amdhsa_exception_fp_ieee_inexact 0
		.amdhsa_exception_int_div_zero 0
	.end_amdhsa_kernel
	.section	.text._ZN2at6native12_GLOBAL__N_135GammaBetaBackwardCUDAKernelTemplateIddLj64ELj1ELj8ELb1ELb1ELb1EEEvllPKT_S5_PKT0_S8_PS3_S9_,"axG",@progbits,_ZN2at6native12_GLOBAL__N_135GammaBetaBackwardCUDAKernelTemplateIddLj64ELj1ELj8ELb1ELb1ELb1EEEvllPKT_S5_PKT0_S8_PS3_S9_,comdat
.Lfunc_end121:
	.size	_ZN2at6native12_GLOBAL__N_135GammaBetaBackwardCUDAKernelTemplateIddLj64ELj1ELj8ELb1ELb1ELb1EEEvllPKT_S5_PKT0_S8_PS3_S9_, .Lfunc_end121-_ZN2at6native12_GLOBAL__N_135GammaBetaBackwardCUDAKernelTemplateIddLj64ELj1ELj8ELb1ELb1ELb1EEEvllPKT_S5_PKT0_S8_PS3_S9_
                                        ; -- End function
	.set _ZN2at6native12_GLOBAL__N_135GammaBetaBackwardCUDAKernelTemplateIddLj64ELj1ELj8ELb1ELb1ELb1EEEvllPKT_S5_PKT0_S8_PS3_S9_.num_vgpr, 32
	.set _ZN2at6native12_GLOBAL__N_135GammaBetaBackwardCUDAKernelTemplateIddLj64ELj1ELj8ELb1ELb1ELb1EEEvllPKT_S5_PKT0_S8_PS3_S9_.num_agpr, 0
	.set _ZN2at6native12_GLOBAL__N_135GammaBetaBackwardCUDAKernelTemplateIddLj64ELj1ELj8ELb1ELb1ELb1EEEvllPKT_S5_PKT0_S8_PS3_S9_.numbered_sgpr, 30
	.set _ZN2at6native12_GLOBAL__N_135GammaBetaBackwardCUDAKernelTemplateIddLj64ELj1ELj8ELb1ELb1ELb1EEEvllPKT_S5_PKT0_S8_PS3_S9_.num_named_barrier, 0
	.set _ZN2at6native12_GLOBAL__N_135GammaBetaBackwardCUDAKernelTemplateIddLj64ELj1ELj8ELb1ELb1ELb1EEEvllPKT_S5_PKT0_S8_PS3_S9_.private_seg_size, 0
	.set _ZN2at6native12_GLOBAL__N_135GammaBetaBackwardCUDAKernelTemplateIddLj64ELj1ELj8ELb1ELb1ELb1EEEvllPKT_S5_PKT0_S8_PS3_S9_.uses_vcc, 1
	.set _ZN2at6native12_GLOBAL__N_135GammaBetaBackwardCUDAKernelTemplateIddLj64ELj1ELj8ELb1ELb1ELb1EEEvllPKT_S5_PKT0_S8_PS3_S9_.uses_flat_scratch, 0
	.set _ZN2at6native12_GLOBAL__N_135GammaBetaBackwardCUDAKernelTemplateIddLj64ELj1ELj8ELb1ELb1ELb1EEEvllPKT_S5_PKT0_S8_PS3_S9_.has_dyn_sized_stack, 0
	.set _ZN2at6native12_GLOBAL__N_135GammaBetaBackwardCUDAKernelTemplateIddLj64ELj1ELj8ELb1ELb1ELb1EEEvllPKT_S5_PKT0_S8_PS3_S9_.has_recursion, 0
	.set _ZN2at6native12_GLOBAL__N_135GammaBetaBackwardCUDAKernelTemplateIddLj64ELj1ELj8ELb1ELb1ELb1EEEvllPKT_S5_PKT0_S8_PS3_S9_.has_indirect_call, 0
	.section	.AMDGPU.csdata,"",@progbits
; Kernel info:
; codeLenInByte = 1184
; TotalNumSgprs: 34
; NumVgprs: 32
; ScratchSize: 0
; MemoryBound: 0
; FloatMode: 240
; IeeeMode: 1
; LDSByteSize: 0 bytes/workgroup (compile time only)
; SGPRBlocks: 4
; VGPRBlocks: 7
; NumSGPRsForWavesPerEU: 34
; NumVGPRsForWavesPerEU: 32
; Occupancy: 8
; WaveLimiterHint : 0
; COMPUTE_PGM_RSRC2:SCRATCH_EN: 0
; COMPUTE_PGM_RSRC2:USER_SGPR: 6
; COMPUTE_PGM_RSRC2:TRAP_HANDLER: 0
; COMPUTE_PGM_RSRC2:TGID_X_EN: 1
; COMPUTE_PGM_RSRC2:TGID_Y_EN: 1
; COMPUTE_PGM_RSRC2:TGID_Z_EN: 0
; COMPUTE_PGM_RSRC2:TIDIG_COMP_CNT: 1
	.section	.text._ZN2at6native12_GLOBAL__N_135GammaBetaBackwardCUDAKernelTemplateIddLj64ELj1ELj8ELb1ELb0ELb1EEEvllPKT_S5_PKT0_S8_PS3_S9_,"axG",@progbits,_ZN2at6native12_GLOBAL__N_135GammaBetaBackwardCUDAKernelTemplateIddLj64ELj1ELj8ELb1ELb0ELb1EEEvllPKT_S5_PKT0_S8_PS3_S9_,comdat
	.globl	_ZN2at6native12_GLOBAL__N_135GammaBetaBackwardCUDAKernelTemplateIddLj64ELj1ELj8ELb1ELb0ELb1EEEvllPKT_S5_PKT0_S8_PS3_S9_ ; -- Begin function _ZN2at6native12_GLOBAL__N_135GammaBetaBackwardCUDAKernelTemplateIddLj64ELj1ELj8ELb1ELb0ELb1EEEvllPKT_S5_PKT0_S8_PS3_S9_
	.p2align	8
	.type	_ZN2at6native12_GLOBAL__N_135GammaBetaBackwardCUDAKernelTemplateIddLj64ELj1ELj8ELb1ELb0ELb1EEEvllPKT_S5_PKT0_S8_PS3_S9_,@function
_ZN2at6native12_GLOBAL__N_135GammaBetaBackwardCUDAKernelTemplateIddLj64ELj1ELj8ELb1ELb0ELb1EEEvllPKT_S5_PKT0_S8_PS3_S9_: ; @_ZN2at6native12_GLOBAL__N_135GammaBetaBackwardCUDAKernelTemplateIddLj64ELj1ELj8ELb1ELb0ELb1EEEvllPKT_S5_PKT0_S8_PS3_S9_
; %bb.0:
	s_load_dwordx8 s[12:19], s[4:5], 0x0
	s_load_dwordx2 s[20:21], s[4:5], 0x28
	s_mov_b32 s8, s7
	s_lshl_b32 s7, s6, 6
	s_or_b32 s0, s7, 63
	v_mov_b32_e32 v2, s0
	v_mov_b32_e32 v3, 0
	s_lshl_b32 s22, s8, 3
	s_mov_b32 s23, 0
	s_waitcnt lgkmcnt(0)
	v_cmp_le_i64_e32 vcc, s[14:15], v[2:3]
	v_mov_b32_e32 v2, s22
	v_mov_b32_e32 v3, s23
	v_cmp_gt_i64_e64 s[0:1], s[12:13], v[2:3]
	v_cndmask_b32_e64 v2, 0, 1, s[0:1]
	v_cmp_ne_u32_e64 s[0:1], 1, v2
	s_cbranch_vccz .LBB122_48
; %bb.1:
	v_mov_b32_e32 v19, 0
	v_mov_b32_e32 v20, 0
	s_and_b64 vcc, exec, s[0:1]
	s_cbranch_vccnz .LBB122_49
; %bb.2:
	v_lshlrev_b32_e32 v43, 3, v1
	v_add_co_u32_e32 v9, vcc, s22, v43
	v_addc_co_u32_e64 v10, s[2:3], 0, 0, vcc
	v_mul_lo_u32 v7, s15, v9
	v_mul_lo_u32 v8, s14, v10
	v_mad_u64_u32 v[5:6], s[2:3], s14, v9, 0
	v_mov_b32_e32 v2, 0
	s_load_dword s9, s[4:5], 0x44
	v_add_u32_e32 v3, s7, v0
	v_mov_b32_e32 v4, v2
	v_add3_u32 v6, v6, v8, v7
	v_cmp_gt_i64_e64 s[2:3], s[14:15], v[3:4]
	v_lshlrev_b64 v[21:22], 3, v[3:4]
	v_lshlrev_b64 v[3:4], 3, v[5:6]
	s_add_u32 s24, s4, 64
	v_mov_b32_e32 v7, s17
	v_add_co_u32_e32 v45, vcc, s16, v3
	s_addc_u32 s25, s5, 0
	s_waitcnt lgkmcnt(0)
	s_lshl_b32 s9, s9, 3
	v_addc_co_u32_e32 v46, vcc, v7, v4, vcc
	s_mul_i32 s10, s15, s9
	s_mul_hi_u32 s11, s14, s9
	v_add_co_u32_e32 v7, vcc, 7, v9
	s_add_i32 s11, s11, s10
	s_mul_i32 s10, s14, s9
	v_addc_co_u32_e32 v8, vcc, 0, v10, vcc
	s_lshl_b64 s[26:27], s[10:11], 3
	v_mul_lo_u32 v12, s15, v7
	v_mul_lo_u32 v13, s14, v8
	v_mad_u64_u32 v[7:8], s[10:11], s14, v7, 0
	v_mov_b32_e32 v11, s19
	v_add_co_u32_e32 v47, vcc, s18, v3
	v_add3_u32 v8, v8, v13, v12
	v_addc_co_u32_e32 v48, vcc, v11, v4, vcc
	v_lshlrev_b64 v[3:4], 3, v[7:8]
	v_mov_b32_e32 v7, s17
	v_add_co_u32_e32 v49, vcc, s16, v3
	v_addc_co_u32_e32 v50, vcc, v7, v4, vcc
	v_add_co_u32_e32 v7, vcc, 6, v9
	v_addc_co_u32_e32 v8, vcc, 0, v10, vcc
	v_mul_lo_u32 v12, s15, v7
	v_mul_lo_u32 v13, s14, v8
	v_mad_u64_u32 v[7:8], s[10:11], s14, v7, 0
	v_add_co_u32_e32 v51, vcc, s18, v3
	v_add3_u32 v8, v8, v13, v12
	v_addc_co_u32_e32 v52, vcc, v11, v4, vcc
	v_lshlrev_b64 v[3:4], 3, v[7:8]
	v_mov_b32_e32 v7, s17
	v_add_co_u32_e32 v53, vcc, s16, v3
	v_addc_co_u32_e32 v54, vcc, v7, v4, vcc
	v_add_co_u32_e32 v7, vcc, 5, v9
	v_addc_co_u32_e32 v8, vcc, 0, v10, vcc
	v_mul_lo_u32 v12, s15, v7
	v_mul_lo_u32 v13, s14, v8
	v_mad_u64_u32 v[7:8], s[10:11], s14, v7, 0
	;; [unrolled: 12-line block ×5, first 2 shown]
	v_add_co_u32_e32 v67, vcc, s18, v3
	v_add3_u32 v8, v8, v10, v9
	v_addc_co_u32_e32 v68, vcc, v11, v4, vcc
	v_lshlrev_b64 v[3:4], 3, v[7:8]
	v_mov_b32_e32 v7, s17
	v_add_co_u32_e32 v69, vcc, s16, v3
	v_addc_co_u32_e32 v70, vcc, v7, v4, vcc
	v_mov_b32_e32 v7, s19
	v_add_co_u32_e32 v71, vcc, s18, v3
	v_addc_co_u32_e32 v72, vcc, v7, v4, vcc
	;; [unrolled: 3-line block ×3, first 2 shown]
	v_lshlrev_b64 v[3:4], 3, v[3:4]
	v_mov_b32_e32 v5, s17
	v_add_co_u32_e32 v73, vcc, s16, v3
	v_addc_co_u32_e32 v74, vcc, v5, v4, vcc
	v_add_co_u32_e32 v75, vcc, s18, v3
	v_mbcnt_lo_u32_b32 v3, -1, 0
	v_mbcnt_hi_u32_b32 v3, -1, v3
	v_mov_b32_e32 v5, s19
	v_mov_b32_e32 v19, 0
	v_lshlrev_b32_e32 v3, 2, v3
	v_mov_b32_e32 v44, v2
	s_mov_b64 s[28:29], 7
	v_addc_co_u32_e32 v76, vcc, v5, v4, vcc
	v_mov_b32_e32 v20, 0
	v_and_b32_e32 v77, 0x100, v3
	s_mov_b64 s[30:31], s[22:23]
	s_branch .LBB122_5
.LBB122_3:                              ;   in Loop: Header=BB122_5 Depth=1
	s_or_b64 exec, exec, s[10:11]
	s_waitcnt vmcnt(0)
	v_mul_f64 v[3:4], v[27:28], v[3:4]
	ds_bpermute_b32 v27, v77, v25
	ds_bpermute_b32 v28, v77, v26
	v_mul_f64 v[5:6], v[29:30], v[5:6]
	v_mul_f64 v[7:8], v[23:24], v[7:8]
	;; [unrolled: 1-line block ×3, first 2 shown]
	s_waitcnt lgkmcnt(0)
	v_fma_f64 v[3:4], v[3:4], v[27:28], v[19:20]
	ds_bpermute_b32 v19, v77, v25 offset:4
	ds_bpermute_b32 v20, v77, v26 offset:4
	s_waitcnt lgkmcnt(0)
	v_fma_f64 v[3:4], v[5:6], v[19:20], v[3:4]
	ds_bpermute_b32 v5, v77, v25 offset:8
	ds_bpermute_b32 v6, v77, v26 offset:8
	;; [unrolled: 4-line block ×3, first 2 shown]
	v_mul_f64 v[7:8], v[31:32], v[11:12]
	s_waitcnt lgkmcnt(0)
	v_fma_f64 v[3:4], v[9:10], v[5:6], v[3:4]
	ds_bpermute_b32 v5, v77, v25 offset:16
	ds_bpermute_b32 v6, v77, v26 offset:16
	v_mul_f64 v[9:10], v[39:40], v[13:14]
	s_waitcnt lgkmcnt(0)
	v_fma_f64 v[3:4], v[7:8], v[5:6], v[3:4]
	ds_bpermute_b32 v5, v77, v25 offset:20
	ds_bpermute_b32 v6, v77, v26 offset:20
	ds_bpermute_b32 v7, v77, v25 offset:24
	ds_bpermute_b32 v8, v77, v26 offset:24
	s_waitcnt lgkmcnt(2)
	v_fma_f64 v[3:4], v[9:10], v[5:6], v[3:4]
	v_mul_f64 v[5:6], v[37:38], v[15:16]
	s_waitcnt lgkmcnt(0)
	v_fma_f64 v[27:28], v[5:6], v[7:8], v[3:4]
	ds_bpermute_b32 v3, v77, v25 offset:28
	ds_bpermute_b32 v4, v77, v26 offset:28
.LBB122_4:                              ;   in Loop: Header=BB122_5 Depth=1
	v_mov_b32_e32 v7, s27
	v_add_co_u32_e32 v45, vcc, s26, v45
	v_addc_co_u32_e32 v46, vcc, v46, v7, vcc
	v_add_co_u32_e32 v47, vcc, s26, v47
	v_addc_co_u32_e32 v48, vcc, v48, v7, vcc
	;; [unrolled: 2-line block ×10, first 2 shown]
	v_add_co_u32_e32 v65, vcc, s26, v65
	v_mul_f64 v[5:6], v[33:34], v[17:18]
	v_addc_co_u32_e32 v66, vcc, v66, v7, vcc
	v_add_co_u32_e32 v67, vcc, s26, v67
	v_addc_co_u32_e32 v68, vcc, v68, v7, vcc
	v_add_co_u32_e32 v69, vcc, s26, v69
	;; [unrolled: 2-line block ×4, first 2 shown]
	s_waitcnt lgkmcnt(0)
	v_fma_f64 v[19:20], v[5:6], v[3:4], v[27:28]
	v_addc_co_u32_e32 v74, vcc, v74, v7, vcc
	v_add_co_u32_e32 v75, vcc, s26, v75
	v_addc_co_u32_e32 v76, vcc, v76, v7, vcc
	s_add_u32 s30, s30, s9
	v_add_co_u32_e32 v43, vcc, s9, v43
	v_mov_b32_e32 v3, s12
	s_addc_u32 s31, s31, 0
	v_addc_co_u32_e32 v44, vcc, 0, v44, vcc
	v_mov_b32_e32 v4, s13
	v_cmp_lt_i64_e32 vcc, s[30:31], v[3:4]
	s_add_u32 s28, s28, s9
	s_addc_u32 s29, 0, s29
	s_cbranch_vccz .LBB122_49
.LBB122_5:                              ; =>This Inner Loop Header: Depth=1
	s_add_u32 s10, s22, s28
	v_mov_b32_e32 v3, s12
	s_addc_u32 s11, 0, s29
	v_mov_b32_e32 v4, s13
	v_cmp_ge_i64_e32 vcc, s[10:11], v[3:4]
	v_add_co_u32_e64 v23, s[10:11], s22, v43
	v_addc_co_u32_e64 v24, s[10:11], 0, v44, s[10:11]
	s_mov_b64 s[10:11], -1
	s_and_b64 vcc, exec, vcc
                                        ; implicit-def: $vgpr3_vgpr4_vgpr5_vgpr6_vgpr7_vgpr8_vgpr9_vgpr10_vgpr11_vgpr12_vgpr13_vgpr14_vgpr15_vgpr16_vgpr17_vgpr18
                                        ; implicit-def: $vgpr27_vgpr28
                                        ; implicit-def: $vgpr33_vgpr34
                                        ; implicit-def: $vgpr3
	s_cbranch_vccz .LBB122_27
; %bb.6:                                ;   in Loop: Header=BB122_5 Depth=1
	s_load_dword s10, s[24:25], 0xc
	v_mov_b32_e32 v27, 0
	v_mov_b32_e32 v25, 0
	;; [unrolled: 1-line block ×4, first 2 shown]
	s_waitcnt lgkmcnt(0)
	s_and_b32 s10, s10, 0xffff
	v_mad_u32_u24 v3, v1, s10, v0
	v_and_b32_e32 v3, 63, v3
	v_cmp_gt_u32_e32 vcc, 8, v3
	s_and_saveexec_b64 s[10:11], vcc
	s_cbranch_execz .LBB122_10
; %bb.7:                                ;   in Loop: Header=BB122_5 Depth=1
	v_add_co_u32_e32 v3, vcc, v23, v3
	v_addc_co_u32_e32 v4, vcc, 0, v24, vcc
	v_cmp_gt_i64_e32 vcc, s[12:13], v[3:4]
	v_mov_b32_e32 v25, 0
	v_mov_b32_e32 v26, 0
	s_and_saveexec_b64 s[34:35], vcc
	s_cbranch_execz .LBB122_9
; %bb.8:                                ;   in Loop: Header=BB122_5 Depth=1
	v_lshlrev_b64 v[3:4], 3, v[3:4]
	v_mov_b32_e32 v5, s21
	v_add_co_u32_e32 v3, vcc, s20, v3
	v_addc_co_u32_e32 v4, vcc, v5, v4, vcc
	global_load_dwordx2 v[25:26], v[3:4], off
.LBB122_9:                              ;   in Loop: Header=BB122_5 Depth=1
	s_or_b64 exec, exec, s[34:35]
.LBB122_10:                             ;   in Loop: Header=BB122_5 Depth=1
	s_or_b64 exec, exec, s[10:11]
	v_cmp_gt_i64_e32 vcc, s[12:13], v[23:24]
	v_mov_b32_e32 v3, v2
	v_mov_b32_e32 v4, v2
	;; [unrolled: 1-line block ×31, first 2 shown]
	s_and_b64 s[34:35], s[2:3], vcc
	s_and_saveexec_b64 s[10:11], s[34:35]
	s_cbranch_execz .LBB122_12
; %bb.11:                               ;   in Loop: Header=BB122_5 Depth=1
	v_add_co_u32_e32 v3, vcc, v45, v21
	v_addc_co_u32_e32 v4, vcc, v46, v22, vcc
	v_add_co_u32_e32 v5, vcc, v47, v21
	v_addc_co_u32_e32 v6, vcc, v48, v22, vcc
	global_load_dwordx2 v[3:4], v[3:4], off
	v_mov_b32_e32 v7, v2
	global_load_dwordx2 v[27:28], v[5:6], off
	v_mov_b32_e32 v5, v2
	v_mov_b32_e32 v6, v2
	v_mov_b32_e32 v8, v2
	v_mov_b32_e32 v9, v2
	v_mov_b32_e32 v10, v2
	v_mov_b32_e32 v11, v2
	v_mov_b32_e32 v12, v2
	v_mov_b32_e32 v13, v2
	v_mov_b32_e32 v14, v2
	v_mov_b32_e32 v15, v2
	v_mov_b32_e32 v16, v2
	v_mov_b32_e32 v17, v2
	v_mov_b32_e32 v18, v2
.LBB122_12:                             ;   in Loop: Header=BB122_5 Depth=1
	s_or_b64 exec, exec, s[10:11]
	v_add_co_u32_e32 v29, vcc, 1, v23
	v_addc_co_u32_e32 v30, vcc, 0, v24, vcc
	v_cmp_gt_i64_e32 vcc, s[12:13], v[29:30]
	v_mov_b32_e32 v29, 0
	v_mov_b32_e32 v31, 0
	v_mov_b32_e32 v30, 0
	v_mov_b32_e32 v32, 0
	s_and_b64 s[34:35], s[2:3], vcc
	s_and_saveexec_b64 s[10:11], s[34:35]
	s_cbranch_execz .LBB122_14
; %bb.13:                               ;   in Loop: Header=BB122_5 Depth=1
	v_add_co_u32_e32 v5, vcc, v73, v21
	v_addc_co_u32_e32 v6, vcc, v74, v22, vcc
	v_add_co_u32_e32 v31, vcc, v75, v21
	v_addc_co_u32_e32 v32, vcc, v76, v22, vcc
	global_load_dwordx2 v[5:6], v[5:6], off
	s_nop 0
	global_load_dwordx2 v[31:32], v[31:32], off
.LBB122_14:                             ;   in Loop: Header=BB122_5 Depth=1
	s_or_b64 exec, exec, s[10:11]
	v_add_co_u32_e32 v33, vcc, 2, v23
	v_addc_co_u32_e32 v34, vcc, 0, v24, vcc
	v_cmp_gt_i64_e32 vcc, s[12:13], v[33:34]
	s_and_b64 s[34:35], s[2:3], vcc
	s_and_saveexec_b64 s[10:11], s[34:35]
	s_cbranch_execz .LBB122_16
; %bb.15:                               ;   in Loop: Header=BB122_5 Depth=1
	v_add_co_u32_e32 v7, vcc, v69, v21
	v_addc_co_u32_e32 v8, vcc, v70, v22, vcc
	v_add_co_u32_e32 v29, vcc, v71, v21
	v_addc_co_u32_e32 v30, vcc, v72, v22, vcc
	global_load_dwordx2 v[7:8], v[7:8], off
	s_nop 0
	global_load_dwordx2 v[29:30], v[29:30], off
.LBB122_16:                             ;   in Loop: Header=BB122_5 Depth=1
	s_or_b64 exec, exec, s[10:11]
	v_add_co_u32_e32 v33, vcc, 3, v23
	v_addc_co_u32_e32 v34, vcc, 0, v24, vcc
	v_cmp_gt_i64_e32 vcc, s[12:13], v[33:34]
	v_mov_b32_e32 v35, 0
	v_mov_b32_e32 v37, 0
	v_mov_b32_e32 v36, 0
	v_mov_b32_e32 v38, 0
	s_and_b64 s[34:35], s[2:3], vcc
	s_and_saveexec_b64 s[10:11], s[34:35]
	s_cbranch_execz .LBB122_18
; %bb.17:                               ;   in Loop: Header=BB122_5 Depth=1
	v_add_co_u32_e32 v9, vcc, v65, v21
	v_addc_co_u32_e32 v10, vcc, v66, v22, vcc
	v_add_co_u32_e32 v33, vcc, v67, v21
	v_addc_co_u32_e32 v34, vcc, v68, v22, vcc
	global_load_dwordx2 v[9:10], v[9:10], off
	s_nop 0
	global_load_dwordx2 v[37:38], v[33:34], off
.LBB122_18:                             ;   in Loop: Header=BB122_5 Depth=1
	s_or_b64 exec, exec, s[10:11]
	v_add_co_u32_e32 v33, vcc, 4, v23
	v_addc_co_u32_e32 v34, vcc, 0, v24, vcc
	v_cmp_gt_i64_e32 vcc, s[12:13], v[33:34]
	s_and_b64 s[34:35], s[2:3], vcc
	s_and_saveexec_b64 s[10:11], s[34:35]
	s_cbranch_execz .LBB122_20
; %bb.19:                               ;   in Loop: Header=BB122_5 Depth=1
	v_add_co_u32_e32 v11, vcc, v61, v21
	v_addc_co_u32_e32 v12, vcc, v62, v22, vcc
	v_add_co_u32_e32 v33, vcc, v63, v21
	v_addc_co_u32_e32 v34, vcc, v64, v22, vcc
	global_load_dwordx2 v[11:12], v[11:12], off
	s_nop 0
	global_load_dwordx2 v[35:36], v[33:34], off
.LBB122_20:                             ;   in Loop: Header=BB122_5 Depth=1
	;; [unrolled: 36-line block ×3, first 2 shown]
	s_or_b64 exec, exec, s[10:11]
	v_add_co_u32_e32 v33, vcc, 7, v23
	v_addc_co_u32_e32 v34, vcc, 0, v24, vcc
	v_cmp_gt_i64_e32 vcc, s[12:13], v[33:34]
	v_mov_b32_e32 v33, 0
	v_mov_b32_e32 v34, 0
	s_and_b64 s[34:35], s[2:3], vcc
	s_and_saveexec_b64 s[10:11], s[34:35]
	s_cbranch_execz .LBB122_26
; %bb.25:                               ;   in Loop: Header=BB122_5 Depth=1
	v_add_co_u32_e32 v17, vcc, v49, v21
	v_addc_co_u32_e32 v18, vcc, v50, v22, vcc
	v_add_co_u32_e32 v33, vcc, v51, v21
	v_addc_co_u32_e32 v34, vcc, v52, v22, vcc
	global_load_dwordx2 v[17:18], v[17:18], off
	s_nop 0
	global_load_dwordx2 v[33:34], v[33:34], off
.LBB122_26:                             ;   in Loop: Header=BB122_5 Depth=1
	s_or_b64 exec, exec, s[10:11]
	s_waitcnt vmcnt(0)
	v_mul_f64 v[3:4], v[27:28], v[3:4]
	ds_bpermute_b32 v27, v77, v25
	ds_bpermute_b32 v28, v77, v26
	v_mul_f64 v[5:6], v[31:32], v[5:6]
	v_mul_f64 v[7:8], v[29:30], v[7:8]
	;; [unrolled: 1-line block ×3, first 2 shown]
	s_mov_b64 s[10:11], 0
	s_waitcnt lgkmcnt(0)
	v_fma_f64 v[3:4], v[3:4], v[27:28], v[19:20]
	ds_bpermute_b32 v27, v77, v25 offset:4
	ds_bpermute_b32 v28, v77, v26 offset:4
	s_waitcnt lgkmcnt(0)
	v_fma_f64 v[3:4], v[5:6], v[27:28], v[3:4]
	ds_bpermute_b32 v5, v77, v25 offset:8
	ds_bpermute_b32 v6, v77, v26 offset:8
	;; [unrolled: 4-line block ×3, first 2 shown]
	v_mul_f64 v[7:8], v[35:36], v[11:12]
	s_waitcnt lgkmcnt(0)
	v_fma_f64 v[3:4], v[9:10], v[5:6], v[3:4]
	ds_bpermute_b32 v5, v77, v25 offset:16
	ds_bpermute_b32 v6, v77, v26 offset:16
	v_mul_f64 v[9:10], v[41:42], v[13:14]
	s_waitcnt lgkmcnt(0)
	v_fma_f64 v[3:4], v[7:8], v[5:6], v[3:4]
	ds_bpermute_b32 v5, v77, v25 offset:20
	ds_bpermute_b32 v6, v77, v26 offset:20
	;; [unrolled: 1-line block ×4, first 2 shown]
	s_waitcnt lgkmcnt(2)
	v_fma_f64 v[3:4], v[9:10], v[5:6], v[3:4]
	v_mul_f64 v[5:6], v[39:40], v[15:16]
	s_waitcnt lgkmcnt(0)
	v_fma_f64 v[27:28], v[5:6], v[7:8], v[3:4]
	ds_bpermute_b32 v3, v77, v25 offset:28
	ds_bpermute_b32 v4, v77, v26 offset:28
.LBB122_27:                             ;   in Loop: Header=BB122_5 Depth=1
	s_and_b64 vcc, exec, s[10:11]
	s_cbranch_vccz .LBB122_4
; %bb.28:                               ;   in Loop: Header=BB122_5 Depth=1
	s_load_dword s10, s[24:25], 0x0
	v_mov_b32_e32 v27, 0
	v_mov_b32_e32 v25, 0
	;; [unrolled: 1-line block ×4, first 2 shown]
	s_waitcnt lgkmcnt(0)
	s_cmp_lt_u32 s6, s10
	s_cselect_b32 s10, 12, 18
	s_add_u32 s10, s24, s10
	s_addc_u32 s11, s25, 0
	global_load_ushort v3, v2, s[10:11]
	s_waitcnt vmcnt(0)
	v_mad_u32_u24 v3, v1, v3, v0
	v_and_b32_e32 v3, 63, v3
	v_cmp_gt_u32_e32 vcc, 8, v3
	s_and_saveexec_b64 s[10:11], vcc
	s_cbranch_execz .LBB122_32
; %bb.29:                               ;   in Loop: Header=BB122_5 Depth=1
	v_add_co_u32_e32 v3, vcc, v23, v3
	v_addc_co_u32_e32 v4, vcc, 0, v24, vcc
	v_cmp_gt_i64_e32 vcc, s[12:13], v[3:4]
	v_mov_b32_e32 v25, 0
	v_mov_b32_e32 v26, 0
	s_and_saveexec_b64 s[34:35], vcc
	s_cbranch_execz .LBB122_31
; %bb.30:                               ;   in Loop: Header=BB122_5 Depth=1
	v_lshlrev_b64 v[3:4], 3, v[3:4]
	v_mov_b32_e32 v5, s21
	v_add_co_u32_e32 v3, vcc, s20, v3
	v_addc_co_u32_e32 v4, vcc, v5, v4, vcc
	global_load_dwordx2 v[25:26], v[3:4], off
.LBB122_31:                             ;   in Loop: Header=BB122_5 Depth=1
	s_or_b64 exec, exec, s[34:35]
.LBB122_32:                             ;   in Loop: Header=BB122_5 Depth=1
	s_or_b64 exec, exec, s[10:11]
	v_mov_b32_e32 v3, v2
	v_mov_b32_e32 v4, v2
	;; [unrolled: 1-line block ×31, first 2 shown]
	s_and_saveexec_b64 s[10:11], s[2:3]
	s_cbranch_execz .LBB122_34
; %bb.33:                               ;   in Loop: Header=BB122_5 Depth=1
	v_add_co_u32_e32 v3, vcc, v45, v21
	v_addc_co_u32_e32 v4, vcc, v46, v22, vcc
	v_add_co_u32_e32 v5, vcc, v47, v21
	v_addc_co_u32_e32 v6, vcc, v48, v22, vcc
	global_load_dwordx2 v[3:4], v[3:4], off
	v_mov_b32_e32 v7, v2
	global_load_dwordx2 v[27:28], v[5:6], off
	v_mov_b32_e32 v5, v2
	v_mov_b32_e32 v6, v2
	;; [unrolled: 1-line block ×13, first 2 shown]
.LBB122_34:                             ;   in Loop: Header=BB122_5 Depth=1
	s_or_b64 exec, exec, s[10:11]
	v_mov_b32_e32 v23, 0
	v_mov_b32_e32 v29, 0
	v_mov_b32_e32 v24, 0
	v_mov_b32_e32 v30, 0
	s_and_saveexec_b64 s[10:11], s[2:3]
	s_cbranch_execz .LBB122_36
; %bb.35:                               ;   in Loop: Header=BB122_5 Depth=1
	v_add_co_u32_e32 v5, vcc, v73, v21
	v_addc_co_u32_e32 v6, vcc, v74, v22, vcc
	v_add_co_u32_e32 v29, vcc, v75, v21
	v_addc_co_u32_e32 v30, vcc, v76, v22, vcc
	global_load_dwordx2 v[5:6], v[5:6], off
	s_nop 0
	global_load_dwordx2 v[29:30], v[29:30], off
.LBB122_36:                             ;   in Loop: Header=BB122_5 Depth=1
	s_or_b64 exec, exec, s[10:11]
	s_and_saveexec_b64 s[10:11], s[2:3]
	s_cbranch_execz .LBB122_38
; %bb.37:                               ;   in Loop: Header=BB122_5 Depth=1
	v_add_co_u32_e32 v7, vcc, v69, v21
	v_addc_co_u32_e32 v8, vcc, v70, v22, vcc
	v_add_co_u32_e32 v23, vcc, v71, v21
	v_addc_co_u32_e32 v24, vcc, v72, v22, vcc
	global_load_dwordx2 v[7:8], v[7:8], off
	s_nop 0
	global_load_dwordx2 v[23:24], v[23:24], off
.LBB122_38:                             ;   in Loop: Header=BB122_5 Depth=1
	s_or_b64 exec, exec, s[10:11]
	v_mov_b32_e32 v31, 0
	v_mov_b32_e32 v35, 0
	v_mov_b32_e32 v32, 0
	v_mov_b32_e32 v36, 0
	s_and_saveexec_b64 s[10:11], s[2:3]
	s_cbranch_execz .LBB122_40
; %bb.39:                               ;   in Loop: Header=BB122_5 Depth=1
	v_add_co_u32_e32 v9, vcc, v65, v21
	v_addc_co_u32_e32 v10, vcc, v66, v22, vcc
	v_add_co_u32_e32 v33, vcc, v67, v21
	v_addc_co_u32_e32 v34, vcc, v68, v22, vcc
	global_load_dwordx2 v[9:10], v[9:10], off
	s_nop 0
	global_load_dwordx2 v[35:36], v[33:34], off
.LBB122_40:                             ;   in Loop: Header=BB122_5 Depth=1
	s_or_b64 exec, exec, s[10:11]
	s_and_saveexec_b64 s[10:11], s[2:3]
	s_cbranch_execz .LBB122_42
; %bb.41:                               ;   in Loop: Header=BB122_5 Depth=1
	v_add_co_u32_e32 v11, vcc, v61, v21
	v_addc_co_u32_e32 v12, vcc, v62, v22, vcc
	v_add_co_u32_e32 v31, vcc, v63, v21
	v_addc_co_u32_e32 v32, vcc, v64, v22, vcc
	global_load_dwordx2 v[11:12], v[11:12], off
	s_nop 0
	global_load_dwordx2 v[31:32], v[31:32], off
.LBB122_42:                             ;   in Loop: Header=BB122_5 Depth=1
	;; [unrolled: 28-line block ×3, first 2 shown]
	s_or_b64 exec, exec, s[10:11]
	v_mov_b32_e32 v33, 0
	v_mov_b32_e32 v34, 0
	s_and_saveexec_b64 s[10:11], s[2:3]
	s_cbranch_execz .LBB122_3
; %bb.47:                               ;   in Loop: Header=BB122_5 Depth=1
	v_add_co_u32_e32 v17, vcc, v49, v21
	v_addc_co_u32_e32 v18, vcc, v50, v22, vcc
	v_add_co_u32_e32 v33, vcc, v51, v21
	v_addc_co_u32_e32 v34, vcc, v52, v22, vcc
	global_load_dwordx2 v[17:18], v[17:18], off
	s_nop 0
	global_load_dwordx2 v[33:34], v[33:34], off
	s_branch .LBB122_3
.LBB122_48:
                                        ; implicit-def: $vgpr19_vgpr20
	s_load_dwordx2 s[2:3], s[4:5], 0x30
	s_branch .LBB122_50
.LBB122_49:
	s_load_dwordx2 s[2:3], s[4:5], 0x30
	s_cbranch_execnz .LBB122_82
.LBB122_50:
	v_mov_b32_e32 v19, 0
	v_mov_b32_e32 v20, 0
	s_and_b64 vcc, exec, s[0:1]
	s_cbranch_vccnz .LBB122_82
; %bb.51:
	v_lshlrev_b32_e32 v71, 3, v1
	v_add_co_u32_e32 v8, vcc, s22, v71
	v_addc_co_u32_e64 v9, s[0:1], 0, 0, vcc
	v_mul_lo_u32 v4, s15, v8
	v_mul_lo_u32 v5, s14, v9
	v_mad_u64_u32 v[2:3], s[0:1], s14, v8, 0
	v_mov_b32_e32 v6, s17
	s_add_u32 s10, s4, 64
	v_add3_u32 v3, v3, v5, v4
	v_lshlrev_b64 v[4:5], 3, v[2:3]
	s_addc_u32 s11, s5, 0
	v_add_co_u32_e32 v72, vcc, s16, v4
	v_addc_co_u32_e32 v73, vcc, v6, v5, vcc
	v_mov_b32_e32 v6, s19
	v_add_co_u32_e32 v74, vcc, s18, v4
	v_addc_co_u32_e32 v75, vcc, v6, v5, vcc
	v_lshlrev_b32_e32 v4, 6, v1
	s_lshl_b64 s[0:1], s[22:23], 3
	v_mov_b32_e32 v5, s1
	v_add_co_u32_e32 v10, vcc, s0, v4
	v_addc_co_u32_e32 v11, vcc, 0, v5, vcc
	v_add_co_u32_e32 v12, vcc, 8, v10
	v_addc_co_u32_e32 v6, vcc, 0, v11, vcc
	v_mov_b32_e32 v4, s16
	v_mul_lo_u32 v14, s14, v6
	v_mov_b32_e32 v6, s18
	v_mov_b32_e32 v5, s17
	;; [unrolled: 1-line block ×3, first 2 shown]
	v_mad_u64_u32 v[21:22], s[0:1], s14, v12, v[4:5]
	v_mul_lo_u32 v15, s15, v12
	v_mad_u64_u32 v[23:24], s[0:1], s14, v12, v[6:7]
	v_add_co_u32_e32 v12, vcc, 16, v10
	v_addc_co_u32_e32 v16, vcc, 0, v11, vcc
	v_mov_b32_e32 v13, s15
	v_add_co_u32_e32 v2, vcc, s14, v2
	v_addc_co_u32_e32 v3, vcc, v3, v13, vcc
	v_mul_lo_u32 v17, s15, v12
	v_mad_u64_u32 v[25:26], s[0:1], s14, v12, v[4:5]
	v_mad_u64_u32 v[27:28], s[0:1], s14, v12, v[6:7]
	v_add_co_u32_e32 v12, vcc, 24, v10
	v_addc_co_u32_e32 v13, vcc, 0, v11, vcc
	v_add3_u32 v22, v15, v22, v14
	v_add3_u32 v24, v15, v24, v14
	v_mul_lo_u32 v13, s14, v13
	v_mul_lo_u32 v14, s15, v12
	v_mad_u64_u32 v[29:30], s[0:1], s14, v12, v[4:5]
	v_mad_u64_u32 v[31:32], s[0:1], s14, v12, v[6:7]
	v_add_co_u32_e32 v12, vcc, 32, v10
	v_mul_lo_u32 v16, s14, v16
	v_addc_co_u32_e32 v15, vcc, 0, v11, vcc
	v_mul_lo_u32 v18, s15, v12
	v_mad_u64_u32 v[33:34], s[0:1], s14, v12, v[4:5]
	v_mad_u64_u32 v[35:36], s[0:1], s14, v12, v[6:7]
	v_add_co_u32_e32 v12, vcc, 40, v10
	v_add3_u32 v30, v14, v30, v13
	v_add3_u32 v32, v14, v32, v13
	v_addc_co_u32_e32 v13, vcc, 0, v11, vcc
	v_mul_lo_u32 v14, s15, v12
	v_mad_u64_u32 v[37:38], s[0:1], s14, v12, v[4:5]
	v_mad_u64_u32 v[39:40], s[0:1], s14, v12, v[6:7]
	v_add_co_u32_e32 v12, vcc, 48, v10
	v_add3_u32 v26, v17, v26, v16
	v_add3_u32 v28, v17, v28, v16
	v_addc_co_u32_e32 v16, vcc, 0, v11, vcc
	v_add_co_u32_e32 v10, vcc, 56, v10
	v_addc_co_u32_e32 v11, vcc, 0, v11, vcc
	v_mad_u64_u32 v[41:42], s[0:1], s14, v12, v[4:5]
	v_mad_u64_u32 v[45:46], s[0:1], s14, v10, v[4:5]
	v_add_co_u32_e32 v4, vcc, 7, v8
	v_addc_co_u32_e32 v5, vcc, 0, v9, vcc
	v_mad_u64_u32 v[43:44], s[0:1], s14, v12, v[6:7]
	v_mad_u64_u32 v[47:48], s[0:1], s14, v10, v[6:7]
	v_mul_lo_u32 v6, s15, v10
	v_mul_lo_u32 v7, s14, v5
	;; [unrolled: 1-line block ×3, first 2 shown]
	v_mad_u64_u32 v[4:5], s[0:1], s14, v4, 0
	v_mul_lo_u32 v11, s14, v11
	v_mul_lo_u32 v17, s15, v12
	v_add3_u32 v5, v5, v7, v10
	v_lshlrev_b64 v[4:5], 3, v[4:5]
	v_add3_u32 v46, v6, v46, v11
	v_add3_u32 v48, v6, v48, v11
	v_mov_b32_e32 v6, s17
	v_add_co_u32_e32 v76, vcc, s16, v4
	v_addc_co_u32_e32 v77, vcc, v6, v5, vcc
	v_add_co_u32_e32 v6, vcc, 6, v8
	v_addc_co_u32_e32 v7, vcc, 0, v9, vcc
	v_mul_lo_u32 v11, s14, v7
	v_mul_lo_u32 v12, s15, v6
	v_mad_u64_u32 v[6:7], s[0:1], s14, v6, 0
	v_mov_b32_e32 v10, s19
	v_add_co_u32_e32 v78, vcc, s18, v4
	v_add3_u32 v7, v7, v11, v12
	v_addc_co_u32_e32 v79, vcc, v10, v5, vcc
	v_lshlrev_b64 v[4:5], 3, v[6:7]
	v_mov_b32_e32 v6, s17
	v_add_co_u32_e32 v80, vcc, s16, v4
	v_addc_co_u32_e32 v81, vcc, v6, v5, vcc
	v_add_co_u32_e32 v6, vcc, 5, v8
	v_addc_co_u32_e32 v7, vcc, 0, v9, vcc
	v_mul_lo_u32 v11, s14, v7
	v_mul_lo_u32 v12, s15, v6
	v_mad_u64_u32 v[6:7], s[0:1], s14, v6, 0
	v_add_co_u32_e32 v82, vcc, s18, v4
	v_add3_u32 v7, v7, v11, v12
	v_addc_co_u32_e32 v83, vcc, v10, v5, vcc
	v_lshlrev_b64 v[4:5], 3, v[6:7]
	v_mov_b32_e32 v6, s17
	v_add_co_u32_e32 v84, vcc, s16, v4
	v_addc_co_u32_e32 v85, vcc, v6, v5, vcc
	v_add_co_u32_e32 v6, vcc, 4, v8
	v_addc_co_u32_e32 v7, vcc, 0, v9, vcc
	v_mul_lo_u32 v11, s14, v7
	v_mul_lo_u32 v12, s15, v6
	v_mad_u64_u32 v[6:7], s[0:1], s14, v6, 0
	;; [unrolled: 12-line block ×4, first 2 shown]
	v_add_co_u32_e32 v94, vcc, s18, v4
	v_add3_u32 v7, v7, v8, v9
	v_addc_co_u32_e32 v95, vcc, v10, v5, vcc
	v_lshlrev_b64 v[4:5], 3, v[6:7]
	v_mov_b32_e32 v6, s17
	v_add_co_u32_e32 v96, vcc, s16, v4
	v_addc_co_u32_e32 v97, vcc, v6, v5, vcc
	v_mov_b32_e32 v6, s19
	v_add_co_u32_e32 v98, vcc, s18, v4
	v_lshlrev_b64 v[2:3], 3, v[2:3]
	v_addc_co_u32_e32 v99, vcc, v6, v5, vcc
	s_load_dword s0, s[4:5], 0x44
	v_mov_b32_e32 v4, s17
	v_add_co_u32_e32 v100, vcc, s16, v2
	v_addc_co_u32_e32 v101, vcc, v4, v3, vcc
	v_mov_b32_e32 v4, s19
	v_add_co_u32_e32 v102, vcc, s18, v2
	v_mov_b32_e32 v2, 0
	v_mul_lo_u32 v15, s14, v15
	v_mul_lo_u32 v13, s14, v13
	;; [unrolled: 1-line block ×3, first 2 shown]
	v_addc_co_u32_e32 v103, vcc, v4, v3, vcc
	v_add_u32_e32 v3, s7, v0
	v_mov_b32_e32 v4, v2
	s_waitcnt lgkmcnt(0)
	s_lshl_b32 s7, s0, 3
	v_lshlrev_b64 v[49:50], 3, v[3:4]
	v_mbcnt_lo_u32_b32 v3, -1, 0
	s_mul_i32 s0, s15, s7
	s_mul_hi_u32 s1, s14, s7
	v_mbcnt_hi_u32_b32 v3, -1, v3
	s_add_i32 s1, s1, s0
	s_mul_i32 s0, s14, s7
	v_lshlrev_b32_e32 v3, 2, v3
	v_mov_b32_e32 v51, 0
	v_add3_u32 v34, v18, v34, v15
	v_add3_u32 v36, v18, v36, v15
	v_add3_u32 v38, v14, v38, v13
	v_add3_u32 v40, v14, v40, v13
	v_add3_u32 v42, v17, v42, v16
	v_add3_u32 v44, v17, v44, v16
	s_lshl_b64 s[16:17], s[0:1], 3
	s_mov_b64 s[18:19], 7
	v_and_b32_e32 v104, 0x100, v3
	s_mov_b64 s[24:25], s[22:23]
	v_mov_b32_e32 v52, 0
	v_mov_b32_e32 v105, v2
.LBB122_52:                             ; =>This Inner Loop Header: Depth=1
	s_add_u32 s0, s22, s18
	v_mov_b32_e32 v3, s12
	s_addc_u32 s1, 0, s19
	v_mov_b32_e32 v4, s13
	v_cmp_ge_i64_e32 vcc, s[0:1], v[3:4]
	v_add_co_u32_e64 v53, s[0:1], s22, v71
	v_addc_co_u32_e64 v54, s[0:1], 0, v105, s[0:1]
	s_mov_b64 s[0:1], -1
                                        ; implicit-def: $vgpr19_vgpr20
	s_cbranch_vccz .LBB122_74
; %bb.53:                               ;   in Loop: Header=BB122_52 Depth=1
	s_load_dword s0, s[10:11], 0xc
	v_mov_b32_e32 v55, 0
	v_mov_b32_e32 v19, 0
	;; [unrolled: 1-line block ×4, first 2 shown]
	s_waitcnt lgkmcnt(0)
	s_and_b32 s0, s0, 0xffff
	v_mad_u32_u24 v3, v1, s0, v0
	v_and_b32_e32 v3, 63, v3
	v_cmp_gt_u32_e32 vcc, 8, v3
	s_and_saveexec_b64 s[0:1], vcc
	s_cbranch_execz .LBB122_57
; %bb.54:                               ;   in Loop: Header=BB122_52 Depth=1
	v_add_co_u32_e32 v3, vcc, v53, v3
	v_addc_co_u32_e32 v4, vcc, 0, v54, vcc
	v_cmp_gt_i64_e32 vcc, s[12:13], v[3:4]
	v_mov_b32_e32 v19, 0
	v_mov_b32_e32 v20, 0
	s_and_saveexec_b64 s[26:27], vcc
	s_cbranch_execz .LBB122_56
; %bb.55:                               ;   in Loop: Header=BB122_52 Depth=1
	v_lshlrev_b64 v[3:4], 3, v[3:4]
	v_mov_b32_e32 v5, s21
	v_add_co_u32_e32 v3, vcc, s20, v3
	v_addc_co_u32_e32 v4, vcc, v5, v4, vcc
	global_load_dwordx2 v[19:20], v[3:4], off
.LBB122_56:                             ;   in Loop: Header=BB122_52 Depth=1
	s_or_b64 exec, exec, s[26:27]
.LBB122_57:                             ;   in Loop: Header=BB122_52 Depth=1
	s_or_b64 exec, exec, s[0:1]
	v_mov_b32_e32 v3, v2
	v_mov_b32_e32 v4, v2
	;; [unrolled: 1-line block ×15, first 2 shown]
	v_cmp_gt_i64_e32 vcc, s[12:13], v[53:54]
	v_mov_b32_e32 v18, v17
	v_mov_b32_e32 v17, v16
	;; [unrolled: 1-line block ×16, first 2 shown]
	s_and_saveexec_b64 s[0:1], vcc
	s_cbranch_execz .LBB122_59
; %bb.58:                               ;   in Loop: Header=BB122_52 Depth=1
	v_add_co_u32_e32 v3, vcc, v72, v49
	v_addc_co_u32_e32 v4, vcc, v73, v50, vcc
	v_add_co_u32_e32 v5, vcc, v74, v49
	v_addc_co_u32_e32 v6, vcc, v75, v50, vcc
	global_load_dwordx2 v[3:4], v[3:4], off
	v_mov_b32_e32 v7, v2
	global_load_dwordx2 v[55:56], v[5:6], off
	v_mov_b32_e32 v5, v2
	v_mov_b32_e32 v6, v2
	;; [unrolled: 1-line block ×13, first 2 shown]
.LBB122_59:                             ;   in Loop: Header=BB122_52 Depth=1
	s_or_b64 exec, exec, s[0:1]
	v_add_co_u32_e32 v57, vcc, 1, v53
	v_addc_co_u32_e32 v58, vcc, 0, v54, vcc
	v_cmp_gt_i64_e32 vcc, s[12:13], v[57:58]
	v_mov_b32_e32 v57, 0
	v_mov_b32_e32 v59, 0
	v_mov_b32_e32 v58, 0
	v_mov_b32_e32 v60, 0
	s_and_saveexec_b64 s[0:1], vcc
	s_cbranch_execz .LBB122_61
; %bb.60:                               ;   in Loop: Header=BB122_52 Depth=1
	v_add_co_u32_e32 v5, vcc, v100, v49
	v_addc_co_u32_e32 v6, vcc, v101, v50, vcc
	v_add_co_u32_e32 v59, vcc, v102, v49
	v_addc_co_u32_e32 v60, vcc, v103, v50, vcc
	global_load_dwordx2 v[5:6], v[5:6], off
	s_nop 0
	global_load_dwordx2 v[59:60], v[59:60], off
.LBB122_61:                             ;   in Loop: Header=BB122_52 Depth=1
	s_or_b64 exec, exec, s[0:1]
	v_add_co_u32_e32 v61, vcc, 2, v53
	v_addc_co_u32_e32 v62, vcc, 0, v54, vcc
	v_cmp_gt_i64_e32 vcc, s[12:13], v[61:62]
	s_and_saveexec_b64 s[0:1], vcc
	s_cbranch_execz .LBB122_63
; %bb.62:                               ;   in Loop: Header=BB122_52 Depth=1
	v_add_co_u32_e32 v7, vcc, v96, v49
	v_addc_co_u32_e32 v8, vcc, v97, v50, vcc
	v_add_co_u32_e32 v57, vcc, v98, v49
	v_addc_co_u32_e32 v58, vcc, v99, v50, vcc
	global_load_dwordx2 v[7:8], v[7:8], off
	s_nop 0
	global_load_dwordx2 v[57:58], v[57:58], off
.LBB122_63:                             ;   in Loop: Header=BB122_52 Depth=1
	s_or_b64 exec, exec, s[0:1]
	v_add_co_u32_e32 v61, vcc, 3, v53
	v_addc_co_u32_e32 v62, vcc, 0, v54, vcc
	v_cmp_gt_i64_e32 vcc, s[12:13], v[61:62]
	v_mov_b32_e32 v61, 0
	v_mov_b32_e32 v63, 0
	v_mov_b32_e32 v62, 0
	v_mov_b32_e32 v64, 0
	s_and_saveexec_b64 s[0:1], vcc
	s_cbranch_execz .LBB122_65
; %bb.64:                               ;   in Loop: Header=BB122_52 Depth=1
	v_add_co_u32_e32 v9, vcc, v92, v49
	v_addc_co_u32_e32 v10, vcc, v93, v50, vcc
	v_add_co_u32_e32 v63, vcc, v94, v49
	v_addc_co_u32_e32 v64, vcc, v95, v50, vcc
	global_load_dwordx2 v[9:10], v[9:10], off
	s_nop 0
	global_load_dwordx2 v[63:64], v[63:64], off
.LBB122_65:                             ;   in Loop: Header=BB122_52 Depth=1
	s_or_b64 exec, exec, s[0:1]
	v_add_co_u32_e32 v65, vcc, 4, v53
	v_addc_co_u32_e32 v66, vcc, 0, v54, vcc
	v_cmp_gt_i64_e32 vcc, s[12:13], v[65:66]
	s_and_saveexec_b64 s[0:1], vcc
	s_cbranch_execz .LBB122_67
; %bb.66:                               ;   in Loop: Header=BB122_52 Depth=1
	v_add_co_u32_e32 v11, vcc, v88, v49
	v_addc_co_u32_e32 v12, vcc, v89, v50, vcc
	v_add_co_u32_e32 v61, vcc, v90, v49
	v_addc_co_u32_e32 v62, vcc, v91, v50, vcc
	global_load_dwordx2 v[11:12], v[11:12], off
	s_nop 0
	global_load_dwordx2 v[61:62], v[61:62], off
.LBB122_67:                             ;   in Loop: Header=BB122_52 Depth=1
	;; [unrolled: 34-line block ×3, first 2 shown]
	s_or_b64 exec, exec, s[0:1]
	v_add_co_u32_e32 v69, vcc, 7, v53
	v_addc_co_u32_e32 v70, vcc, 0, v54, vcc
	v_cmp_gt_i64_e32 vcc, s[12:13], v[69:70]
	v_mov_b32_e32 v69, 0
	v_mov_b32_e32 v70, 0
	s_and_saveexec_b64 s[0:1], vcc
	s_cbranch_execz .LBB122_73
; %bb.72:                               ;   in Loop: Header=BB122_52 Depth=1
	v_add_co_u32_e32 v17, vcc, v76, v49
	v_addc_co_u32_e32 v18, vcc, v77, v50, vcc
	v_add_co_u32_e32 v69, vcc, v78, v49
	v_addc_co_u32_e32 v70, vcc, v79, v50, vcc
	global_load_dwordx2 v[17:18], v[17:18], off
	s_nop 0
	global_load_dwordx2 v[69:70], v[69:70], off
.LBB122_73:                             ;   in Loop: Header=BB122_52 Depth=1
	s_or_b64 exec, exec, s[0:1]
	s_waitcnt vmcnt(0)
	v_mul_f64 v[3:4], v[55:56], v[3:4]
	ds_bpermute_b32 v55, v104, v19
	ds_bpermute_b32 v56, v104, v20
	v_mul_f64 v[5:6], v[59:60], v[5:6]
	v_mul_f64 v[7:8], v[57:58], v[7:8]
	;; [unrolled: 1-line block ×3, first 2 shown]
	s_mov_b64 s[0:1], 0
	s_waitcnt lgkmcnt(0)
	v_fma_f64 v[3:4], v[3:4], v[55:56], v[51:52]
	ds_bpermute_b32 v55, v104, v19 offset:4
	ds_bpermute_b32 v56, v104, v20 offset:4
	s_waitcnt lgkmcnt(0)
	v_fma_f64 v[3:4], v[5:6], v[55:56], v[3:4]
	ds_bpermute_b32 v5, v104, v19 offset:8
	ds_bpermute_b32 v6, v104, v20 offset:8
	;; [unrolled: 4-line block ×3, first 2 shown]
	v_mul_f64 v[7:8], v[61:62], v[11:12]
	s_waitcnt lgkmcnt(0)
	v_fma_f64 v[3:4], v[9:10], v[5:6], v[3:4]
	ds_bpermute_b32 v5, v104, v19 offset:16
	ds_bpermute_b32 v6, v104, v20 offset:16
	v_mul_f64 v[9:10], v[67:68], v[13:14]
	s_waitcnt lgkmcnt(0)
	v_fma_f64 v[3:4], v[7:8], v[5:6], v[3:4]
	ds_bpermute_b32 v5, v104, v19 offset:20
	ds_bpermute_b32 v6, v104, v20 offset:20
	;; [unrolled: 5-line block ×3, first 2 shown]
	s_waitcnt lgkmcnt(0)
	v_fma_f64 v[3:4], v[7:8], v[5:6], v[3:4]
	v_mul_f64 v[5:6], v[69:70], v[17:18]
	ds_bpermute_b32 v7, v104, v19 offset:28
	ds_bpermute_b32 v8, v104, v20 offset:28
	s_waitcnt lgkmcnt(0)
	v_fma_f64 v[19:20], v[5:6], v[7:8], v[3:4]
.LBB122_74:                             ;   in Loop: Header=BB122_52 Depth=1
	s_and_b64 vcc, exec, s[0:1]
	s_cbranch_vccz .LBB122_80
; %bb.75:                               ;   in Loop: Header=BB122_52 Depth=1
	s_load_dword s0, s[10:11], 0x0
	s_waitcnt lgkmcnt(0)
	s_cmp_lt_u32 s6, s0
	s_cselect_b32 s0, 12, 18
	s_add_u32 s0, s10, s0
	s_addc_u32 s1, s11, 0
	global_load_ushort v3, v2, s[0:1]
	s_waitcnt vmcnt(0)
	v_mad_u32_u24 v3, v1, v3, v0
	v_and_b32_e32 v5, 63, v3
	v_mov_b32_e32 v3, 0
	v_mov_b32_e32 v4, 0
	v_cmp_gt_u32_e32 vcc, 8, v5
	s_and_saveexec_b64 s[0:1], vcc
	s_cbranch_execz .LBB122_79
; %bb.76:                               ;   in Loop: Header=BB122_52 Depth=1
	v_add_co_u32_e32 v5, vcc, v53, v5
	v_addc_co_u32_e32 v6, vcc, 0, v54, vcc
	v_cmp_gt_i64_e32 vcc, s[12:13], v[5:6]
	v_mov_b32_e32 v3, 0
	v_mov_b32_e32 v4, 0
	s_and_saveexec_b64 s[26:27], vcc
	s_cbranch_execz .LBB122_78
; %bb.77:                               ;   in Loop: Header=BB122_52 Depth=1
	v_lshlrev_b64 v[3:4], 3, v[5:6]
	v_mov_b32_e32 v5, s21
	v_add_co_u32_e32 v3, vcc, s20, v3
	v_addc_co_u32_e32 v4, vcc, v5, v4, vcc
	global_load_dwordx2 v[3:4], v[3:4], off
.LBB122_78:                             ;   in Loop: Header=BB122_52 Depth=1
	s_or_b64 exec, exec, s[26:27]
.LBB122_79:                             ;   in Loop: Header=BB122_52 Depth=1
	s_or_b64 exec, exec, s[0:1]
	v_add_co_u32_e32 v5, vcc, v72, v49
	v_addc_co_u32_e32 v6, vcc, v73, v50, vcc
	v_add_co_u32_e32 v7, vcc, v74, v49
	v_addc_co_u32_e32 v8, vcc, v75, v50, vcc
	global_load_dwordx2 v[5:6], v[5:6], off
	v_add_co_u32_e32 v9, vcc, v21, v49
	global_load_dwordx2 v[7:8], v[7:8], off
	v_addc_co_u32_e32 v10, vcc, v22, v50, vcc
	v_add_co_u32_e32 v11, vcc, v23, v49
	v_addc_co_u32_e32 v12, vcc, v24, v50, vcc
	global_load_dwordx2 v[9:10], v[9:10], off
	v_add_co_u32_e32 v13, vcc, v25, v49
	global_load_dwordx2 v[11:12], v[11:12], off
	;; [unrolled: 6-line block ×7, first 2 shown]
	v_addc_co_u32_e32 v66, vcc, v46, v50, vcc
	v_add_co_u32_e32 v67, vcc, v47, v49
	v_addc_co_u32_e32 v68, vcc, v48, v50, vcc
	global_load_dwordx2 v[65:66], v[65:66], off
	s_waitcnt vmcnt(13)
	v_mul_f64 v[5:6], v[5:6], v[7:8]
	global_load_dwordx2 v[67:68], v[67:68], off
	ds_bpermute_b32 v7, v104, v3
	ds_bpermute_b32 v8, v104, v4
	s_waitcnt lgkmcnt(0)
	v_fma_f64 v[5:6], v[5:6], v[7:8], v[51:52]
	ds_bpermute_b32 v7, v104, v3 offset:4
	s_waitcnt vmcnt(12)
	v_mul_f64 v[9:10], v[9:10], v[11:12]
	ds_bpermute_b32 v8, v104, v4 offset:4
	s_waitcnt lgkmcnt(0)
	v_fma_f64 v[5:6], v[9:10], v[7:8], v[5:6]
	ds_bpermute_b32 v7, v104, v3 offset:8
	s_waitcnt vmcnt(10)
	v_mul_f64 v[11:12], v[13:14], v[15:16]
	ds_bpermute_b32 v8, v104, v4 offset:8
	;; [unrolled: 6-line block ×6, first 2 shown]
	ds_bpermute_b32 v3, v104, v3 offset:28
	ds_bpermute_b32 v4, v104, v4 offset:28
	s_waitcnt lgkmcnt(2)
	v_fma_f64 v[5:6], v[11:12], v[7:8], v[5:6]
	s_waitcnt vmcnt(0)
	v_mul_f64 v[7:8], v[65:66], v[67:68]
	s_waitcnt lgkmcnt(0)
	v_fma_f64 v[19:20], v[7:8], v[3:4], v[5:6]
.LBB122_80:                             ;   in Loop: Header=BB122_52 Depth=1
	v_mov_b32_e32 v3, s17
	v_add_co_u32_e32 v72, vcc, s16, v72
	v_addc_co_u32_e32 v73, vcc, v73, v3, vcc
	v_add_co_u32_e32 v74, vcc, s16, v74
	v_addc_co_u32_e32 v75, vcc, v75, v3, vcc
	;; [unrolled: 2-line block ×30, first 2 shown]
	v_add_co_u32_e32 v102, vcc, s16, v102
	s_add_u32 s24, s24, s7
	v_addc_co_u32_e32 v103, vcc, v103, v3, vcc
	v_mov_b32_e32 v3, s12
	s_addc_u32 s25, s25, 0
	v_mov_b32_e32 v4, s13
	v_cmp_ge_i64_e32 vcc, s[24:25], v[3:4]
	s_add_u32 s18, s18, s7
	s_addc_u32 s19, 0, s19
	s_cbranch_vccnz .LBB122_82
; %bb.81:                               ;   in Loop: Header=BB122_52 Depth=1
	v_mov_b32_e32 v52, v20
	v_mov_b32_e32 v51, v19
	s_branch .LBB122_52
.LBB122_82:
	s_mov_b32 s7, 0
	s_lshl_b64 s[0:1], s[6:7], 6
	v_or_b32_e32 v3, s0, v0
	v_mov_b32_e32 v4, s1
	v_cmp_gt_i64_e32 vcc, s[14:15], v[3:4]
	s_waitcnt lgkmcnt(0)
	s_cmp_lg_u64 s[2:3], 0
	s_cselect_b64 s[0:1], -1, 0
	s_and_b64 s[0:1], vcc, s[0:1]
	s_and_saveexec_b64 s[6:7], s[0:1]
	s_cbranch_execz .LBB122_84
; %bb.83:
	s_load_dword s0, s[4:5], 0x4c
	v_mov_b32_e32 v2, 0
	v_mov_b32_e32 v0, s8
	;; [unrolled: 1-line block ×3, first 2 shown]
	s_waitcnt lgkmcnt(0)
	s_lshr_b32 s0, s0, 16
	v_mad_u64_u32 v[0:1], s[0:1], s0, v0, v[1:2]
	v_lshlrev_b64 v[2:3], 3, v[3:4]
	v_mul_lo_u32 v5, v1, s14
	v_mul_lo_u32 v6, v0, s15
	v_mad_u64_u32 v[0:1], s[0:1], v0, s14, 0
	v_add3_u32 v1, v1, v6, v5
	v_lshlrev_b64 v[0:1], 3, v[0:1]
	v_add_co_u32_e32 v0, vcc, s2, v0
	v_addc_co_u32_e32 v1, vcc, v7, v1, vcc
	v_add_co_u32_e32 v0, vcc, v0, v2
	v_addc_co_u32_e32 v1, vcc, v1, v3, vcc
	global_store_dwordx2 v[0:1], v[19:20], off
.LBB122_84:
	s_endpgm
	.section	.rodata,"a",@progbits
	.p2align	6, 0x0
	.amdhsa_kernel _ZN2at6native12_GLOBAL__N_135GammaBetaBackwardCUDAKernelTemplateIddLj64ELj1ELj8ELb1ELb0ELb1EEEvllPKT_S5_PKT0_S8_PS3_S9_
		.amdhsa_group_segment_fixed_size 0
		.amdhsa_private_segment_fixed_size 0
		.amdhsa_kernarg_size 320
		.amdhsa_user_sgpr_count 6
		.amdhsa_user_sgpr_private_segment_buffer 1
		.amdhsa_user_sgpr_dispatch_ptr 0
		.amdhsa_user_sgpr_queue_ptr 0
		.amdhsa_user_sgpr_kernarg_segment_ptr 1
		.amdhsa_user_sgpr_dispatch_id 0
		.amdhsa_user_sgpr_flat_scratch_init 0
		.amdhsa_user_sgpr_private_segment_size 0
		.amdhsa_uses_dynamic_stack 0
		.amdhsa_system_sgpr_private_segment_wavefront_offset 0
		.amdhsa_system_sgpr_workgroup_id_x 1
		.amdhsa_system_sgpr_workgroup_id_y 1
		.amdhsa_system_sgpr_workgroup_id_z 0
		.amdhsa_system_sgpr_workgroup_info 0
		.amdhsa_system_vgpr_workitem_id 1
		.amdhsa_next_free_vgpr 106
		.amdhsa_next_free_sgpr 36
		.amdhsa_reserve_vcc 1
		.amdhsa_reserve_flat_scratch 0
		.amdhsa_float_round_mode_32 0
		.amdhsa_float_round_mode_16_64 0
		.amdhsa_float_denorm_mode_32 3
		.amdhsa_float_denorm_mode_16_64 3
		.amdhsa_dx10_clamp 1
		.amdhsa_ieee_mode 1
		.amdhsa_fp16_overflow 0
		.amdhsa_exception_fp_ieee_invalid_op 0
		.amdhsa_exception_fp_denorm_src 0
		.amdhsa_exception_fp_ieee_div_zero 0
		.amdhsa_exception_fp_ieee_overflow 0
		.amdhsa_exception_fp_ieee_underflow 0
		.amdhsa_exception_fp_ieee_inexact 0
		.amdhsa_exception_int_div_zero 0
	.end_amdhsa_kernel
	.section	.text._ZN2at6native12_GLOBAL__N_135GammaBetaBackwardCUDAKernelTemplateIddLj64ELj1ELj8ELb1ELb0ELb1EEEvllPKT_S5_PKT0_S8_PS3_S9_,"axG",@progbits,_ZN2at6native12_GLOBAL__N_135GammaBetaBackwardCUDAKernelTemplateIddLj64ELj1ELj8ELb1ELb0ELb1EEEvllPKT_S5_PKT0_S8_PS3_S9_,comdat
.Lfunc_end122:
	.size	_ZN2at6native12_GLOBAL__N_135GammaBetaBackwardCUDAKernelTemplateIddLj64ELj1ELj8ELb1ELb0ELb1EEEvllPKT_S5_PKT0_S8_PS3_S9_, .Lfunc_end122-_ZN2at6native12_GLOBAL__N_135GammaBetaBackwardCUDAKernelTemplateIddLj64ELj1ELj8ELb1ELb0ELb1EEEvllPKT_S5_PKT0_S8_PS3_S9_
                                        ; -- End function
	.set _ZN2at6native12_GLOBAL__N_135GammaBetaBackwardCUDAKernelTemplateIddLj64ELj1ELj8ELb1ELb0ELb1EEEvllPKT_S5_PKT0_S8_PS3_S9_.num_vgpr, 106
	.set _ZN2at6native12_GLOBAL__N_135GammaBetaBackwardCUDAKernelTemplateIddLj64ELj1ELj8ELb1ELb0ELb1EEEvllPKT_S5_PKT0_S8_PS3_S9_.num_agpr, 0
	.set _ZN2at6native12_GLOBAL__N_135GammaBetaBackwardCUDAKernelTemplateIddLj64ELj1ELj8ELb1ELb0ELb1EEEvllPKT_S5_PKT0_S8_PS3_S9_.numbered_sgpr, 36
	.set _ZN2at6native12_GLOBAL__N_135GammaBetaBackwardCUDAKernelTemplateIddLj64ELj1ELj8ELb1ELb0ELb1EEEvllPKT_S5_PKT0_S8_PS3_S9_.num_named_barrier, 0
	.set _ZN2at6native12_GLOBAL__N_135GammaBetaBackwardCUDAKernelTemplateIddLj64ELj1ELj8ELb1ELb0ELb1EEEvllPKT_S5_PKT0_S8_PS3_S9_.private_seg_size, 0
	.set _ZN2at6native12_GLOBAL__N_135GammaBetaBackwardCUDAKernelTemplateIddLj64ELj1ELj8ELb1ELb0ELb1EEEvllPKT_S5_PKT0_S8_PS3_S9_.uses_vcc, 1
	.set _ZN2at6native12_GLOBAL__N_135GammaBetaBackwardCUDAKernelTemplateIddLj64ELj1ELj8ELb1ELb0ELb1EEEvllPKT_S5_PKT0_S8_PS3_S9_.uses_flat_scratch, 0
	.set _ZN2at6native12_GLOBAL__N_135GammaBetaBackwardCUDAKernelTemplateIddLj64ELj1ELj8ELb1ELb0ELb1EEEvllPKT_S5_PKT0_S8_PS3_S9_.has_dyn_sized_stack, 0
	.set _ZN2at6native12_GLOBAL__N_135GammaBetaBackwardCUDAKernelTemplateIddLj64ELj1ELj8ELb1ELb0ELb1EEEvllPKT_S5_PKT0_S8_PS3_S9_.has_recursion, 0
	.set _ZN2at6native12_GLOBAL__N_135GammaBetaBackwardCUDAKernelTemplateIddLj64ELj1ELj8ELb1ELb0ELb1EEEvllPKT_S5_PKT0_S8_PS3_S9_.has_indirect_call, 0
	.section	.AMDGPU.csdata,"",@progbits
; Kernel info:
; codeLenInByte = 6644
; TotalNumSgprs: 40
; NumVgprs: 106
; ScratchSize: 0
; MemoryBound: 0
; FloatMode: 240
; IeeeMode: 1
; LDSByteSize: 0 bytes/workgroup (compile time only)
; SGPRBlocks: 4
; VGPRBlocks: 26
; NumSGPRsForWavesPerEU: 40
; NumVGPRsForWavesPerEU: 106
; Occupancy: 2
; WaveLimiterHint : 0
; COMPUTE_PGM_RSRC2:SCRATCH_EN: 0
; COMPUTE_PGM_RSRC2:USER_SGPR: 6
; COMPUTE_PGM_RSRC2:TRAP_HANDLER: 0
; COMPUTE_PGM_RSRC2:TGID_X_EN: 1
; COMPUTE_PGM_RSRC2:TGID_Y_EN: 1
; COMPUTE_PGM_RSRC2:TGID_Z_EN: 0
; COMPUTE_PGM_RSRC2:TIDIG_COMP_CNT: 1
	.section	.text._ZN2at6native12_GLOBAL__N_135GammaBetaBackwardCUDAKernelTemplateIddLj64ELj8ELj64ELb0ELb1ELb1EEEvllPKT_S5_PKT0_S8_PS3_S9_,"axG",@progbits,_ZN2at6native12_GLOBAL__N_135GammaBetaBackwardCUDAKernelTemplateIddLj64ELj8ELj64ELb0ELb1ELb1EEEvllPKT_S5_PKT0_S8_PS3_S9_,comdat
	.globl	_ZN2at6native12_GLOBAL__N_135GammaBetaBackwardCUDAKernelTemplateIddLj64ELj8ELj64ELb0ELb1ELb1EEEvllPKT_S5_PKT0_S8_PS3_S9_ ; -- Begin function _ZN2at6native12_GLOBAL__N_135GammaBetaBackwardCUDAKernelTemplateIddLj64ELj8ELj64ELb0ELb1ELb1EEEvllPKT_S5_PKT0_S8_PS3_S9_
	.p2align	8
	.type	_ZN2at6native12_GLOBAL__N_135GammaBetaBackwardCUDAKernelTemplateIddLj64ELj8ELj64ELb0ELb1ELb1EEEvllPKT_S5_PKT0_S8_PS3_S9_,@function
_ZN2at6native12_GLOBAL__N_135GammaBetaBackwardCUDAKernelTemplateIddLj64ELj8ELj64ELb0ELb1ELb1EEEvllPKT_S5_PKT0_S8_PS3_S9_: ; @_ZN2at6native12_GLOBAL__N_135GammaBetaBackwardCUDAKernelTemplateIddLj64ELj8ELj64ELb0ELb1ELb1EEEvllPKT_S5_PKT0_S8_PS3_S9_
; %bb.0:
	s_load_dwordx4 s[8:11], s[4:5], 0x0
	s_lshl_b32 s18, s7, 6
	s_mov_b32 s19, 0
	v_mov_b32_e32 v2, s18
	v_mov_b32_e32 v3, s19
	s_waitcnt lgkmcnt(0)
	v_cmp_gt_i64_e32 vcc, s[8:9], v[2:3]
	s_cbranch_vccnz .LBB123_2
; %bb.1:
	s_mov_b64 s[0:1], 0
	s_branch .LBB123_3
.LBB123_2:
	s_mov_b64 s[0:1], -1
.LBB123_3:
	s_load_dwordx2 s[16:17], s[4:5], 0x30
	v_mov_b32_e32 v8, 0
	v_mov_b32_e32 v9, 0
	s_andn2_b64 vcc, exec, s[0:1]
	v_mbcnt_lo_u32_b32 v10, -1, 0
	s_cbranch_vccnz .LBB123_10
; %bb.4:
	s_load_dword s0, s[4:5], 0x4c
	s_load_dword s7, s[4:5], 0x44
	s_load_dwordx4 s[12:15], s[4:5], 0x10
	s_load_dwordx2 s[2:3], s[4:5], 0x28
	v_lshlrev_b32_e32 v2, 3, v1
	s_waitcnt lgkmcnt(0)
	s_and_b32 s0, s0, 0xffff
	v_mad_u32_u24 v3, v1, s0, v0
	v_and_b32_e32 v3, 63, v3
	v_add_co_u32_e32 v8, vcc, s18, v2
	v_mbcnt_hi_u32_b32 v4, -1, v10
	v_addc_co_u32_e64 v9, s[4:5], 0, 0, vcc
	v_add_co_u32_e32 v2, vcc, v8, v3
	v_cmp_gt_u32_e64 s[0:1], 8, v3
	v_lshlrev_b32_e32 v4, 2, v4
	v_addc_co_u32_e32 v3, vcc, 0, v9, vcc
	v_and_b32_e32 v11, 0x100, v4
	v_lshlrev_b64 v[4:5], 3, v[2:3]
	v_mov_b32_e32 v15, s3
	v_add_co_u32_e32 v4, vcc, s2, v4
	v_mul_lo_u32 v18, s11, v8
	v_mul_lo_u32 v19, s10, v9
	v_mad_u64_u32 v[8:9], s[2:3], s10, v8, 0
	v_mov_b32_e32 v7, 0
	v_lshl_add_u32 v6, s6, 6, v0
	v_add3_u32 v9, v9, v19, v18
	v_lshlrev_b64 v[8:9], 3, v[8:9]
	v_lshlrev_b64 v[6:7], 3, v[6:7]
	v_addc_co_u32_e32 v5, vcc, v15, v5, vcc
	s_lshl_b32 s20, s7, 6
	v_add_co_u32_e32 v19, vcc, v8, v6
	s_mul_i32 s2, s11, s20
	s_mul_hi_u32 s3, s10, s20
	s_mov_b32 s21, 0
	v_addc_co_u32_e32 v20, vcc, v9, v7, vcc
	s_add_i32 s3, s3, s2
	s_mul_i32 s2, s10, s20
	v_mov_b32_e32 v8, 0
	v_or_b32_e32 v12, 4, v11
	v_or_b32_e32 v13, 8, v11
	;; [unrolled: 1-line block ×7, first 2 shown]
	s_lshl_b64 s[22:23], s[20:21], 3
	s_lshl_b64 s[24:25], s[2:3], 3
	v_mov_b32_e32 v9, 0
	s_lshl_b64 s[10:11], s[10:11], 3
	s_branch .LBB123_7
.LBB123_5:                              ;   in Loop: Header=BB123_7 Depth=1
	s_or_b64 exec, exec, s[4:5]
.LBB123_6:                              ;   in Loop: Header=BB123_7 Depth=1
	s_or_b64 exec, exec, s[2:3]
	v_mov_b32_e32 v22, s13
	v_add_co_u32_e32 v21, vcc, s12, v19
	v_addc_co_u32_e32 v22, vcc, v22, v20, vcc
	v_mov_b32_e32 v24, s15
	v_add_co_u32_e32 v23, vcc, s14, v19
	v_addc_co_u32_e32 v24, vcc, v24, v20, vcc
	global_load_dwordx2 v[25:26], v[21:22], off
	global_load_dwordx2 v[27:28], v[23:24], off
	v_mov_b32_e32 v29, s11
	v_add_co_u32_e32 v21, vcc, s10, v21
	v_addc_co_u32_e32 v22, vcc, v22, v29, vcc
	v_add_co_u32_e32 v23, vcc, s10, v23
	v_addc_co_u32_e32 v24, vcc, v24, v29, vcc
	s_add_u32 s18, s18, s20
	s_addc_u32 s19, s19, 0
	v_add_co_u32_e64 v2, s[2:3], s20, v2
	v_add_co_u32_e64 v4, s[4:5], s22, v4
	v_addc_co_u32_e64 v3, s[2:3], 0, v3, s[2:3]
	s_waitcnt vmcnt(0)
	v_mul_f64 v[25:26], v[25:26], v[27:28]
	ds_bpermute_b32 v27, v11, v6
	ds_bpermute_b32 v28, v11, v7
	s_waitcnt lgkmcnt(0)
	v_fma_f64 v[8:9], v[25:26], v[27:28], v[8:9]
	global_load_dwordx2 v[25:26], v[21:22], off
	global_load_dwordx2 v[27:28], v[23:24], off
	v_add_co_u32_e32 v21, vcc, s10, v21
	v_addc_co_u32_e32 v22, vcc, v22, v29, vcc
	v_add_co_u32_e32 v23, vcc, s10, v23
	v_addc_co_u32_e32 v24, vcc, v24, v29, vcc
	s_waitcnt vmcnt(0)
	v_mul_f64 v[25:26], v[25:26], v[27:28]
	ds_bpermute_b32 v27, v12, v6
	ds_bpermute_b32 v28, v12, v7
	s_waitcnt lgkmcnt(0)
	v_fma_f64 v[8:9], v[25:26], v[27:28], v[8:9]
	global_load_dwordx2 v[25:26], v[21:22], off
	global_load_dwordx2 v[27:28], v[23:24], off
	v_add_co_u32_e32 v21, vcc, s10, v21
	v_addc_co_u32_e32 v22, vcc, v22, v29, vcc
	v_add_co_u32_e32 v23, vcc, s10, v23
	v_addc_co_u32_e32 v24, vcc, v24, v29, vcc
	;; [unrolled: 12-line block ×6, first 2 shown]
	s_waitcnt vmcnt(0)
	v_mul_f64 v[25:26], v[25:26], v[27:28]
	ds_bpermute_b32 v27, v17, v6
	ds_bpermute_b32 v28, v17, v7
	;; [unrolled: 1-line block ×4, first 2 shown]
	s_waitcnt lgkmcnt(2)
	v_fma_f64 v[8:9], v[25:26], v[27:28], v[8:9]
	global_load_dwordx2 v[25:26], v[21:22], off
	global_load_dwordx2 v[27:28], v[23:24], off
	s_waitcnt vmcnt(0)
	v_mul_f64 v[21:22], v[25:26], v[27:28]
	s_waitcnt lgkmcnt(0)
	v_fma_f64 v[8:9], v[21:22], v[6:7], v[8:9]
	v_mov_b32_e32 v6, s8
	v_mov_b32_e32 v7, s9
	v_cmp_lt_i64_e32 vcc, s[18:19], v[6:7]
	v_mov_b32_e32 v6, s23
	v_addc_co_u32_e64 v5, s[2:3], v5, v6, s[4:5]
	v_mov_b32_e32 v6, s25
	v_add_co_u32_e64 v19, s[2:3], s24, v19
	v_addc_co_u32_e64 v20, s[2:3], v20, v6, s[2:3]
	s_cbranch_vccz .LBB123_10
.LBB123_7:                              ; =>This Inner Loop Header: Depth=1
	v_mov_b32_e32 v6, 0
	v_mov_b32_e32 v7, 0
	s_and_saveexec_b64 s[2:3], s[0:1]
	s_cbranch_execz .LBB123_6
; %bb.8:                                ;   in Loop: Header=BB123_7 Depth=1
	v_cmp_gt_i64_e32 vcc, s[8:9], v[2:3]
	v_mov_b32_e32 v6, 0
	v_mov_b32_e32 v7, 0
	s_and_saveexec_b64 s[4:5], vcc
	s_cbranch_execz .LBB123_5
; %bb.9:                                ;   in Loop: Header=BB123_7 Depth=1
	global_load_dwordx2 v[6:7], v[4:5], off
	s_branch .LBB123_5
.LBB123_10:
	s_movk_i32 s0, 0x41
	v_mad_u32_u24 v2, v1, s0, v0
	v_lshl_add_u32 v4, v2, 3, 0
	v_mov_b32_e32 v2, 0
	v_mov_b32_e32 v3, v2
	ds_write_b64 v4, v[2:3] offset:4160
	v_lshrrev_b32_e32 v2, 6, v0
	v_add_u32_e32 v1, v2, v1
	v_cmp_gt_u32_e32 vcc, 64, v1
	ds_write_b64 v4, v[8:9]
	s_waitcnt lgkmcnt(0)
	s_barrier
	s_and_saveexec_b64 s[0:1], vcc
	s_cbranch_execz .LBB123_50
; %bb.11:
	v_and_b32_e32 v2, 63, v0
	v_cmp_gt_u32_e32 vcc, 8, v2
	v_mul_u32_u24_e32 v5, 0x41, v2
                                        ; implicit-def: $vgpr2_vgpr3
	s_and_saveexec_b64 s[0:1], vcc
; %bb.12:
	v_lshlrev_b32_e32 v2, 3, v1
	v_lshlrev_b32_e32 v3, 3, v5
	v_add3_u32 v2, 0, v2, v3
	ds_read_b64 v[2:3], v2
; %bb.13:
	s_or_b64 exec, exec, s[0:1]
	v_mbcnt_hi_u32_b32 v4, -1, v10
	v_and_b32_e32 v6, 64, v4
	v_add_u32_e32 v10, 64, v6
	v_xor_b32_e32 v6, 4, v4
	v_cmp_lt_i32_e64 s[0:1], v6, v10
	v_cndmask_b32_e64 v6, v4, v6, s[0:1]
	v_lshlrev_b32_e32 v6, 2, v6
	s_waitcnt lgkmcnt(0)
	ds_bpermute_b32 v7, v6, v2
	ds_bpermute_b32 v8, v6, v3
	s_cmp_lg_u64 s[16:17], 0
	s_mov_b32 s7, 0
	s_cselect_b64 s[2:3], -1, 0
	s_waitcnt lgkmcnt(0)
	v_add_f64 v[2:3], v[2:3], v[7:8]
	v_xor_b32_e32 v7, 2, v4
	v_cmp_lt_i32_e64 s[0:1], v7, v10
	v_cndmask_b32_e64 v7, v4, v7, s[0:1]
	v_lshlrev_b32_e32 v7, 2, v7
	ds_bpermute_b32 v8, v7, v2
	ds_bpermute_b32 v9, v7, v3
	s_waitcnt lgkmcnt(0)
	v_add_f64 v[2:3], v[2:3], v[8:9]
	v_xor_b32_e32 v8, 1, v4
	v_cmp_lt_i32_e64 s[0:1], v8, v10
	v_cndmask_b32_e64 v4, v4, v8, s[0:1]
	v_lshlrev_b32_e32 v8, 2, v4
	v_cmp_eq_u32_e64 s[0:1], 0, v0
	s_and_b64 s[2:3], s[0:1], s[2:3]
	s_lshl_b64 s[0:1], s[6:7], 9
	ds_bpermute_b32 v9, v8, v2
	ds_bpermute_b32 v10, v8, v3
	s_add_u32 s6, s16, s0
	s_addc_u32 s7, s17, s1
	s_waitcnt lgkmcnt(0)
	v_add_f64 v[3:4], v[2:3], v[9:10]
	s_and_saveexec_b64 s[4:5], s[2:3]
	s_cbranch_execz .LBB123_15
; %bb.14:
	v_mov_b32_e32 v2, 0
	v_lshlrev_b64 v[9:10], 3, v[1:2]
	v_mov_b32_e32 v0, s7
	v_add_co_u32_e64 v9, s[0:1], s6, v9
	v_addc_co_u32_e64 v10, s[0:1], v0, v10, s[0:1]
	global_store_dwordx2 v[9:10], v[3:4], off
.LBB123_15:
	s_or_b64 exec, exec, s[4:5]
	v_cmp_gt_u32_e64 s[0:1], 56, v1
	s_and_b64 exec, exec, s[0:1]
	s_cbranch_execz .LBB123_50
; %bb.16:
	s_and_saveexec_b64 s[0:1], vcc
; %bb.17:
	v_lshlrev_b32_e32 v0, 3, v1
	v_lshlrev_b32_e32 v2, 3, v5
	v_add3_u32 v0, 0, v0, v2
	ds_read_b64 v[3:4], v0 offset:64
; %bb.18:
	s_or_b64 exec, exec, s[0:1]
	s_waitcnt lgkmcnt(0)
	ds_bpermute_b32 v9, v6, v3
	ds_bpermute_b32 v10, v6, v4
	s_waitcnt lgkmcnt(0)
	v_add_f64 v[2:3], v[3:4], v[9:10]
	ds_bpermute_b32 v9, v7, v2
	ds_bpermute_b32 v10, v7, v3
	s_waitcnt lgkmcnt(0)
	v_add_f64 v[2:3], v[2:3], v[9:10]
	ds_bpermute_b32 v9, v8, v2
	ds_bpermute_b32 v10, v8, v3
	s_waitcnt lgkmcnt(0)
	v_add_f64 v[3:4], v[2:3], v[9:10]
	s_and_saveexec_b64 s[4:5], s[2:3]
	s_cbranch_execz .LBB123_20
; %bb.19:
	v_mov_b32_e32 v2, 0
	v_lshlrev_b64 v[9:10], 3, v[1:2]
	v_mov_b32_e32 v0, s7
	v_add_co_u32_e64 v9, s[0:1], s6, v9
	v_addc_co_u32_e64 v10, s[0:1], v0, v10, s[0:1]
	global_store_dwordx2 v[9:10], v[3:4], off offset:64
.LBB123_20:
	s_or_b64 exec, exec, s[4:5]
	v_cmp_gt_u32_e64 s[0:1], 48, v1
	s_and_b64 exec, exec, s[0:1]
	s_cbranch_execz .LBB123_50
; %bb.21:
	s_and_saveexec_b64 s[0:1], vcc
; %bb.22:
	v_lshlrev_b32_e32 v0, 3, v1
	v_lshlrev_b32_e32 v2, 3, v5
	v_add3_u32 v0, 0, v0, v2
	ds_read_b64 v[3:4], v0 offset:128
; %bb.23:
	s_or_b64 exec, exec, s[0:1]
	s_waitcnt lgkmcnt(0)
	ds_bpermute_b32 v9, v6, v3
	ds_bpermute_b32 v10, v6, v4
	s_waitcnt lgkmcnt(0)
	v_add_f64 v[2:3], v[3:4], v[9:10]
	ds_bpermute_b32 v9, v7, v2
	ds_bpermute_b32 v10, v7, v3
	s_waitcnt lgkmcnt(0)
	v_add_f64 v[2:3], v[2:3], v[9:10]
	ds_bpermute_b32 v9, v8, v2
	ds_bpermute_b32 v10, v8, v3
	s_waitcnt lgkmcnt(0)
	v_add_f64 v[3:4], v[2:3], v[9:10]
	s_and_saveexec_b64 s[4:5], s[2:3]
	s_cbranch_execz .LBB123_25
; %bb.24:
	v_mov_b32_e32 v2, 0
	v_lshlrev_b64 v[9:10], 3, v[1:2]
	v_mov_b32_e32 v0, s7
	v_add_co_u32_e64 v9, s[0:1], s6, v9
	v_addc_co_u32_e64 v10, s[0:1], v0, v10, s[0:1]
	global_store_dwordx2 v[9:10], v[3:4], off offset:128
.LBB123_25:
	;; [unrolled: 36-line block ×6, first 2 shown]
	s_or_b64 exec, exec, s[4:5]
	v_cmp_gt_u32_e64 s[0:1], 8, v1
	s_and_b64 exec, exec, s[0:1]
	s_cbranch_execz .LBB123_50
; %bb.46:
	s_and_saveexec_b64 s[0:1], vcc
; %bb.47:
	v_lshlrev_b32_e32 v0, 3, v1
	v_lshlrev_b32_e32 v2, 3, v5
	v_add3_u32 v0, 0, v0, v2
	ds_read_b64 v[3:4], v0 offset:448
; %bb.48:
	s_or_b64 exec, exec, s[0:1]
	s_waitcnt lgkmcnt(0)
	ds_bpermute_b32 v5, v6, v3
	ds_bpermute_b32 v6, v6, v4
	s_waitcnt lgkmcnt(0)
	v_add_f64 v[2:3], v[3:4], v[5:6]
	ds_bpermute_b32 v4, v7, v2
	ds_bpermute_b32 v5, v7, v3
	s_waitcnt lgkmcnt(0)
	v_add_f64 v[2:3], v[2:3], v[4:5]
	ds_bpermute_b32 v4, v8, v2
	ds_bpermute_b32 v5, v8, v3
	s_and_saveexec_b64 s[0:1], s[2:3]
	s_xor_b64 s[0:1], exec, s[0:1]
	s_cbranch_execz .LBB123_50
; %bb.49:
	s_waitcnt lgkmcnt(0)
	v_add_f64 v[3:4], v[2:3], v[4:5]
	v_mov_b32_e32 v2, 0
	v_lshlrev_b64 v[0:1], 3, v[1:2]
	v_mov_b32_e32 v2, s7
	v_add_co_u32_e32 v0, vcc, s6, v0
	v_addc_co_u32_e32 v1, vcc, v2, v1, vcc
	global_store_dwordx2 v[0:1], v[3:4], off offset:448
.LBB123_50:
	s_endpgm
	.section	.rodata,"a",@progbits
	.p2align	6, 0x0
	.amdhsa_kernel _ZN2at6native12_GLOBAL__N_135GammaBetaBackwardCUDAKernelTemplateIddLj64ELj8ELj64ELb0ELb1ELb1EEEvllPKT_S5_PKT0_S8_PS3_S9_
		.amdhsa_group_segment_fixed_size 0
		.amdhsa_private_segment_fixed_size 0
		.amdhsa_kernarg_size 320
		.amdhsa_user_sgpr_count 6
		.amdhsa_user_sgpr_private_segment_buffer 1
		.amdhsa_user_sgpr_dispatch_ptr 0
		.amdhsa_user_sgpr_queue_ptr 0
		.amdhsa_user_sgpr_kernarg_segment_ptr 1
		.amdhsa_user_sgpr_dispatch_id 0
		.amdhsa_user_sgpr_flat_scratch_init 0
		.amdhsa_user_sgpr_private_segment_size 0
		.amdhsa_uses_dynamic_stack 0
		.amdhsa_system_sgpr_private_segment_wavefront_offset 0
		.amdhsa_system_sgpr_workgroup_id_x 1
		.amdhsa_system_sgpr_workgroup_id_y 1
		.amdhsa_system_sgpr_workgroup_id_z 0
		.amdhsa_system_sgpr_workgroup_info 0
		.amdhsa_system_vgpr_workitem_id 1
		.amdhsa_next_free_vgpr 30
		.amdhsa_next_free_sgpr 26
		.amdhsa_reserve_vcc 1
		.amdhsa_reserve_flat_scratch 0
		.amdhsa_float_round_mode_32 0
		.amdhsa_float_round_mode_16_64 0
		.amdhsa_float_denorm_mode_32 3
		.amdhsa_float_denorm_mode_16_64 3
		.amdhsa_dx10_clamp 1
		.amdhsa_ieee_mode 1
		.amdhsa_fp16_overflow 0
		.amdhsa_exception_fp_ieee_invalid_op 0
		.amdhsa_exception_fp_denorm_src 0
		.amdhsa_exception_fp_ieee_div_zero 0
		.amdhsa_exception_fp_ieee_overflow 0
		.amdhsa_exception_fp_ieee_underflow 0
		.amdhsa_exception_fp_ieee_inexact 0
		.amdhsa_exception_int_div_zero 0
	.end_amdhsa_kernel
	.section	.text._ZN2at6native12_GLOBAL__N_135GammaBetaBackwardCUDAKernelTemplateIddLj64ELj8ELj64ELb0ELb1ELb1EEEvllPKT_S5_PKT0_S8_PS3_S9_,"axG",@progbits,_ZN2at6native12_GLOBAL__N_135GammaBetaBackwardCUDAKernelTemplateIddLj64ELj8ELj64ELb0ELb1ELb1EEEvllPKT_S5_PKT0_S8_PS3_S9_,comdat
.Lfunc_end123:
	.size	_ZN2at6native12_GLOBAL__N_135GammaBetaBackwardCUDAKernelTemplateIddLj64ELj8ELj64ELb0ELb1ELb1EEEvllPKT_S5_PKT0_S8_PS3_S9_, .Lfunc_end123-_ZN2at6native12_GLOBAL__N_135GammaBetaBackwardCUDAKernelTemplateIddLj64ELj8ELj64ELb0ELb1ELb1EEEvllPKT_S5_PKT0_S8_PS3_S9_
                                        ; -- End function
	.set _ZN2at6native12_GLOBAL__N_135GammaBetaBackwardCUDAKernelTemplateIddLj64ELj8ELj64ELb0ELb1ELb1EEEvllPKT_S5_PKT0_S8_PS3_S9_.num_vgpr, 30
	.set _ZN2at6native12_GLOBAL__N_135GammaBetaBackwardCUDAKernelTemplateIddLj64ELj8ELj64ELb0ELb1ELb1EEEvllPKT_S5_PKT0_S8_PS3_S9_.num_agpr, 0
	.set _ZN2at6native12_GLOBAL__N_135GammaBetaBackwardCUDAKernelTemplateIddLj64ELj8ELj64ELb0ELb1ELb1EEEvllPKT_S5_PKT0_S8_PS3_S9_.numbered_sgpr, 26
	.set _ZN2at6native12_GLOBAL__N_135GammaBetaBackwardCUDAKernelTemplateIddLj64ELj8ELj64ELb0ELb1ELb1EEEvllPKT_S5_PKT0_S8_PS3_S9_.num_named_barrier, 0
	.set _ZN2at6native12_GLOBAL__N_135GammaBetaBackwardCUDAKernelTemplateIddLj64ELj8ELj64ELb0ELb1ELb1EEEvllPKT_S5_PKT0_S8_PS3_S9_.private_seg_size, 0
	.set _ZN2at6native12_GLOBAL__N_135GammaBetaBackwardCUDAKernelTemplateIddLj64ELj8ELj64ELb0ELb1ELb1EEEvllPKT_S5_PKT0_S8_PS3_S9_.uses_vcc, 1
	.set _ZN2at6native12_GLOBAL__N_135GammaBetaBackwardCUDAKernelTemplateIddLj64ELj8ELj64ELb0ELb1ELb1EEEvllPKT_S5_PKT0_S8_PS3_S9_.uses_flat_scratch, 0
	.set _ZN2at6native12_GLOBAL__N_135GammaBetaBackwardCUDAKernelTemplateIddLj64ELj8ELj64ELb0ELb1ELb1EEEvllPKT_S5_PKT0_S8_PS3_S9_.has_dyn_sized_stack, 0
	.set _ZN2at6native12_GLOBAL__N_135GammaBetaBackwardCUDAKernelTemplateIddLj64ELj8ELj64ELb0ELb1ELb1EEEvllPKT_S5_PKT0_S8_PS3_S9_.has_recursion, 0
	.set _ZN2at6native12_GLOBAL__N_135GammaBetaBackwardCUDAKernelTemplateIddLj64ELj8ELj64ELb0ELb1ELb1EEEvllPKT_S5_PKT0_S8_PS3_S9_.has_indirect_call, 0
	.section	.AMDGPU.csdata,"",@progbits
; Kernel info:
; codeLenInByte = 2772
; TotalNumSgprs: 30
; NumVgprs: 30
; ScratchSize: 0
; MemoryBound: 0
; FloatMode: 240
; IeeeMode: 1
; LDSByteSize: 0 bytes/workgroup (compile time only)
; SGPRBlocks: 3
; VGPRBlocks: 7
; NumSGPRsForWavesPerEU: 30
; NumVGPRsForWavesPerEU: 30
; Occupancy: 8
; WaveLimiterHint : 0
; COMPUTE_PGM_RSRC2:SCRATCH_EN: 0
; COMPUTE_PGM_RSRC2:USER_SGPR: 6
; COMPUTE_PGM_RSRC2:TRAP_HANDLER: 0
; COMPUTE_PGM_RSRC2:TGID_X_EN: 1
; COMPUTE_PGM_RSRC2:TGID_Y_EN: 1
; COMPUTE_PGM_RSRC2:TGID_Z_EN: 0
; COMPUTE_PGM_RSRC2:TIDIG_COMP_CNT: 1
	.section	.text._ZN2at6native12_GLOBAL__N_135GammaBetaBackwardCUDAKernelTemplateIddLj64ELj8ELj64ELb0ELb0ELb1EEEvllPKT_S5_PKT0_S8_PS3_S9_,"axG",@progbits,_ZN2at6native12_GLOBAL__N_135GammaBetaBackwardCUDAKernelTemplateIddLj64ELj8ELj64ELb0ELb0ELb1EEEvllPKT_S5_PKT0_S8_PS3_S9_,comdat
	.globl	_ZN2at6native12_GLOBAL__N_135GammaBetaBackwardCUDAKernelTemplateIddLj64ELj8ELj64ELb0ELb0ELb1EEEvllPKT_S5_PKT0_S8_PS3_S9_ ; -- Begin function _ZN2at6native12_GLOBAL__N_135GammaBetaBackwardCUDAKernelTemplateIddLj64ELj8ELj64ELb0ELb0ELb1EEEvllPKT_S5_PKT0_S8_PS3_S9_
	.p2align	8
	.type	_ZN2at6native12_GLOBAL__N_135GammaBetaBackwardCUDAKernelTemplateIddLj64ELj8ELj64ELb0ELb0ELb1EEEvllPKT_S5_PKT0_S8_PS3_S9_,@function
_ZN2at6native12_GLOBAL__N_135GammaBetaBackwardCUDAKernelTemplateIddLj64ELj8ELj64ELb0ELb0ELb1EEEvllPKT_S5_PKT0_S8_PS3_S9_: ; @_ZN2at6native12_GLOBAL__N_135GammaBetaBackwardCUDAKernelTemplateIddLj64ELj8ELj64ELb0ELb0ELb1EEEvllPKT_S5_PKT0_S8_PS3_S9_
; %bb.0:
	s_load_dwordx8 s[12:19], s[4:5], 0x0
	s_load_dwordx2 s[10:11], s[4:5], 0x28
	s_lshl_b32 s33, s6, 6
	s_or_b32 s0, s33, 63
	v_mov_b32_e32 v2, s0
	v_mov_b32_e32 v3, 0
	s_lshl_b32 s20, s7, 6
	s_mov_b32 s21, 0
	s_waitcnt lgkmcnt(0)
	v_cmp_le_i64_e32 vcc, s[14:15], v[2:3]
	v_mov_b32_e32 v2, s20
	v_mov_b32_e32 v3, s21
	v_cmp_gt_i64_e64 s[0:1], s[12:13], v[2:3]
	v_cndmask_b32_e64 v2, 0, 1, s[0:1]
	v_cmp_ne_u32_e64 s[0:1], 1, v2
	s_cbranch_vccz .LBB124_48
; %bb.1:
	v_mov_b32_e32 v21, 0
	v_mov_b32_e32 v22, 0
	s_and_b64 vcc, exec, s[0:1]
	s_cbranch_vccnz .LBB124_49
; %bb.2:
	v_lshlrev_b32_e32 v41, 3, v1
	v_add_co_u32_e32 v9, vcc, s20, v41
	v_addc_co_u32_e64 v10, s[2:3], 0, 0, vcc
	v_mul_lo_u32 v7, s15, v9
	v_mul_lo_u32 v8, s14, v10
	v_mad_u64_u32 v[5:6], s[2:3], s14, v9, 0
	v_mov_b32_e32 v2, 0
	s_load_dword s7, s[4:5], 0x44
	v_add_u32_e32 v3, s33, v0
	v_mov_b32_e32 v4, v2
	v_add3_u32 v6, v6, v8, v7
	v_cmp_gt_i64_e64 s[2:3], s[14:15], v[3:4]
	v_lshlrev_b64 v[19:20], 3, v[3:4]
	v_lshlrev_b64 v[3:4], 3, v[5:6]
	s_add_u32 s22, s4, 64
	v_mov_b32_e32 v7, s17
	v_add_co_u32_e32 v42, vcc, s16, v3
	s_addc_u32 s23, s5, 0
	s_waitcnt lgkmcnt(0)
	s_lshl_b32 s7, s7, 6
	v_addc_co_u32_e32 v43, vcc, v7, v4, vcc
	s_mul_i32 s8, s15, s7
	s_mul_hi_u32 s9, s14, s7
	v_add_co_u32_e32 v7, vcc, 7, v9
	s_add_i32 s9, s9, s8
	s_mul_i32 s8, s14, s7
	v_addc_co_u32_e32 v8, vcc, 0, v10, vcc
	s_lshl_b64 s[24:25], s[8:9], 3
	v_mul_lo_u32 v12, s15, v7
	v_mul_lo_u32 v13, s14, v8
	v_mad_u64_u32 v[7:8], s[8:9], s14, v7, 0
	v_mov_b32_e32 v11, s19
	v_add_co_u32_e32 v44, vcc, s18, v3
	v_add3_u32 v8, v8, v13, v12
	v_addc_co_u32_e32 v45, vcc, v11, v4, vcc
	v_lshlrev_b64 v[3:4], 3, v[7:8]
	v_mov_b32_e32 v7, s17
	v_add_co_u32_e32 v46, vcc, s16, v3
	v_addc_co_u32_e32 v47, vcc, v7, v4, vcc
	v_add_co_u32_e32 v7, vcc, 6, v9
	v_addc_co_u32_e32 v8, vcc, 0, v10, vcc
	v_mul_lo_u32 v12, s15, v7
	v_mul_lo_u32 v13, s14, v8
	v_mad_u64_u32 v[7:8], s[8:9], s14, v7, 0
	v_add_co_u32_e32 v48, vcc, s18, v3
	v_add3_u32 v8, v8, v13, v12
	v_addc_co_u32_e32 v49, vcc, v11, v4, vcc
	v_lshlrev_b64 v[3:4], 3, v[7:8]
	v_mov_b32_e32 v7, s17
	v_add_co_u32_e32 v50, vcc, s16, v3
	v_addc_co_u32_e32 v51, vcc, v7, v4, vcc
	v_add_co_u32_e32 v7, vcc, 5, v9
	v_addc_co_u32_e32 v8, vcc, 0, v10, vcc
	v_mul_lo_u32 v12, s15, v7
	v_mul_lo_u32 v13, s14, v8
	v_mad_u64_u32 v[7:8], s[8:9], s14, v7, 0
	;; [unrolled: 12-line block ×5, first 2 shown]
	v_add_co_u32_e32 v64, vcc, s18, v3
	v_add3_u32 v8, v8, v10, v9
	v_addc_co_u32_e32 v65, vcc, v11, v4, vcc
	v_lshlrev_b64 v[3:4], 3, v[7:8]
	v_mov_b32_e32 v7, s17
	v_add_co_u32_e32 v66, vcc, s16, v3
	v_addc_co_u32_e32 v67, vcc, v7, v4, vcc
	v_mov_b32_e32 v7, s19
	v_add_co_u32_e32 v68, vcc, s18, v3
	v_addc_co_u32_e32 v69, vcc, v7, v4, vcc
	;; [unrolled: 3-line block ×3, first 2 shown]
	v_lshlrev_b64 v[3:4], 3, v[3:4]
	v_mov_b32_e32 v5, s17
	v_add_co_u32_e32 v70, vcc, s16, v3
	v_addc_co_u32_e32 v71, vcc, v5, v4, vcc
	v_add_co_u32_e32 v72, vcc, s18, v3
	v_mbcnt_lo_u32_b32 v3, -1, 0
	v_mbcnt_hi_u32_b32 v3, -1, v3
	v_mov_b32_e32 v5, s19
	s_add_u32 s26, s20, 63
	v_mov_b32_e32 v21, 0
	v_lshlrev_b32_e32 v3, 2, v3
	v_addc_co_u32_e32 v73, vcc, v5, v4, vcc
	s_addc_u32 s27, 0, 0
	v_mov_b32_e32 v22, 0
	v_and_b32_e32 v74, 0x100, v3
	s_mov_b64 s[28:29], s[20:21]
	s_branch .LBB124_5
.LBB124_3:                              ;   in Loop: Header=BB124_5 Depth=1
	s_or_b64 exec, exec, s[8:9]
	s_waitcnt vmcnt(0)
	v_mul_f64 v[3:4], v[25:26], v[3:4]
	ds_bpermute_b32 v25, v74, v23
	ds_bpermute_b32 v26, v74, v24
	v_mul_f64 v[5:6], v[29:30], v[5:6]
	v_mul_f64 v[7:8], v[27:28], v[7:8]
	;; [unrolled: 1-line block ×3, first 2 shown]
	s_waitcnt lgkmcnt(0)
	v_fma_f64 v[3:4], v[3:4], v[25:26], v[21:22]
	ds_bpermute_b32 v21, v74, v23 offset:4
	ds_bpermute_b32 v22, v74, v24 offset:4
	s_waitcnt lgkmcnt(0)
	v_fma_f64 v[3:4], v[5:6], v[21:22], v[3:4]
	ds_bpermute_b32 v5, v74, v23 offset:8
	ds_bpermute_b32 v6, v74, v24 offset:8
	;; [unrolled: 4-line block ×3, first 2 shown]
	v_mul_f64 v[7:8], v[33:34], v[11:12]
	s_waitcnt lgkmcnt(0)
	v_fma_f64 v[3:4], v[9:10], v[5:6], v[3:4]
	ds_bpermute_b32 v5, v74, v23 offset:16
	ds_bpermute_b32 v6, v74, v24 offset:16
	v_mul_f64 v[9:10], v[39:40], v[13:14]
	s_waitcnt lgkmcnt(0)
	v_fma_f64 v[3:4], v[7:8], v[5:6], v[3:4]
	ds_bpermute_b32 v5, v74, v23 offset:20
	ds_bpermute_b32 v6, v74, v24 offset:20
	;; [unrolled: 1-line block ×4, first 2 shown]
	s_waitcnt lgkmcnt(2)
	v_fma_f64 v[3:4], v[9:10], v[5:6], v[3:4]
	v_mul_f64 v[5:6], v[37:38], v[15:16]
	s_waitcnt lgkmcnt(0)
	v_fma_f64 v[25:26], v[5:6], v[7:8], v[3:4]
	ds_bpermute_b32 v3, v74, v23 offset:28
	ds_bpermute_b32 v4, v74, v24 offset:28
.LBB124_4:                              ;   in Loop: Header=BB124_5 Depth=1
	v_mov_b32_e32 v7, s25
	v_add_co_u32_e32 v42, vcc, s24, v42
	v_addc_co_u32_e32 v43, vcc, v43, v7, vcc
	v_add_co_u32_e32 v44, vcc, s24, v44
	v_addc_co_u32_e32 v45, vcc, v45, v7, vcc
	;; [unrolled: 2-line block ×9, first 2 shown]
	v_add_co_u32_e32 v60, vcc, s24, v60
	v_mul_f64 v[5:6], v[31:32], v[17:18]
	v_addc_co_u32_e32 v61, vcc, v61, v7, vcc
	v_add_co_u32_e32 v62, vcc, s24, v62
	v_addc_co_u32_e32 v63, vcc, v63, v7, vcc
	v_add_co_u32_e32 v64, vcc, s24, v64
	;; [unrolled: 2-line block ×4, first 2 shown]
	s_waitcnt lgkmcnt(0)
	v_fma_f64 v[21:22], v[5:6], v[3:4], v[25:26]
	v_addc_co_u32_e32 v69, vcc, v69, v7, vcc
	v_add_co_u32_e32 v70, vcc, s24, v70
	v_addc_co_u32_e32 v71, vcc, v71, v7, vcc
	s_add_u32 s28, s28, s7
	v_add_co_u32_e32 v72, vcc, s24, v72
	v_mov_b32_e32 v3, s12
	s_addc_u32 s29, s29, 0
	v_addc_co_u32_e32 v73, vcc, v73, v7, vcc
	v_mov_b32_e32 v4, s13
	v_cmp_lt_i64_e32 vcc, s[28:29], v[3:4]
	s_add_u32 s26, s26, s7
	s_addc_u32 s27, s27, 0
	s_cbranch_vccz .LBB124_49
.LBB124_5:                              ; =>This Inner Loop Header: Depth=1
	v_mov_b32_e32 v3, s12
	v_mov_b32_e32 v4, s13
	v_cmp_ge_i64_e32 vcc, s[26:27], v[3:4]
	v_mov_b32_e32 v3, s27
	v_add_co_u32_e64 v75, s[8:9], s26, v41
	v_addc_co_u32_e64 v76, s[8:9], 0, v3, s[8:9]
	s_mov_b64 s[8:9], -1
	s_and_b64 vcc, exec, vcc
                                        ; implicit-def: $vgpr3_vgpr4_vgpr5_vgpr6_vgpr7_vgpr8_vgpr9_vgpr10_vgpr11_vgpr12_vgpr13_vgpr14_vgpr15_vgpr16_vgpr17_vgpr18
                                        ; implicit-def: $vgpr25_vgpr26
                                        ; implicit-def: $vgpr31_vgpr32
                                        ; implicit-def: $vgpr3
	s_cbranch_vccz .LBB124_27
; %bb.6:                                ;   in Loop: Header=BB124_5 Depth=1
	s_load_dword s8, s[22:23], 0xc
	v_mov_b32_e32 v25, 0
	v_mov_b32_e32 v23, 0
	;; [unrolled: 1-line block ×4, first 2 shown]
	s_waitcnt lgkmcnt(0)
	s_and_b32 s8, s8, 0xffff
	v_mad_u32_u24 v3, v1, s8, v0
	v_and_b32_e32 v3, 63, v3
	v_cmp_gt_u32_e32 vcc, 8, v3
	s_and_saveexec_b64 s[8:9], vcc
	s_cbranch_execz .LBB124_10
; %bb.7:                                ;   in Loop: Header=BB124_5 Depth=1
	v_add_co_u32_e32 v3, vcc, v75, v3
	v_addc_co_u32_e32 v4, vcc, 0, v76, vcc
	v_add_co_u32_e32 v3, vcc, 0xffffffc1, v3
	v_addc_co_u32_e32 v4, vcc, -1, v4, vcc
	v_cmp_gt_i64_e32 vcc, s[12:13], v[3:4]
	v_mov_b32_e32 v23, 0
	v_mov_b32_e32 v24, 0
	s_and_saveexec_b64 s[30:31], vcc
	s_cbranch_execz .LBB124_9
; %bb.8:                                ;   in Loop: Header=BB124_5 Depth=1
	v_lshlrev_b64 v[3:4], 3, v[3:4]
	v_mov_b32_e32 v5, s11
	v_add_co_u32_e32 v3, vcc, s10, v3
	v_addc_co_u32_e32 v4, vcc, v5, v4, vcc
	global_load_dwordx2 v[23:24], v[3:4], off
.LBB124_9:                              ;   in Loop: Header=BB124_5 Depth=1
	s_or_b64 exec, exec, s[30:31]
.LBB124_10:                             ;   in Loop: Header=BB124_5 Depth=1
	s_or_b64 exec, exec, s[8:9]
	v_add_co_u32_e32 v3, vcc, 0xffffffc1, v75
	v_addc_co_u32_e32 v4, vcc, -1, v76, vcc
	v_cmp_gt_i64_e32 vcc, s[12:13], v[3:4]
	v_mov_b32_e32 v3, v2
	v_mov_b32_e32 v4, v2
	;; [unrolled: 1-line block ×31, first 2 shown]
	s_and_b64 s[30:31], s[2:3], vcc
	s_and_saveexec_b64 s[8:9], s[30:31]
	s_cbranch_execz .LBB124_12
; %bb.11:                               ;   in Loop: Header=BB124_5 Depth=1
	v_add_co_u32_e32 v3, vcc, v42, v19
	v_addc_co_u32_e32 v4, vcc, v43, v20, vcc
	v_add_co_u32_e32 v5, vcc, v44, v19
	v_addc_co_u32_e32 v6, vcc, v45, v20, vcc
	global_load_dwordx2 v[3:4], v[3:4], off
	v_mov_b32_e32 v7, v2
	global_load_dwordx2 v[25:26], v[5:6], off
	v_mov_b32_e32 v5, v2
	v_mov_b32_e32 v6, v2
	;; [unrolled: 1-line block ×13, first 2 shown]
.LBB124_12:                             ;   in Loop: Header=BB124_5 Depth=1
	s_or_b64 exec, exec, s[8:9]
	v_add_co_u32_e32 v27, vcc, 0xffffffc2, v75
	v_addc_co_u32_e32 v28, vcc, -1, v76, vcc
	v_cmp_gt_i64_e32 vcc, s[12:13], v[27:28]
	v_mov_b32_e32 v27, 0
	v_mov_b32_e32 v29, 0
	v_mov_b32_e32 v28, 0
	v_mov_b32_e32 v30, 0
	s_and_b64 s[30:31], s[2:3], vcc
	s_and_saveexec_b64 s[8:9], s[30:31]
	s_cbranch_execz .LBB124_14
; %bb.13:                               ;   in Loop: Header=BB124_5 Depth=1
	v_add_co_u32_e32 v5, vcc, v70, v19
	v_addc_co_u32_e32 v6, vcc, v71, v20, vcc
	v_add_co_u32_e32 v29, vcc, v72, v19
	v_addc_co_u32_e32 v30, vcc, v73, v20, vcc
	global_load_dwordx2 v[5:6], v[5:6], off
	s_nop 0
	global_load_dwordx2 v[29:30], v[29:30], off
.LBB124_14:                             ;   in Loop: Header=BB124_5 Depth=1
	s_or_b64 exec, exec, s[8:9]
	v_add_co_u32_e32 v31, vcc, 0xffffffc3, v75
	v_addc_co_u32_e32 v32, vcc, -1, v76, vcc
	v_cmp_gt_i64_e32 vcc, s[12:13], v[31:32]
	s_and_b64 s[30:31], s[2:3], vcc
	s_and_saveexec_b64 s[8:9], s[30:31]
	s_cbranch_execz .LBB124_16
; %bb.15:                               ;   in Loop: Header=BB124_5 Depth=1
	v_add_co_u32_e32 v7, vcc, v66, v19
	v_addc_co_u32_e32 v8, vcc, v67, v20, vcc
	v_add_co_u32_e32 v27, vcc, v68, v19
	v_addc_co_u32_e32 v28, vcc, v69, v20, vcc
	global_load_dwordx2 v[7:8], v[7:8], off
	s_nop 0
	global_load_dwordx2 v[27:28], v[27:28], off
.LBB124_16:                             ;   in Loop: Header=BB124_5 Depth=1
	s_or_b64 exec, exec, s[8:9]
	v_add_co_u32_e32 v31, vcc, 0xffffffc4, v75
	v_addc_co_u32_e32 v32, vcc, -1, v76, vcc
	v_cmp_gt_i64_e32 vcc, s[12:13], v[31:32]
	v_mov_b32_e32 v33, 0
	v_mov_b32_e32 v35, 0
	v_mov_b32_e32 v34, 0
	v_mov_b32_e32 v36, 0
	s_and_b64 s[30:31], s[2:3], vcc
	s_and_saveexec_b64 s[8:9], s[30:31]
	s_cbranch_execz .LBB124_18
; %bb.17:                               ;   in Loop: Header=BB124_5 Depth=1
	v_add_co_u32_e32 v9, vcc, v62, v19
	v_addc_co_u32_e32 v10, vcc, v63, v20, vcc
	v_add_co_u32_e32 v31, vcc, v64, v19
	v_addc_co_u32_e32 v32, vcc, v65, v20, vcc
	global_load_dwordx2 v[9:10], v[9:10], off
	s_nop 0
	global_load_dwordx2 v[35:36], v[31:32], off
.LBB124_18:                             ;   in Loop: Header=BB124_5 Depth=1
	s_or_b64 exec, exec, s[8:9]
	v_add_co_u32_e32 v31, vcc, 0xffffffc5, v75
	v_addc_co_u32_e32 v32, vcc, -1, v76, vcc
	v_cmp_gt_i64_e32 vcc, s[12:13], v[31:32]
	s_and_b64 s[30:31], s[2:3], vcc
	s_and_saveexec_b64 s[8:9], s[30:31]
	s_cbranch_execz .LBB124_20
; %bb.19:                               ;   in Loop: Header=BB124_5 Depth=1
	v_add_co_u32_e32 v11, vcc, v58, v19
	v_addc_co_u32_e32 v12, vcc, v59, v20, vcc
	v_add_co_u32_e32 v31, vcc, v60, v19
	v_addc_co_u32_e32 v32, vcc, v61, v20, vcc
	global_load_dwordx2 v[11:12], v[11:12], off
	s_nop 0
	global_load_dwordx2 v[33:34], v[31:32], off
.LBB124_20:                             ;   in Loop: Header=BB124_5 Depth=1
	;; [unrolled: 36-line block ×3, first 2 shown]
	s_or_b64 exec, exec, s[8:9]
	v_add_co_u32_e32 v31, vcc, 0xffffffc8, v75
	v_addc_co_u32_e32 v32, vcc, -1, v76, vcc
	v_cmp_gt_i64_e32 vcc, s[12:13], v[31:32]
	v_mov_b32_e32 v31, 0
	v_mov_b32_e32 v32, 0
	s_and_b64 s[30:31], s[2:3], vcc
	s_and_saveexec_b64 s[8:9], s[30:31]
	s_cbranch_execz .LBB124_26
; %bb.25:                               ;   in Loop: Header=BB124_5 Depth=1
	v_add_co_u32_e32 v17, vcc, v46, v19
	v_addc_co_u32_e32 v18, vcc, v47, v20, vcc
	v_add_co_u32_e32 v31, vcc, v48, v19
	v_addc_co_u32_e32 v32, vcc, v49, v20, vcc
	global_load_dwordx2 v[17:18], v[17:18], off
	s_nop 0
	global_load_dwordx2 v[31:32], v[31:32], off
.LBB124_26:                             ;   in Loop: Header=BB124_5 Depth=1
	s_or_b64 exec, exec, s[8:9]
	s_waitcnt vmcnt(0)
	v_mul_f64 v[3:4], v[25:26], v[3:4]
	ds_bpermute_b32 v25, v74, v23
	ds_bpermute_b32 v26, v74, v24
	v_mul_f64 v[5:6], v[29:30], v[5:6]
	v_mul_f64 v[7:8], v[27:28], v[7:8]
	;; [unrolled: 1-line block ×3, first 2 shown]
	s_mov_b64 s[8:9], 0
	s_waitcnt lgkmcnt(0)
	v_fma_f64 v[3:4], v[3:4], v[25:26], v[21:22]
	ds_bpermute_b32 v25, v74, v23 offset:4
	ds_bpermute_b32 v26, v74, v24 offset:4
	s_waitcnt lgkmcnt(0)
	v_fma_f64 v[3:4], v[5:6], v[25:26], v[3:4]
	ds_bpermute_b32 v5, v74, v23 offset:8
	ds_bpermute_b32 v6, v74, v24 offset:8
	;; [unrolled: 4-line block ×3, first 2 shown]
	v_mul_f64 v[7:8], v[33:34], v[11:12]
	s_waitcnt lgkmcnt(0)
	v_fma_f64 v[3:4], v[9:10], v[5:6], v[3:4]
	ds_bpermute_b32 v5, v74, v23 offset:16
	ds_bpermute_b32 v6, v74, v24 offset:16
	v_mul_f64 v[9:10], v[39:40], v[13:14]
	s_waitcnt lgkmcnt(0)
	v_fma_f64 v[3:4], v[7:8], v[5:6], v[3:4]
	ds_bpermute_b32 v5, v74, v23 offset:20
	ds_bpermute_b32 v6, v74, v24 offset:20
	;; [unrolled: 1-line block ×4, first 2 shown]
	s_waitcnt lgkmcnt(2)
	v_fma_f64 v[3:4], v[9:10], v[5:6], v[3:4]
	v_mul_f64 v[5:6], v[37:38], v[15:16]
	s_waitcnt lgkmcnt(0)
	v_fma_f64 v[25:26], v[5:6], v[7:8], v[3:4]
	ds_bpermute_b32 v3, v74, v23 offset:28
	ds_bpermute_b32 v4, v74, v24 offset:28
.LBB124_27:                             ;   in Loop: Header=BB124_5 Depth=1
	s_and_b64 vcc, exec, s[8:9]
	s_cbranch_vccz .LBB124_4
; %bb.28:                               ;   in Loop: Header=BB124_5 Depth=1
	s_load_dword s8, s[22:23], 0x0
	v_mov_b32_e32 v25, 0
	v_mov_b32_e32 v23, 0
	;; [unrolled: 1-line block ×4, first 2 shown]
	s_waitcnt lgkmcnt(0)
	s_cmp_lt_u32 s6, s8
	s_cselect_b32 s8, 12, 18
	s_add_u32 s8, s22, s8
	s_addc_u32 s9, s23, 0
	global_load_ushort v3, v2, s[8:9]
	s_waitcnt vmcnt(0)
	v_mad_u32_u24 v3, v1, v3, v0
	v_and_b32_e32 v3, 63, v3
	v_cmp_gt_u32_e32 vcc, 8, v3
	s_and_saveexec_b64 s[8:9], vcc
	s_cbranch_execz .LBB124_32
; %bb.29:                               ;   in Loop: Header=BB124_5 Depth=1
	v_add_co_u32_e32 v3, vcc, v75, v3
	v_addc_co_u32_e32 v4, vcc, 0, v76, vcc
	v_add_co_u32_e32 v3, vcc, 0xffffffc1, v3
	v_addc_co_u32_e32 v4, vcc, -1, v4, vcc
	v_cmp_gt_i64_e32 vcc, s[12:13], v[3:4]
	v_mov_b32_e32 v23, 0
	v_mov_b32_e32 v24, 0
	s_and_saveexec_b64 s[30:31], vcc
	s_cbranch_execz .LBB124_31
; %bb.30:                               ;   in Loop: Header=BB124_5 Depth=1
	v_lshlrev_b64 v[3:4], 3, v[3:4]
	v_mov_b32_e32 v5, s11
	v_add_co_u32_e32 v3, vcc, s10, v3
	v_addc_co_u32_e32 v4, vcc, v5, v4, vcc
	global_load_dwordx2 v[23:24], v[3:4], off
.LBB124_31:                             ;   in Loop: Header=BB124_5 Depth=1
	s_or_b64 exec, exec, s[30:31]
.LBB124_32:                             ;   in Loop: Header=BB124_5 Depth=1
	s_or_b64 exec, exec, s[8:9]
	v_mov_b32_e32 v3, v2
	v_mov_b32_e32 v4, v2
	;; [unrolled: 1-line block ×31, first 2 shown]
	s_and_saveexec_b64 s[8:9], s[2:3]
	s_cbranch_execz .LBB124_34
; %bb.33:                               ;   in Loop: Header=BB124_5 Depth=1
	v_add_co_u32_e32 v3, vcc, v42, v19
	v_addc_co_u32_e32 v4, vcc, v43, v20, vcc
	v_add_co_u32_e32 v5, vcc, v44, v19
	v_addc_co_u32_e32 v6, vcc, v45, v20, vcc
	global_load_dwordx2 v[3:4], v[3:4], off
	v_mov_b32_e32 v7, v2
	global_load_dwordx2 v[25:26], v[5:6], off
	v_mov_b32_e32 v5, v2
	v_mov_b32_e32 v6, v2
	;; [unrolled: 1-line block ×13, first 2 shown]
.LBB124_34:                             ;   in Loop: Header=BB124_5 Depth=1
	s_or_b64 exec, exec, s[8:9]
	v_mov_b32_e32 v27, 0
	v_mov_b32_e32 v29, 0
	v_mov_b32_e32 v28, 0
	v_mov_b32_e32 v30, 0
	s_and_saveexec_b64 s[8:9], s[2:3]
	s_cbranch_execz .LBB124_36
; %bb.35:                               ;   in Loop: Header=BB124_5 Depth=1
	v_add_co_u32_e32 v5, vcc, v70, v19
	v_addc_co_u32_e32 v6, vcc, v71, v20, vcc
	v_add_co_u32_e32 v29, vcc, v72, v19
	v_addc_co_u32_e32 v30, vcc, v73, v20, vcc
	global_load_dwordx2 v[5:6], v[5:6], off
	s_nop 0
	global_load_dwordx2 v[29:30], v[29:30], off
.LBB124_36:                             ;   in Loop: Header=BB124_5 Depth=1
	s_or_b64 exec, exec, s[8:9]
	s_and_saveexec_b64 s[8:9], s[2:3]
	s_cbranch_execz .LBB124_38
; %bb.37:                               ;   in Loop: Header=BB124_5 Depth=1
	v_add_co_u32_e32 v7, vcc, v66, v19
	v_addc_co_u32_e32 v8, vcc, v67, v20, vcc
	v_add_co_u32_e32 v27, vcc, v68, v19
	v_addc_co_u32_e32 v28, vcc, v69, v20, vcc
	global_load_dwordx2 v[7:8], v[7:8], off
	s_nop 0
	global_load_dwordx2 v[27:28], v[27:28], off
.LBB124_38:                             ;   in Loop: Header=BB124_5 Depth=1
	s_or_b64 exec, exec, s[8:9]
	v_mov_b32_e32 v33, 0
	v_mov_b32_e32 v35, 0
	v_mov_b32_e32 v34, 0
	v_mov_b32_e32 v36, 0
	s_and_saveexec_b64 s[8:9], s[2:3]
	s_cbranch_execz .LBB124_40
; %bb.39:                               ;   in Loop: Header=BB124_5 Depth=1
	v_add_co_u32_e32 v9, vcc, v62, v19
	v_addc_co_u32_e32 v10, vcc, v63, v20, vcc
	v_add_co_u32_e32 v31, vcc, v64, v19
	v_addc_co_u32_e32 v32, vcc, v65, v20, vcc
	global_load_dwordx2 v[9:10], v[9:10], off
	s_nop 0
	global_load_dwordx2 v[35:36], v[31:32], off
.LBB124_40:                             ;   in Loop: Header=BB124_5 Depth=1
	s_or_b64 exec, exec, s[8:9]
	s_and_saveexec_b64 s[8:9], s[2:3]
	s_cbranch_execz .LBB124_42
; %bb.41:                               ;   in Loop: Header=BB124_5 Depth=1
	v_add_co_u32_e32 v11, vcc, v58, v19
	v_addc_co_u32_e32 v12, vcc, v59, v20, vcc
	v_add_co_u32_e32 v31, vcc, v60, v19
	v_addc_co_u32_e32 v32, vcc, v61, v20, vcc
	global_load_dwordx2 v[11:12], v[11:12], off
	s_nop 0
	global_load_dwordx2 v[33:34], v[31:32], off
.LBB124_42:                             ;   in Loop: Header=BB124_5 Depth=1
	;; [unrolled: 28-line block ×3, first 2 shown]
	s_or_b64 exec, exec, s[8:9]
	v_mov_b32_e32 v31, 0
	v_mov_b32_e32 v32, 0
	s_and_saveexec_b64 s[8:9], s[2:3]
	s_cbranch_execz .LBB124_3
; %bb.47:                               ;   in Loop: Header=BB124_5 Depth=1
	v_add_co_u32_e32 v17, vcc, v46, v19
	v_addc_co_u32_e32 v18, vcc, v47, v20, vcc
	v_add_co_u32_e32 v31, vcc, v48, v19
	v_addc_co_u32_e32 v32, vcc, v49, v20, vcc
	global_load_dwordx2 v[17:18], v[17:18], off
	s_nop 0
	global_load_dwordx2 v[31:32], v[31:32], off
	s_branch .LBB124_3
.LBB124_48:
                                        ; implicit-def: $vgpr21_vgpr22
	s_branch .LBB124_50
.LBB124_49:
	s_cbranch_execnz .LBB124_82
.LBB124_50:
	v_mov_b32_e32 v21, 0
	v_mov_b32_e32 v22, 0
	s_and_b64 vcc, exec, s[0:1]
	s_cbranch_vccnz .LBB124_82
; %bb.51:
	v_lshlrev_b32_e32 v69, 3, v1
	v_add_co_u32_e32 v6, vcc, s20, v69
	v_addc_co_u32_e64 v7, s[0:1], 0, 0, vcc
	s_load_dword s7, s[4:5], 0x44
	v_mul_lo_u32 v2, s15, v6
	v_mul_lo_u32 v3, s14, v7
	v_mad_u64_u32 v[4:5], s[0:1], s14, v6, 0
	s_add_u32 s2, s4, 64
	s_addc_u32 s3, s5, 0
	v_add3_u32 v5, v5, v3, v2
	s_waitcnt lgkmcnt(0)
	s_lshl_b32 s7, s7, 6
	v_lshlrev_b64 v[2:3], 3, v[4:5]
	s_mul_i32 s0, s15, s7
	s_mul_hi_u32 s1, s14, s7
	v_mov_b32_e32 v8, s17
	v_add_co_u32_e32 v70, vcc, s16, v2
	s_add_i32 s1, s1, s0
	s_mul_i32 s0, s14, s7
	v_addc_co_u32_e32 v71, vcc, v8, v3, vcc
	s_lshl_b64 s[8:9], s[0:1], 3
	v_mov_b32_e32 v8, s19
	v_add_co_u32_e32 v72, vcc, s18, v2
	s_add_u32 s22, s20, 63
	v_addc_co_u32_e32 v73, vcc, v8, v3, vcc
	s_addc_u32 s23, 0, 0
	v_lshlrev_b32_e32 v2, 6, v1
	s_lshl_b64 s[0:1], s[20:21], 3
	v_mov_b32_e32 v3, s1
	v_add_co_u32_e32 v8, vcc, s0, v2
	v_addc_co_u32_e32 v9, vcc, 0, v3, vcc
	v_add_co_u32_e32 v12, vcc, 8, v8
	v_addc_co_u32_e32 v10, vcc, 0, v9, vcc
	v_mov_b32_e32 v2, s16
	v_mul_lo_u32 v14, s14, v10
	v_mov_b32_e32 v10, s18
	v_mov_b32_e32 v3, s17
	v_mov_b32_e32 v11, s19
	v_mad_u64_u32 v[19:20], s[0:1], s14, v12, v[2:3]
	v_mul_lo_u32 v15, s15, v12
	v_mad_u64_u32 v[23:24], s[0:1], s14, v12, v[10:11]
	v_add_co_u32_e32 v12, vcc, 16, v8
	v_addc_co_u32_e32 v16, vcc, 0, v9, vcc
	v_mov_b32_e32 v13, s15
	v_add_co_u32_e32 v4, vcc, s14, v4
	v_addc_co_u32_e32 v5, vcc, v5, v13, vcc
	v_mul_lo_u32 v17, s15, v12
	v_mad_u64_u32 v[25:26], s[0:1], s14, v12, v[2:3]
	v_mad_u64_u32 v[27:28], s[0:1], s14, v12, v[10:11]
	v_add_co_u32_e32 v12, vcc, 24, v8
	v_addc_co_u32_e32 v13, vcc, 0, v9, vcc
	v_add3_u32 v20, v15, v20, v14
	v_add3_u32 v24, v15, v24, v14
	v_mul_lo_u32 v13, s14, v13
	v_mul_lo_u32 v14, s15, v12
	v_mad_u64_u32 v[29:30], s[0:1], s14, v12, v[2:3]
	v_mad_u64_u32 v[31:32], s[0:1], s14, v12, v[10:11]
	v_add_co_u32_e32 v12, vcc, 32, v8
	v_mul_lo_u32 v16, s14, v16
	v_addc_co_u32_e32 v15, vcc, 0, v9, vcc
	v_mul_lo_u32 v18, s15, v12
	v_mad_u64_u32 v[33:34], s[0:1], s14, v12, v[2:3]
	v_mad_u64_u32 v[35:36], s[0:1], s14, v12, v[10:11]
	v_add_co_u32_e32 v12, vcc, 40, v8
	v_add3_u32 v30, v14, v30, v13
	v_add3_u32 v32, v14, v32, v13
	v_addc_co_u32_e32 v13, vcc, 0, v9, vcc
	v_mul_lo_u32 v14, s15, v12
	v_mad_u64_u32 v[37:38], s[0:1], s14, v12, v[2:3]
	v_mad_u64_u32 v[39:40], s[0:1], s14, v12, v[10:11]
	v_add_co_u32_e32 v12, vcc, 48, v8
	v_add3_u32 v26, v17, v26, v16
	v_add3_u32 v28, v17, v28, v16
	v_addc_co_u32_e32 v16, vcc, 0, v9, vcc
	v_add_co_u32_e32 v8, vcc, 56, v8
	v_addc_co_u32_e32 v9, vcc, 0, v9, vcc
	v_mad_u64_u32 v[41:42], s[0:1], s14, v12, v[2:3]
	v_mad_u64_u32 v[45:46], s[0:1], s14, v8, v[2:3]
	v_add_co_u32_e32 v2, vcc, 7, v6
	v_addc_co_u32_e32 v3, vcc, 0, v7, vcc
	v_mad_u64_u32 v[43:44], s[0:1], s14, v12, v[10:11]
	v_mad_u64_u32 v[47:48], s[0:1], s14, v8, v[10:11]
	v_mul_lo_u32 v10, s14, v3
	v_mul_lo_u32 v11, s15, v2
	v_mad_u64_u32 v[2:3], s[0:1], s14, v2, 0
	v_mul_lo_u32 v9, s14, v9
	v_mul_lo_u32 v8, s15, v8
	v_add3_u32 v3, v3, v10, v11
	v_lshlrev_b64 v[2:3], 3, v[2:3]
	v_mul_lo_u32 v17, s15, v12
	v_add3_u32 v46, v8, v46, v9
	v_add3_u32 v48, v8, v48, v9
	v_mov_b32_e32 v8, s17
	v_add_co_u32_e32 v74, vcc, s16, v2
	v_addc_co_u32_e32 v75, vcc, v8, v3, vcc
	v_add_co_u32_e32 v8, vcc, 6, v6
	v_addc_co_u32_e32 v9, vcc, 0, v7, vcc
	v_mul_lo_u32 v11, s14, v9
	v_mul_lo_u32 v12, s15, v8
	v_mad_u64_u32 v[8:9], s[0:1], s14, v8, 0
	v_mov_b32_e32 v10, s19
	v_add_co_u32_e32 v76, vcc, s18, v2
	v_add3_u32 v9, v9, v11, v12
	v_addc_co_u32_e32 v77, vcc, v10, v3, vcc
	v_lshlrev_b64 v[2:3], 3, v[8:9]
	v_mov_b32_e32 v8, s17
	v_add_co_u32_e32 v78, vcc, s16, v2
	v_addc_co_u32_e32 v79, vcc, v8, v3, vcc
	v_add_co_u32_e32 v8, vcc, 5, v6
	v_addc_co_u32_e32 v9, vcc, 0, v7, vcc
	v_mul_lo_u32 v11, s14, v9
	v_mul_lo_u32 v12, s15, v8
	v_mad_u64_u32 v[8:9], s[0:1], s14, v8, 0
	v_add_co_u32_e32 v80, vcc, s18, v2
	v_add3_u32 v9, v9, v11, v12
	v_addc_co_u32_e32 v81, vcc, v10, v3, vcc
	v_lshlrev_b64 v[2:3], 3, v[8:9]
	v_mov_b32_e32 v8, s17
	v_add_co_u32_e32 v82, vcc, s16, v2
	v_addc_co_u32_e32 v83, vcc, v8, v3, vcc
	v_add_co_u32_e32 v8, vcc, 4, v6
	v_addc_co_u32_e32 v9, vcc, 0, v7, vcc
	v_mul_lo_u32 v11, s14, v9
	v_mul_lo_u32 v12, s15, v8
	v_mad_u64_u32 v[8:9], s[0:1], s14, v8, 0
	v_add_co_u32_e32 v84, vcc, s18, v2
	v_add3_u32 v9, v9, v11, v12
	v_addc_co_u32_e32 v85, vcc, v10, v3, vcc
	v_lshlrev_b64 v[2:3], 3, v[8:9]
	v_mov_b32_e32 v8, s17
	v_add_co_u32_e32 v86, vcc, s16, v2
	v_addc_co_u32_e32 v87, vcc, v8, v3, vcc
	v_add_co_u32_e32 v8, vcc, 3, v6
	v_addc_co_u32_e32 v9, vcc, 0, v7, vcc
	v_mul_lo_u32 v11, s14, v9
	v_mul_lo_u32 v12, s15, v8
	v_mad_u64_u32 v[8:9], s[0:1], s14, v8, 0
	v_add_co_u32_e32 v88, vcc, s18, v2
	v_add3_u32 v9, v9, v11, v12
	v_addc_co_u32_e32 v89, vcc, v10, v3, vcc
	v_lshlrev_b64 v[2:3], 3, v[8:9]
	v_mov_b32_e32 v8, s17
	v_add_co_u32_e32 v90, vcc, s16, v2
	v_addc_co_u32_e32 v91, vcc, v8, v3, vcc
	v_add_co_u32_e32 v6, vcc, 2, v6
	v_addc_co_u32_e32 v7, vcc, 0, v7, vcc
	v_mul_lo_u32 v9, s14, v7
	v_mul_lo_u32 v10, s15, v6
	v_mad_u64_u32 v[6:7], s[0:1], s14, v6, 0
	v_mov_b32_e32 v8, s19
	v_add_co_u32_e32 v92, vcc, s18, v2
	v_add3_u32 v7, v7, v9, v10
	v_addc_co_u32_e32 v93, vcc, v8, v3, vcc
	v_lshlrev_b64 v[2:3], 3, v[6:7]
	v_mov_b32_e32 v6, s17
	v_add_co_u32_e32 v94, vcc, s16, v2
	v_addc_co_u32_e32 v95, vcc, v6, v3, vcc
	v_mov_b32_e32 v6, s19
	v_add_co_u32_e32 v96, vcc, s18, v2
	v_addc_co_u32_e32 v97, vcc, v6, v3, vcc
	v_lshlrev_b64 v[2:3], 3, v[4:5]
	v_mov_b32_e32 v4, s17
	v_add_co_u32_e32 v98, vcc, s16, v2
	v_addc_co_u32_e32 v99, vcc, v4, v3, vcc
	v_mov_b32_e32 v4, s19
	v_add_co_u32_e32 v100, vcc, s18, v2
	v_mov_b32_e32 v2, 0
	v_mul_lo_u32 v15, s14, v15
	v_mul_lo_u32 v13, s14, v13
	;; [unrolled: 1-line block ×3, first 2 shown]
	v_addc_co_u32_e32 v101, vcc, v4, v3, vcc
	v_add_u32_e32 v3, s33, v0
	v_mov_b32_e32 v4, v2
	v_lshlrev_b64 v[49:50], 3, v[3:4]
	v_mbcnt_lo_u32_b32 v3, -1, 0
	v_mbcnt_hi_u32_b32 v3, -1, v3
	v_lshlrev_b32_e32 v3, 2, v3
	v_mov_b32_e32 v51, 0
	v_add3_u32 v34, v18, v34, v15
	v_add3_u32 v36, v18, v36, v15
	;; [unrolled: 1-line block ×6, first 2 shown]
	v_mov_b32_e32 v52, 0
	v_and_b32_e32 v102, 0x100, v3
.LBB124_52:                             ; =>This Inner Loop Header: Depth=1
	v_mov_b32_e32 v3, s12
	v_mov_b32_e32 v4, s13
	v_cmp_ge_i64_e32 vcc, s[22:23], v[3:4]
	v_mov_b32_e32 v3, s23
	v_add_co_u32_e64 v103, s[0:1], s22, v69
	v_addc_co_u32_e64 v104, s[0:1], 0, v3, s[0:1]
	s_mov_b64 s[0:1], -1
                                        ; implicit-def: $vgpr21_vgpr22
	s_cbranch_vccz .LBB124_74
; %bb.53:                               ;   in Loop: Header=BB124_52 Depth=1
	s_load_dword s0, s[2:3], 0xc
	v_mov_b32_e32 v53, 0
	v_mov_b32_e32 v21, 0
	;; [unrolled: 1-line block ×4, first 2 shown]
	s_waitcnt lgkmcnt(0)
	s_and_b32 s0, s0, 0xffff
	v_mad_u32_u24 v3, v1, s0, v0
	v_and_b32_e32 v3, 63, v3
	v_cmp_gt_u32_e32 vcc, 8, v3
	s_and_saveexec_b64 s[0:1], vcc
	s_cbranch_execz .LBB124_57
; %bb.54:                               ;   in Loop: Header=BB124_52 Depth=1
	v_add_co_u32_e32 v3, vcc, v103, v3
	v_addc_co_u32_e32 v4, vcc, 0, v104, vcc
	v_add_co_u32_e32 v3, vcc, 0xffffffc1, v3
	v_addc_co_u32_e32 v4, vcc, -1, v4, vcc
	v_cmp_gt_i64_e32 vcc, s[12:13], v[3:4]
	v_mov_b32_e32 v21, 0
	v_mov_b32_e32 v22, 0
	s_and_saveexec_b64 s[16:17], vcc
	s_cbranch_execz .LBB124_56
; %bb.55:                               ;   in Loop: Header=BB124_52 Depth=1
	v_lshlrev_b64 v[3:4], 3, v[3:4]
	v_mov_b32_e32 v5, s11
	v_add_co_u32_e32 v3, vcc, s10, v3
	v_addc_co_u32_e32 v4, vcc, v5, v4, vcc
	global_load_dwordx2 v[21:22], v[3:4], off
.LBB124_56:                             ;   in Loop: Header=BB124_52 Depth=1
	s_or_b64 exec, exec, s[16:17]
.LBB124_57:                             ;   in Loop: Header=BB124_52 Depth=1
	s_or_b64 exec, exec, s[0:1]
	v_add_co_u32_e32 v3, vcc, 0xffffffc1, v103
	v_addc_co_u32_e32 v4, vcc, -1, v104, vcc
	v_cmp_gt_i64_e32 vcc, s[12:13], v[3:4]
	v_mov_b32_e32 v3, v2
	v_mov_b32_e32 v4, v2
	;; [unrolled: 1-line block ×31, first 2 shown]
	s_and_saveexec_b64 s[0:1], vcc
	s_cbranch_execz .LBB124_59
; %bb.58:                               ;   in Loop: Header=BB124_52 Depth=1
	v_add_co_u32_e32 v3, vcc, v70, v49
	v_addc_co_u32_e32 v4, vcc, v71, v50, vcc
	v_add_co_u32_e32 v5, vcc, v72, v49
	v_addc_co_u32_e32 v6, vcc, v73, v50, vcc
	global_load_dwordx2 v[3:4], v[3:4], off
	v_mov_b32_e32 v7, v2
	global_load_dwordx2 v[53:54], v[5:6], off
	v_mov_b32_e32 v5, v2
	v_mov_b32_e32 v6, v2
	;; [unrolled: 1-line block ×13, first 2 shown]
.LBB124_59:                             ;   in Loop: Header=BB124_52 Depth=1
	s_or_b64 exec, exec, s[0:1]
	v_add_co_u32_e32 v55, vcc, 0xffffffc2, v103
	v_addc_co_u32_e32 v56, vcc, -1, v104, vcc
	v_cmp_gt_i64_e32 vcc, s[12:13], v[55:56]
	v_mov_b32_e32 v55, 0
	v_mov_b32_e32 v57, 0
	v_mov_b32_e32 v56, 0
	v_mov_b32_e32 v58, 0
	s_and_saveexec_b64 s[0:1], vcc
	s_cbranch_execz .LBB124_61
; %bb.60:                               ;   in Loop: Header=BB124_52 Depth=1
	v_add_co_u32_e32 v5, vcc, v98, v49
	v_addc_co_u32_e32 v6, vcc, v99, v50, vcc
	v_add_co_u32_e32 v57, vcc, v100, v49
	v_addc_co_u32_e32 v58, vcc, v101, v50, vcc
	global_load_dwordx2 v[5:6], v[5:6], off
	s_nop 0
	global_load_dwordx2 v[57:58], v[57:58], off
.LBB124_61:                             ;   in Loop: Header=BB124_52 Depth=1
	s_or_b64 exec, exec, s[0:1]
	v_add_co_u32_e32 v59, vcc, 0xffffffc3, v103
	v_addc_co_u32_e32 v60, vcc, -1, v104, vcc
	v_cmp_gt_i64_e32 vcc, s[12:13], v[59:60]
	s_and_saveexec_b64 s[0:1], vcc
	s_cbranch_execz .LBB124_63
; %bb.62:                               ;   in Loop: Header=BB124_52 Depth=1
	v_add_co_u32_e32 v7, vcc, v94, v49
	v_addc_co_u32_e32 v8, vcc, v95, v50, vcc
	v_add_co_u32_e32 v55, vcc, v96, v49
	v_addc_co_u32_e32 v56, vcc, v97, v50, vcc
	global_load_dwordx2 v[7:8], v[7:8], off
	s_nop 0
	global_load_dwordx2 v[55:56], v[55:56], off
.LBB124_63:                             ;   in Loop: Header=BB124_52 Depth=1
	s_or_b64 exec, exec, s[0:1]
	v_add_co_u32_e32 v59, vcc, 0xffffffc4, v103
	v_addc_co_u32_e32 v60, vcc, -1, v104, vcc
	v_cmp_gt_i64_e32 vcc, s[12:13], v[59:60]
	v_mov_b32_e32 v59, 0
	v_mov_b32_e32 v61, 0
	v_mov_b32_e32 v60, 0
	v_mov_b32_e32 v62, 0
	s_and_saveexec_b64 s[0:1], vcc
	s_cbranch_execz .LBB124_65
; %bb.64:                               ;   in Loop: Header=BB124_52 Depth=1
	v_add_co_u32_e32 v9, vcc, v90, v49
	v_addc_co_u32_e32 v10, vcc, v91, v50, vcc
	v_add_co_u32_e32 v61, vcc, v92, v49
	v_addc_co_u32_e32 v62, vcc, v93, v50, vcc
	global_load_dwordx2 v[9:10], v[9:10], off
	s_nop 0
	global_load_dwordx2 v[61:62], v[61:62], off
.LBB124_65:                             ;   in Loop: Header=BB124_52 Depth=1
	s_or_b64 exec, exec, s[0:1]
	v_add_co_u32_e32 v63, vcc, 0xffffffc5, v103
	v_addc_co_u32_e32 v64, vcc, -1, v104, vcc
	v_cmp_gt_i64_e32 vcc, s[12:13], v[63:64]
	s_and_saveexec_b64 s[0:1], vcc
	s_cbranch_execz .LBB124_67
; %bb.66:                               ;   in Loop: Header=BB124_52 Depth=1
	v_add_co_u32_e32 v11, vcc, v86, v49
	v_addc_co_u32_e32 v12, vcc, v87, v50, vcc
	v_add_co_u32_e32 v59, vcc, v88, v49
	v_addc_co_u32_e32 v60, vcc, v89, v50, vcc
	global_load_dwordx2 v[11:12], v[11:12], off
	s_nop 0
	global_load_dwordx2 v[59:60], v[59:60], off
.LBB124_67:                             ;   in Loop: Header=BB124_52 Depth=1
	;; [unrolled: 34-line block ×3, first 2 shown]
	s_or_b64 exec, exec, s[0:1]
	v_add_co_u32_e32 v67, vcc, 0xffffffc8, v103
	v_addc_co_u32_e32 v68, vcc, -1, v104, vcc
	v_cmp_gt_i64_e32 vcc, s[12:13], v[67:68]
	v_mov_b32_e32 v67, 0
	v_mov_b32_e32 v68, 0
	s_and_saveexec_b64 s[0:1], vcc
	s_cbranch_execz .LBB124_73
; %bb.72:                               ;   in Loop: Header=BB124_52 Depth=1
	v_add_co_u32_e32 v17, vcc, v74, v49
	v_addc_co_u32_e32 v18, vcc, v75, v50, vcc
	v_add_co_u32_e32 v67, vcc, v76, v49
	v_addc_co_u32_e32 v68, vcc, v77, v50, vcc
	global_load_dwordx2 v[17:18], v[17:18], off
	s_nop 0
	global_load_dwordx2 v[67:68], v[67:68], off
.LBB124_73:                             ;   in Loop: Header=BB124_52 Depth=1
	s_or_b64 exec, exec, s[0:1]
	s_waitcnt vmcnt(0)
	v_mul_f64 v[3:4], v[53:54], v[3:4]
	ds_bpermute_b32 v53, v102, v21
	ds_bpermute_b32 v54, v102, v22
	v_mul_f64 v[5:6], v[57:58], v[5:6]
	v_mul_f64 v[7:8], v[55:56], v[7:8]
	;; [unrolled: 1-line block ×3, first 2 shown]
	s_mov_b64 s[0:1], 0
	s_waitcnt lgkmcnt(0)
	v_fma_f64 v[3:4], v[3:4], v[53:54], v[51:52]
	ds_bpermute_b32 v53, v102, v21 offset:4
	ds_bpermute_b32 v54, v102, v22 offset:4
	s_waitcnt lgkmcnt(0)
	v_fma_f64 v[3:4], v[5:6], v[53:54], v[3:4]
	ds_bpermute_b32 v5, v102, v21 offset:8
	ds_bpermute_b32 v6, v102, v22 offset:8
	;; [unrolled: 4-line block ×3, first 2 shown]
	v_mul_f64 v[7:8], v[59:60], v[11:12]
	s_waitcnt lgkmcnt(0)
	v_fma_f64 v[3:4], v[9:10], v[5:6], v[3:4]
	ds_bpermute_b32 v5, v102, v21 offset:16
	ds_bpermute_b32 v6, v102, v22 offset:16
	v_mul_f64 v[9:10], v[65:66], v[13:14]
	s_waitcnt lgkmcnt(0)
	v_fma_f64 v[3:4], v[7:8], v[5:6], v[3:4]
	ds_bpermute_b32 v5, v102, v21 offset:20
	ds_bpermute_b32 v6, v102, v22 offset:20
	;; [unrolled: 5-line block ×3, first 2 shown]
	s_waitcnt lgkmcnt(0)
	v_fma_f64 v[3:4], v[7:8], v[5:6], v[3:4]
	v_mul_f64 v[5:6], v[67:68], v[17:18]
	ds_bpermute_b32 v7, v102, v21 offset:28
	ds_bpermute_b32 v8, v102, v22 offset:28
	s_waitcnt lgkmcnt(0)
	v_fma_f64 v[21:22], v[5:6], v[7:8], v[3:4]
.LBB124_74:                             ;   in Loop: Header=BB124_52 Depth=1
	s_and_b64 vcc, exec, s[0:1]
	s_cbranch_vccz .LBB124_80
; %bb.75:                               ;   in Loop: Header=BB124_52 Depth=1
	s_load_dword s0, s[2:3], 0x0
	s_waitcnt lgkmcnt(0)
	s_cmp_lt_u32 s6, s0
	s_cselect_b32 s0, 12, 18
	s_add_u32 s0, s2, s0
	s_addc_u32 s1, s3, 0
	global_load_ushort v3, v2, s[0:1]
	s_waitcnt vmcnt(0)
	v_mad_u32_u24 v3, v1, v3, v0
	v_and_b32_e32 v5, 63, v3
	v_mov_b32_e32 v3, 0
	v_mov_b32_e32 v4, 0
	v_cmp_gt_u32_e32 vcc, 8, v5
	s_and_saveexec_b64 s[0:1], vcc
	s_cbranch_execz .LBB124_79
; %bb.76:                               ;   in Loop: Header=BB124_52 Depth=1
	v_add_co_u32_e32 v3, vcc, v103, v5
	v_addc_co_u32_e32 v4, vcc, 0, v104, vcc
	v_add_co_u32_e32 v5, vcc, 0xffffffc1, v3
	v_addc_co_u32_e32 v6, vcc, -1, v4, vcc
	v_cmp_gt_i64_e32 vcc, s[12:13], v[5:6]
	v_mov_b32_e32 v3, 0
	v_mov_b32_e32 v4, 0
	s_and_saveexec_b64 s[16:17], vcc
	s_cbranch_execz .LBB124_78
; %bb.77:                               ;   in Loop: Header=BB124_52 Depth=1
	v_lshlrev_b64 v[3:4], 3, v[5:6]
	v_mov_b32_e32 v5, s11
	v_add_co_u32_e32 v3, vcc, s10, v3
	v_addc_co_u32_e32 v4, vcc, v5, v4, vcc
	global_load_dwordx2 v[3:4], v[3:4], off
.LBB124_78:                             ;   in Loop: Header=BB124_52 Depth=1
	s_or_b64 exec, exec, s[16:17]
.LBB124_79:                             ;   in Loop: Header=BB124_52 Depth=1
	s_or_b64 exec, exec, s[0:1]
	v_add_co_u32_e32 v5, vcc, v70, v49
	v_addc_co_u32_e32 v6, vcc, v71, v50, vcc
	v_add_co_u32_e32 v7, vcc, v72, v49
	v_addc_co_u32_e32 v8, vcc, v73, v50, vcc
	global_load_dwordx2 v[5:6], v[5:6], off
	v_add_co_u32_e32 v9, vcc, v19, v49
	global_load_dwordx2 v[7:8], v[7:8], off
	v_addc_co_u32_e32 v10, vcc, v20, v50, vcc
	v_add_co_u32_e32 v11, vcc, v23, v49
	v_addc_co_u32_e32 v12, vcc, v24, v50, vcc
	global_load_dwordx2 v[9:10], v[9:10], off
	v_add_co_u32_e32 v13, vcc, v25, v49
	global_load_dwordx2 v[11:12], v[11:12], off
	;; [unrolled: 6-line block ×7, first 2 shown]
	v_addc_co_u32_e32 v66, vcc, v46, v50, vcc
	v_add_co_u32_e32 v67, vcc, v47, v49
	v_addc_co_u32_e32 v68, vcc, v48, v50, vcc
	global_load_dwordx2 v[65:66], v[65:66], off
	s_waitcnt vmcnt(13)
	v_mul_f64 v[5:6], v[5:6], v[7:8]
	global_load_dwordx2 v[67:68], v[67:68], off
	ds_bpermute_b32 v7, v102, v3
	ds_bpermute_b32 v8, v102, v4
	s_waitcnt lgkmcnt(0)
	v_fma_f64 v[5:6], v[5:6], v[7:8], v[51:52]
	ds_bpermute_b32 v7, v102, v3 offset:4
	s_waitcnt vmcnt(12)
	v_mul_f64 v[9:10], v[9:10], v[11:12]
	ds_bpermute_b32 v8, v102, v4 offset:4
	s_waitcnt lgkmcnt(0)
	v_fma_f64 v[5:6], v[9:10], v[7:8], v[5:6]
	ds_bpermute_b32 v7, v102, v3 offset:8
	s_waitcnt vmcnt(10)
	v_mul_f64 v[11:12], v[13:14], v[15:16]
	ds_bpermute_b32 v8, v102, v4 offset:8
	;; [unrolled: 6-line block ×6, first 2 shown]
	ds_bpermute_b32 v3, v102, v3 offset:28
	ds_bpermute_b32 v4, v102, v4 offset:28
	s_waitcnt lgkmcnt(2)
	v_fma_f64 v[5:6], v[11:12], v[7:8], v[5:6]
	s_waitcnt vmcnt(0)
	v_mul_f64 v[7:8], v[65:66], v[67:68]
	s_waitcnt lgkmcnt(0)
	v_fma_f64 v[21:22], v[7:8], v[3:4], v[5:6]
.LBB124_80:                             ;   in Loop: Header=BB124_52 Depth=1
	v_mov_b32_e32 v5, s9
	v_add_co_u32_e32 v70, vcc, s8, v70
	v_addc_co_u32_e32 v71, vcc, v71, v5, vcc
	v_add_co_u32_e32 v72, vcc, s8, v72
	v_addc_co_u32_e32 v73, vcc, v73, v5, vcc
	;; [unrolled: 2-line block ×28, first 2 shown]
	s_add_u32 s20, s20, s7
	v_add_co_u32_e32 v98, vcc, s8, v98
	v_mov_b32_e32 v3, s12
	s_addc_u32 s21, s21, 0
	v_addc_co_u32_e32 v99, vcc, v99, v5, vcc
	v_mov_b32_e32 v4, s13
	v_cmp_ge_i64_e32 vcc, s[20:21], v[3:4]
	s_add_u32 s22, s22, s7
	v_add_co_u32_e64 v100, s[0:1], s8, v100
	s_addc_u32 s23, s23, 0
	v_addc_co_u32_e64 v101, s[0:1], v101, v5, s[0:1]
	s_cbranch_vccnz .LBB124_82
; %bb.81:                               ;   in Loop: Header=BB124_52 Depth=1
	v_mov_b32_e32 v52, v22
	v_mov_b32_e32 v51, v21
	s_branch .LBB124_52
.LBB124_82:
	s_movk_i32 s0, 0x41
	v_mad_u32_u24 v2, v1, s0, v0
	v_lshl_add_u32 v4, v2, 3, 0
	v_mov_b32_e32 v2, 0
	v_mov_b32_e32 v3, v2
	ds_write_b64 v4, v[2:3] offset:4160
	v_lshrrev_b32_e32 v2, 6, v0
	ds_write_b64 v4, v[21:22]
	v_add_u32_e32 v4, v2, v1
	v_cmp_gt_u32_e32 vcc, 64, v4
	s_waitcnt lgkmcnt(0)
	s_barrier
	s_and_saveexec_b64 s[0:1], vcc
	s_cbranch_execz .LBB124_122
; %bb.83:
	s_load_dwordx2 s[4:5], s[4:5], 0x30
	v_and_b32_e32 v1, 63, v0
	v_cmp_gt_u32_e32 vcc, 8, v1
	v_mul_u32_u24_e32 v5, 0x41, v1
                                        ; implicit-def: $vgpr1_vgpr2
	s_and_saveexec_b64 s[0:1], vcc
; %bb.84:
	v_lshlrev_b32_e32 v1, 3, v4
	v_lshlrev_b32_e32 v2, 3, v5
	v_add3_u32 v1, 0, v1, v2
	ds_read_b64 v[1:2], v1
; %bb.85:
	s_or_b64 exec, exec, s[0:1]
	v_mbcnt_lo_u32_b32 v3, -1, 0
	v_mbcnt_hi_u32_b32 v3, -1, v3
	v_and_b32_e32 v6, 64, v3
	v_add_u32_e32 v10, 64, v6
	v_xor_b32_e32 v6, 4, v3
	v_cmp_lt_i32_e64 s[0:1], v6, v10
	v_cndmask_b32_e64 v6, v3, v6, s[0:1]
	v_lshlrev_b32_e32 v6, 2, v6
	s_waitcnt lgkmcnt(0)
	ds_bpermute_b32 v7, v6, v1
	ds_bpermute_b32 v8, v6, v2
	s_mov_b32 s7, 0
	s_lshl_b64 s[6:7], s[6:7], 6
	s_cmp_eq_u64 s[4:5], 0
	s_cselect_b64 s[8:9], -1, 0
	s_waitcnt lgkmcnt(0)
	v_add_f64 v[1:2], v[1:2], v[7:8]
	v_xor_b32_e32 v7, 2, v3
	v_cmp_lt_i32_e64 s[0:1], v7, v10
	v_cndmask_b32_e64 v7, v3, v7, s[0:1]
	v_lshlrev_b32_e32 v7, 2, v7
	ds_bpermute_b32 v8, v7, v1
	ds_bpermute_b32 v9, v7, v2
	s_waitcnt lgkmcnt(0)
	v_add_f64 v[1:2], v[1:2], v[8:9]
	v_xor_b32_e32 v8, 1, v3
	v_cmp_lt_i32_e64 s[0:1], v8, v10
	v_cndmask_b32_e64 v3, v3, v8, s[0:1]
	v_lshlrev_b32_e32 v8, 2, v3
	v_cmp_ne_u32_e64 s[0:1], 0, v0
	v_mov_b32_e32 v3, s7
	ds_bpermute_b32 v9, v8, v1
	ds_bpermute_b32 v10, v8, v2
	s_waitcnt lgkmcnt(0)
	v_add_f64 v[0:1], v[1:2], v[9:10]
	v_or_b32_e32 v2, s6, v4
	v_cmp_le_i64_e64 s[2:3], s[14:15], v[2:3]
	s_or_b64 s[2:3], s[0:1], s[2:3]
	s_nor_b64 s[2:3], s[8:9], s[2:3]
	s_and_saveexec_b64 s[10:11], s[2:3]
	s_cbranch_execz .LBB124_87
; %bb.86:
	v_lshlrev_b64 v[2:3], 3, v[2:3]
	v_mov_b32_e32 v9, s5
	v_add_co_u32_e64 v2, s[2:3], s4, v2
	v_addc_co_u32_e64 v3, s[2:3], v9, v3, s[2:3]
	global_store_dwordx2 v[2:3], v[0:1], off
.LBB124_87:
	s_or_b64 exec, exec, s[10:11]
	v_cmp_gt_u32_e64 s[2:3], 56, v4
	s_and_b64 exec, exec, s[2:3]
	s_cbranch_execz .LBB124_122
; %bb.88:
	s_and_saveexec_b64 s[2:3], vcc
; %bb.89:
	v_lshlrev_b32_e32 v0, 3, v4
	v_lshlrev_b32_e32 v1, 3, v5
	v_add3_u32 v0, 0, v0, v1
	ds_read_b64 v[0:1], v0 offset:64
; %bb.90:
	s_or_b64 exec, exec, s[2:3]
	s_waitcnt lgkmcnt(0)
	ds_bpermute_b32 v2, v6, v0
	ds_bpermute_b32 v3, v6, v1
	v_add_u32_e32 v9, 8, v4
	v_mov_b32_e32 v10, s7
	s_waitcnt lgkmcnt(0)
	v_add_f64 v[0:1], v[0:1], v[2:3]
	ds_bpermute_b32 v2, v7, v0
	ds_bpermute_b32 v3, v7, v1
	s_waitcnt lgkmcnt(0)
	v_add_f64 v[0:1], v[0:1], v[2:3]
	ds_bpermute_b32 v2, v8, v0
	ds_bpermute_b32 v3, v8, v1
	s_waitcnt lgkmcnt(0)
	v_add_f64 v[0:1], v[0:1], v[2:3]
	v_add_co_u32_e64 v2, s[2:3], s6, v9
	v_addc_co_u32_e64 v3, s[2:3], 0, v10, s[2:3]
	v_cmp_le_i64_e64 s[2:3], s[14:15], v[2:3]
	s_or_b64 s[2:3], s[0:1], s[2:3]
	s_nor_b64 s[2:3], s[8:9], s[2:3]
	s_and_saveexec_b64 s[10:11], s[2:3]
	s_cbranch_execz .LBB124_92
; %bb.91:
	v_mov_b32_e32 v3, s7
	v_add_co_u32_e64 v2, s[2:3], s6, v4
	v_addc_co_u32_e64 v3, s[2:3], 0, v3, s[2:3]
	v_lshlrev_b64 v[2:3], 3, v[2:3]
	v_mov_b32_e32 v9, s5
	v_add_co_u32_e64 v2, s[2:3], s4, v2
	v_addc_co_u32_e64 v3, s[2:3], v9, v3, s[2:3]
	global_store_dwordx2 v[2:3], v[0:1], off offset:64
.LBB124_92:
	s_or_b64 exec, exec, s[10:11]
	v_cmp_gt_u32_e64 s[2:3], 48, v4
	s_and_b64 exec, exec, s[2:3]
	s_cbranch_execz .LBB124_122
; %bb.93:
	s_and_saveexec_b64 s[2:3], vcc
; %bb.94:
	v_lshlrev_b32_e32 v0, 3, v4
	v_lshlrev_b32_e32 v1, 3, v5
	v_add3_u32 v0, 0, v0, v1
	ds_read_b64 v[0:1], v0 offset:128
; %bb.95:
	s_or_b64 exec, exec, s[2:3]
	s_waitcnt lgkmcnt(0)
	ds_bpermute_b32 v2, v6, v0
	ds_bpermute_b32 v3, v6, v1
	v_add_u32_e32 v9, 16, v4
	v_mov_b32_e32 v10, s7
	s_waitcnt lgkmcnt(0)
	v_add_f64 v[0:1], v[0:1], v[2:3]
	ds_bpermute_b32 v2, v7, v0
	ds_bpermute_b32 v3, v7, v1
	s_waitcnt lgkmcnt(0)
	v_add_f64 v[0:1], v[0:1], v[2:3]
	ds_bpermute_b32 v2, v8, v0
	ds_bpermute_b32 v3, v8, v1
	s_waitcnt lgkmcnt(0)
	v_add_f64 v[0:1], v[0:1], v[2:3]
	v_add_co_u32_e64 v2, s[2:3], s6, v9
	v_addc_co_u32_e64 v3, s[2:3], 0, v10, s[2:3]
	v_cmp_le_i64_e64 s[2:3], s[14:15], v[2:3]
	s_or_b64 s[2:3], s[0:1], s[2:3]
	s_nor_b64 s[2:3], s[8:9], s[2:3]
	s_and_saveexec_b64 s[10:11], s[2:3]
	s_cbranch_execz .LBB124_97
; %bb.96:
	v_mov_b32_e32 v3, s7
	v_add_co_u32_e64 v2, s[2:3], s6, v4
	v_addc_co_u32_e64 v3, s[2:3], 0, v3, s[2:3]
	v_lshlrev_b64 v[2:3], 3, v[2:3]
	v_mov_b32_e32 v9, s5
	v_add_co_u32_e64 v2, s[2:3], s4, v2
	v_addc_co_u32_e64 v3, s[2:3], v9, v3, s[2:3]
	global_store_dwordx2 v[2:3], v[0:1], off offset:128
.LBB124_97:
	;; [unrolled: 45-line block ×3, first 2 shown]
	s_or_b64 exec, exec, s[10:11]
	v_cmp_gt_u32_e64 s[2:3], 32, v4
	s_and_b64 exec, exec, s[2:3]
	s_cbranch_execz .LBB124_122
; %bb.103:
	s_and_saveexec_b64 s[2:3], vcc
; %bb.104:
	v_lshlrev_b32_e32 v0, 3, v4
	v_lshlrev_b32_e32 v1, 3, v5
	v_add3_u32 v0, 0, v0, v1
	ds_read_b64 v[0:1], v0 offset:256
; %bb.105:
	s_or_b64 exec, exec, s[2:3]
	s_waitcnt lgkmcnt(0)
	ds_bpermute_b32 v2, v6, v0
	ds_bpermute_b32 v3, v6, v1
	s_waitcnt lgkmcnt(0)
	v_add_f64 v[0:1], v[0:1], v[2:3]
	ds_bpermute_b32 v2, v7, v0
	ds_bpermute_b32 v3, v7, v1
	s_waitcnt lgkmcnt(0)
	v_add_f64 v[0:1], v[0:1], v[2:3]
	;; [unrolled: 4-line block ×3, first 2 shown]
	v_add_u32_e32 v2, 32, v4
	v_or_b32_e32 v2, s6, v2
	v_mov_b32_e32 v3, s7
	v_cmp_le_i64_e64 s[2:3], s[14:15], v[2:3]
	s_or_b64 s[2:3], s[0:1], s[2:3]
	s_nor_b64 s[2:3], s[8:9], s[2:3]
	s_and_saveexec_b64 s[10:11], s[2:3]
	s_cbranch_execz .LBB124_107
; %bb.106:
	v_mov_b32_e32 v3, s7
	v_add_co_u32_e64 v2, s[2:3], s6, v4
	v_addc_co_u32_e64 v3, s[2:3], 0, v3, s[2:3]
	v_lshlrev_b64 v[2:3], 3, v[2:3]
	v_mov_b32_e32 v9, s5
	v_add_co_u32_e64 v2, s[2:3], s4, v2
	v_addc_co_u32_e64 v3, s[2:3], v9, v3, s[2:3]
	global_store_dwordx2 v[2:3], v[0:1], off offset:256
.LBB124_107:
	s_or_b64 exec, exec, s[10:11]
	v_cmp_gt_u32_e64 s[2:3], 24, v4
	s_and_b64 exec, exec, s[2:3]
	s_cbranch_execz .LBB124_122
; %bb.108:
	s_and_saveexec_b64 s[2:3], vcc
; %bb.109:
	v_lshlrev_b32_e32 v0, 3, v4
	v_lshlrev_b32_e32 v1, 3, v5
	v_add3_u32 v0, 0, v0, v1
	ds_read_b64 v[0:1], v0 offset:320
; %bb.110:
	s_or_b64 exec, exec, s[2:3]
	s_waitcnt lgkmcnt(0)
	ds_bpermute_b32 v2, v6, v0
	ds_bpermute_b32 v3, v6, v1
	v_add_u32_e32 v9, 40, v4
	v_mov_b32_e32 v10, s7
	s_waitcnt lgkmcnt(0)
	v_add_f64 v[0:1], v[0:1], v[2:3]
	ds_bpermute_b32 v2, v7, v0
	ds_bpermute_b32 v3, v7, v1
	s_waitcnt lgkmcnt(0)
	v_add_f64 v[0:1], v[0:1], v[2:3]
	ds_bpermute_b32 v2, v8, v0
	ds_bpermute_b32 v3, v8, v1
	s_waitcnt lgkmcnt(0)
	v_add_f64 v[0:1], v[0:1], v[2:3]
	v_add_co_u32_e64 v2, s[2:3], s6, v9
	v_addc_co_u32_e64 v3, s[2:3], 0, v10, s[2:3]
	v_cmp_le_i64_e64 s[2:3], s[14:15], v[2:3]
	s_or_b64 s[2:3], s[0:1], s[2:3]
	s_nor_b64 s[2:3], s[8:9], s[2:3]
	s_and_saveexec_b64 s[10:11], s[2:3]
	s_cbranch_execz .LBB124_112
; %bb.111:
	v_mov_b32_e32 v3, s7
	v_add_co_u32_e64 v2, s[2:3], s6, v4
	v_addc_co_u32_e64 v3, s[2:3], 0, v3, s[2:3]
	v_lshlrev_b64 v[2:3], 3, v[2:3]
	v_mov_b32_e32 v9, s5
	v_add_co_u32_e64 v2, s[2:3], s4, v2
	v_addc_co_u32_e64 v3, s[2:3], v9, v3, s[2:3]
	global_store_dwordx2 v[2:3], v[0:1], off offset:320
.LBB124_112:
	s_or_b64 exec, exec, s[10:11]
	v_cmp_gt_u32_e64 s[2:3], 16, v4
	s_and_b64 exec, exec, s[2:3]
	s_cbranch_execz .LBB124_122
; %bb.113:
	s_and_saveexec_b64 s[2:3], vcc
; %bb.114:
	v_lshlrev_b32_e32 v0, 3, v4
	v_lshlrev_b32_e32 v1, 3, v5
	v_add3_u32 v0, 0, v0, v1
	ds_read_b64 v[0:1], v0 offset:384
; %bb.115:
	s_or_b64 exec, exec, s[2:3]
	s_waitcnt lgkmcnt(0)
	ds_bpermute_b32 v2, v6, v0
	ds_bpermute_b32 v3, v6, v1
	s_waitcnt lgkmcnt(0)
	v_add_f64 v[0:1], v[0:1], v[2:3]
	ds_bpermute_b32 v2, v7, v0
	ds_bpermute_b32 v3, v7, v1
	s_waitcnt lgkmcnt(0)
	v_add_f64 v[0:1], v[0:1], v[2:3]
	;; [unrolled: 4-line block ×3, first 2 shown]
	v_add_u32_e32 v2, 48, v4
	v_or_b32_e32 v2, s6, v2
	v_mov_b32_e32 v3, s7
	v_cmp_le_i64_e64 s[2:3], s[14:15], v[2:3]
	s_or_b64 s[2:3], s[0:1], s[2:3]
	s_nor_b64 s[2:3], s[8:9], s[2:3]
	s_and_saveexec_b64 s[10:11], s[2:3]
	s_cbranch_execz .LBB124_117
; %bb.116:
	v_mov_b32_e32 v3, s7
	v_add_co_u32_e64 v2, s[2:3], s6, v4
	v_addc_co_u32_e64 v3, s[2:3], 0, v3, s[2:3]
	v_lshlrev_b64 v[2:3], 3, v[2:3]
	v_mov_b32_e32 v9, s5
	v_add_co_u32_e64 v2, s[2:3], s4, v2
	v_addc_co_u32_e64 v3, s[2:3], v9, v3, s[2:3]
	global_store_dwordx2 v[2:3], v[0:1], off offset:384
.LBB124_117:
	s_or_b64 exec, exec, s[10:11]
	v_cmp_gt_u32_e64 s[2:3], 8, v4
	s_and_b64 exec, exec, s[2:3]
	s_cbranch_execz .LBB124_122
; %bb.118:
	s_and_saveexec_b64 s[2:3], vcc
; %bb.119:
	v_lshlrev_b32_e32 v0, 3, v4
	v_lshlrev_b32_e32 v1, 3, v5
	v_add3_u32 v0, 0, v0, v1
	ds_read_b64 v[0:1], v0 offset:448
; %bb.120:
	s_or_b64 exec, exec, s[2:3]
	s_waitcnt lgkmcnt(0)
	ds_bpermute_b32 v2, v6, v0
	ds_bpermute_b32 v3, v6, v1
	v_mov_b32_e32 v6, s7
	s_waitcnt lgkmcnt(0)
	v_add_f64 v[0:1], v[0:1], v[2:3]
	ds_bpermute_b32 v2, v7, v0
	ds_bpermute_b32 v3, v7, v1
	s_waitcnt lgkmcnt(0)
	v_add_f64 v[0:1], v[0:1], v[2:3]
	v_add_u32_e32 v2, 56, v4
	v_or_b32_e32 v5, s6, v2
	v_cmp_le_i64_e32 vcc, s[14:15], v[5:6]
	s_or_b64 s[0:1], s[0:1], vcc
	s_nor_b64 s[0:1], s[8:9], s[0:1]
	ds_bpermute_b32 v2, v8, v0
	ds_bpermute_b32 v3, v8, v1
	s_and_saveexec_b64 s[2:3], s[0:1]
	s_xor_b64 s[2:3], exec, s[2:3]
	s_cbranch_execz .LBB124_122
; %bb.121:
	s_waitcnt lgkmcnt(0)
	v_add_f64 v[0:1], v[0:1], v[2:3]
	v_mov_b32_e32 v3, s7
	v_add_co_u32_e32 v2, vcc, s6, v4
	v_addc_co_u32_e32 v3, vcc, 0, v3, vcc
	v_lshlrev_b64 v[2:3], 3, v[2:3]
	v_mov_b32_e32 v4, s5
	v_add_co_u32_e32 v2, vcc, s4, v2
	v_addc_co_u32_e32 v3, vcc, v4, v3, vcc
	global_store_dwordx2 v[2:3], v[0:1], off offset:448
.LBB124_122:
	s_endpgm
	.section	.rodata,"a",@progbits
	.p2align	6, 0x0
	.amdhsa_kernel _ZN2at6native12_GLOBAL__N_135GammaBetaBackwardCUDAKernelTemplateIddLj64ELj8ELj64ELb0ELb0ELb1EEEvllPKT_S5_PKT0_S8_PS3_S9_
		.amdhsa_group_segment_fixed_size 0
		.amdhsa_private_segment_fixed_size 0
		.amdhsa_kernarg_size 320
		.amdhsa_user_sgpr_count 6
		.amdhsa_user_sgpr_private_segment_buffer 1
		.amdhsa_user_sgpr_dispatch_ptr 0
		.amdhsa_user_sgpr_queue_ptr 0
		.amdhsa_user_sgpr_kernarg_segment_ptr 1
		.amdhsa_user_sgpr_dispatch_id 0
		.amdhsa_user_sgpr_flat_scratch_init 0
		.amdhsa_user_sgpr_private_segment_size 0
		.amdhsa_uses_dynamic_stack 0
		.amdhsa_system_sgpr_private_segment_wavefront_offset 0
		.amdhsa_system_sgpr_workgroup_id_x 1
		.amdhsa_system_sgpr_workgroup_id_y 1
		.amdhsa_system_sgpr_workgroup_id_z 0
		.amdhsa_system_sgpr_workgroup_info 0
		.amdhsa_system_vgpr_workitem_id 1
		.amdhsa_next_free_vgpr 105
		.amdhsa_next_free_sgpr 34
		.amdhsa_reserve_vcc 1
		.amdhsa_reserve_flat_scratch 0
		.amdhsa_float_round_mode_32 0
		.amdhsa_float_round_mode_16_64 0
		.amdhsa_float_denorm_mode_32 3
		.amdhsa_float_denorm_mode_16_64 3
		.amdhsa_dx10_clamp 1
		.amdhsa_ieee_mode 1
		.amdhsa_fp16_overflow 0
		.amdhsa_exception_fp_ieee_invalid_op 0
		.amdhsa_exception_fp_denorm_src 0
		.amdhsa_exception_fp_ieee_div_zero 0
		.amdhsa_exception_fp_ieee_overflow 0
		.amdhsa_exception_fp_ieee_underflow 0
		.amdhsa_exception_fp_ieee_inexact 0
		.amdhsa_exception_int_div_zero 0
	.end_amdhsa_kernel
	.section	.text._ZN2at6native12_GLOBAL__N_135GammaBetaBackwardCUDAKernelTemplateIddLj64ELj8ELj64ELb0ELb0ELb1EEEvllPKT_S5_PKT0_S8_PS3_S9_,"axG",@progbits,_ZN2at6native12_GLOBAL__N_135GammaBetaBackwardCUDAKernelTemplateIddLj64ELj8ELj64ELb0ELb0ELb1EEEvllPKT_S5_PKT0_S8_PS3_S9_,comdat
.Lfunc_end124:
	.size	_ZN2at6native12_GLOBAL__N_135GammaBetaBackwardCUDAKernelTemplateIddLj64ELj8ELj64ELb0ELb0ELb1EEEvllPKT_S5_PKT0_S8_PS3_S9_, .Lfunc_end124-_ZN2at6native12_GLOBAL__N_135GammaBetaBackwardCUDAKernelTemplateIddLj64ELj8ELj64ELb0ELb0ELb1EEEvllPKT_S5_PKT0_S8_PS3_S9_
                                        ; -- End function
	.set _ZN2at6native12_GLOBAL__N_135GammaBetaBackwardCUDAKernelTemplateIddLj64ELj8ELj64ELb0ELb0ELb1EEEvllPKT_S5_PKT0_S8_PS3_S9_.num_vgpr, 105
	.set _ZN2at6native12_GLOBAL__N_135GammaBetaBackwardCUDAKernelTemplateIddLj64ELj8ELj64ELb0ELb0ELb1EEEvllPKT_S5_PKT0_S8_PS3_S9_.num_agpr, 0
	.set _ZN2at6native12_GLOBAL__N_135GammaBetaBackwardCUDAKernelTemplateIddLj64ELj8ELj64ELb0ELb0ELb1EEEvllPKT_S5_PKT0_S8_PS3_S9_.numbered_sgpr, 34
	.set _ZN2at6native12_GLOBAL__N_135GammaBetaBackwardCUDAKernelTemplateIddLj64ELj8ELj64ELb0ELb0ELb1EEEvllPKT_S5_PKT0_S8_PS3_S9_.num_named_barrier, 0
	.set _ZN2at6native12_GLOBAL__N_135GammaBetaBackwardCUDAKernelTemplateIddLj64ELj8ELj64ELb0ELb0ELb1EEEvllPKT_S5_PKT0_S8_PS3_S9_.private_seg_size, 0
	.set _ZN2at6native12_GLOBAL__N_135GammaBetaBackwardCUDAKernelTemplateIddLj64ELj8ELj64ELb0ELb0ELb1EEEvllPKT_S5_PKT0_S8_PS3_S9_.uses_vcc, 1
	.set _ZN2at6native12_GLOBAL__N_135GammaBetaBackwardCUDAKernelTemplateIddLj64ELj8ELj64ELb0ELb0ELb1EEEvllPKT_S5_PKT0_S8_PS3_S9_.uses_flat_scratch, 0
	.set _ZN2at6native12_GLOBAL__N_135GammaBetaBackwardCUDAKernelTemplateIddLj64ELj8ELj64ELb0ELb0ELb1EEEvllPKT_S5_PKT0_S8_PS3_S9_.has_dyn_sized_stack, 0
	.set _ZN2at6native12_GLOBAL__N_135GammaBetaBackwardCUDAKernelTemplateIddLj64ELj8ELj64ELb0ELb0ELb1EEEvllPKT_S5_PKT0_S8_PS3_S9_.has_recursion, 0
	.set _ZN2at6native12_GLOBAL__N_135GammaBetaBackwardCUDAKernelTemplateIddLj64ELj8ELj64ELb0ELb0ELb1EEEvllPKT_S5_PKT0_S8_PS3_S9_.has_indirect_call, 0
	.section	.AMDGPU.csdata,"",@progbits
; Kernel info:
; codeLenInByte = 8644
; TotalNumSgprs: 38
; NumVgprs: 105
; ScratchSize: 0
; MemoryBound: 0
; FloatMode: 240
; IeeeMode: 1
; LDSByteSize: 0 bytes/workgroup (compile time only)
; SGPRBlocks: 4
; VGPRBlocks: 26
; NumSGPRsForWavesPerEU: 38
; NumVGPRsForWavesPerEU: 105
; Occupancy: 2
; WaveLimiterHint : 0
; COMPUTE_PGM_RSRC2:SCRATCH_EN: 0
; COMPUTE_PGM_RSRC2:USER_SGPR: 6
; COMPUTE_PGM_RSRC2:TRAP_HANDLER: 0
; COMPUTE_PGM_RSRC2:TGID_X_EN: 1
; COMPUTE_PGM_RSRC2:TGID_Y_EN: 1
; COMPUTE_PGM_RSRC2:TGID_Z_EN: 0
; COMPUTE_PGM_RSRC2:TIDIG_COMP_CNT: 1
	.section	.text._ZN2at6native12_GLOBAL__N_135GammaBetaBackwardCUDAKernelTemplateIddLj64ELj16ELj128ELb0ELb1ELb1EEEvllPKT_S5_PKT0_S8_PS3_S9_,"axG",@progbits,_ZN2at6native12_GLOBAL__N_135GammaBetaBackwardCUDAKernelTemplateIddLj64ELj16ELj128ELb0ELb1ELb1EEEvllPKT_S5_PKT0_S8_PS3_S9_,comdat
	.globl	_ZN2at6native12_GLOBAL__N_135GammaBetaBackwardCUDAKernelTemplateIddLj64ELj16ELj128ELb0ELb1ELb1EEEvllPKT_S5_PKT0_S8_PS3_S9_ ; -- Begin function _ZN2at6native12_GLOBAL__N_135GammaBetaBackwardCUDAKernelTemplateIddLj64ELj16ELj128ELb0ELb1ELb1EEEvllPKT_S5_PKT0_S8_PS3_S9_
	.p2align	8
	.type	_ZN2at6native12_GLOBAL__N_135GammaBetaBackwardCUDAKernelTemplateIddLj64ELj16ELj128ELb0ELb1ELb1EEEvllPKT_S5_PKT0_S8_PS3_S9_,@function
_ZN2at6native12_GLOBAL__N_135GammaBetaBackwardCUDAKernelTemplateIddLj64ELj16ELj128ELb0ELb1ELb1EEEvllPKT_S5_PKT0_S8_PS3_S9_: ; @_ZN2at6native12_GLOBAL__N_135GammaBetaBackwardCUDAKernelTemplateIddLj64ELj16ELj128ELb0ELb1ELb1EEEvllPKT_S5_PKT0_S8_PS3_S9_
; %bb.0:
	s_load_dwordx4 s[8:11], s[4:5], 0x0
	s_lshl_b32 s18, s7, 7
	s_mov_b32 s19, 0
	v_mov_b32_e32 v2, s18
	v_mov_b32_e32 v3, s19
	s_waitcnt lgkmcnt(0)
	v_cmp_gt_i64_e32 vcc, s[8:9], v[2:3]
	s_cbranch_vccnz .LBB125_2
; %bb.1:
	s_mov_b64 s[0:1], 0
	s_branch .LBB125_3
.LBB125_2:
	s_mov_b64 s[0:1], -1
.LBB125_3:
	s_load_dwordx2 s[16:17], s[4:5], 0x30
	v_mov_b32_e32 v8, 0
	v_mov_b32_e32 v9, 0
	s_andn2_b64 vcc, exec, s[0:1]
	v_mbcnt_lo_u32_b32 v10, -1, 0
	s_cbranch_vccnz .LBB125_10
; %bb.4:
	s_load_dword s0, s[4:5], 0x4c
	s_load_dword s7, s[4:5], 0x44
	s_load_dwordx4 s[12:15], s[4:5], 0x10
	s_load_dwordx2 s[2:3], s[4:5], 0x28
	v_lshlrev_b32_e32 v2, 3, v1
	s_waitcnt lgkmcnt(0)
	s_and_b32 s0, s0, 0xffff
	v_mad_u32_u24 v3, v1, s0, v0
	v_and_b32_e32 v3, 63, v3
	v_add_co_u32_e32 v8, vcc, s18, v2
	v_mbcnt_hi_u32_b32 v4, -1, v10
	v_addc_co_u32_e64 v9, s[4:5], 0, 0, vcc
	v_add_co_u32_e32 v2, vcc, v8, v3
	v_cmp_gt_u32_e64 s[0:1], 8, v3
	v_lshlrev_b32_e32 v4, 2, v4
	v_addc_co_u32_e32 v3, vcc, 0, v9, vcc
	v_and_b32_e32 v11, 0x100, v4
	v_lshlrev_b64 v[4:5], 3, v[2:3]
	v_mov_b32_e32 v15, s3
	v_add_co_u32_e32 v4, vcc, s2, v4
	v_mul_lo_u32 v18, s11, v8
	v_mul_lo_u32 v19, s10, v9
	v_mad_u64_u32 v[8:9], s[2:3], s10, v8, 0
	v_mov_b32_e32 v7, 0
	v_lshl_add_u32 v6, s6, 6, v0
	v_add3_u32 v9, v9, v19, v18
	v_lshlrev_b64 v[8:9], 3, v[8:9]
	v_lshlrev_b64 v[6:7], 3, v[6:7]
	v_addc_co_u32_e32 v5, vcc, v15, v5, vcc
	s_lshl_b32 s20, s7, 7
	v_add_co_u32_e32 v19, vcc, v8, v6
	s_mul_i32 s2, s11, s20
	s_mul_hi_u32 s3, s10, s20
	s_mov_b32 s21, 0
	v_addc_co_u32_e32 v20, vcc, v9, v7, vcc
	s_add_i32 s3, s3, s2
	s_mul_i32 s2, s10, s20
	v_mov_b32_e32 v8, 0
	v_or_b32_e32 v12, 4, v11
	v_or_b32_e32 v13, 8, v11
	;; [unrolled: 1-line block ×7, first 2 shown]
	s_lshl_b64 s[22:23], s[20:21], 3
	s_lshl_b64 s[24:25], s[2:3], 3
	v_mov_b32_e32 v9, 0
	s_lshl_b64 s[10:11], s[10:11], 3
	s_branch .LBB125_7
.LBB125_5:                              ;   in Loop: Header=BB125_7 Depth=1
	s_or_b64 exec, exec, s[4:5]
.LBB125_6:                              ;   in Loop: Header=BB125_7 Depth=1
	s_or_b64 exec, exec, s[2:3]
	v_mov_b32_e32 v22, s13
	v_add_co_u32_e32 v21, vcc, s12, v19
	v_addc_co_u32_e32 v22, vcc, v22, v20, vcc
	v_mov_b32_e32 v24, s15
	v_add_co_u32_e32 v23, vcc, s14, v19
	v_addc_co_u32_e32 v24, vcc, v24, v20, vcc
	global_load_dwordx2 v[25:26], v[21:22], off
	global_load_dwordx2 v[27:28], v[23:24], off
	v_add_co_u32_e32 v21, vcc, s10, v21
	s_add_u32 s18, s18, s20
	s_addc_u32 s19, s19, 0
	v_add_co_u32_e64 v2, s[2:3], s20, v2
	v_add_co_u32_e64 v4, s[4:5], s22, v4
	v_addc_co_u32_e64 v3, s[2:3], 0, v3, s[2:3]
	s_waitcnt vmcnt(0)
	v_mul_f64 v[25:26], v[25:26], v[27:28]
	ds_bpermute_b32 v27, v11, v6
	ds_bpermute_b32 v28, v11, v7
	s_waitcnt lgkmcnt(0)
	v_fma_f64 v[25:26], v[25:26], v[27:28], v[8:9]
	v_mov_b32_e32 v8, s11
	v_addc_co_u32_e32 v22, vcc, v22, v8, vcc
	v_add_co_u32_e32 v23, vcc, s10, v23
	v_addc_co_u32_e32 v24, vcc, v24, v8, vcc
	global_load_dwordx2 v[27:28], v[21:22], off
	global_load_dwordx2 v[29:30], v[23:24], off
	v_add_co_u32_e32 v21, vcc, s10, v21
	v_addc_co_u32_e32 v22, vcc, v22, v8, vcc
	v_add_co_u32_e32 v23, vcc, s10, v23
	v_addc_co_u32_e32 v24, vcc, v24, v8, vcc
	s_waitcnt vmcnt(0)
	v_mul_f64 v[27:28], v[27:28], v[29:30]
	ds_bpermute_b32 v29, v12, v6
	ds_bpermute_b32 v30, v12, v7
	s_waitcnt lgkmcnt(0)
	v_fma_f64 v[25:26], v[27:28], v[29:30], v[25:26]
	global_load_dwordx2 v[27:28], v[21:22], off
	global_load_dwordx2 v[29:30], v[23:24], off
	v_add_co_u32_e32 v21, vcc, s10, v21
	v_addc_co_u32_e32 v22, vcc, v22, v8, vcc
	v_add_co_u32_e32 v23, vcc, s10, v23
	v_addc_co_u32_e32 v24, vcc, v24, v8, vcc
	s_waitcnt vmcnt(0)
	v_mul_f64 v[27:28], v[27:28], v[29:30]
	ds_bpermute_b32 v29, v13, v6
	ds_bpermute_b32 v30, v13, v7
	s_waitcnt lgkmcnt(0)
	v_fma_f64 v[25:26], v[27:28], v[29:30], v[25:26]
	;; [unrolled: 12-line block ×5, first 2 shown]
	global_load_dwordx2 v[27:28], v[21:22], off
	global_load_dwordx2 v[29:30], v[23:24], off
	v_add_co_u32_e32 v21, vcc, s10, v21
	v_addc_co_u32_e32 v22, vcc, v22, v8, vcc
	v_add_co_u32_e32 v23, vcc, s10, v23
	v_addc_co_u32_e32 v24, vcc, v24, v8, vcc
	s_waitcnt vmcnt(0)
	v_mul_f64 v[27:28], v[27:28], v[29:30]
	ds_bpermute_b32 v29, v17, v6
	ds_bpermute_b32 v30, v17, v7
	;; [unrolled: 1-line block ×4, first 2 shown]
	s_waitcnt lgkmcnt(2)
	v_fma_f64 v[25:26], v[27:28], v[29:30], v[25:26]
	global_load_dwordx2 v[8:9], v[21:22], off
	global_load_dwordx2 v[27:28], v[23:24], off
	s_waitcnt vmcnt(0)
	v_mul_f64 v[8:9], v[8:9], v[27:28]
	s_waitcnt lgkmcnt(0)
	v_fma_f64 v[8:9], v[8:9], v[6:7], v[25:26]
	v_mov_b32_e32 v6, s8
	v_mov_b32_e32 v7, s9
	v_cmp_lt_i64_e32 vcc, s[18:19], v[6:7]
	v_mov_b32_e32 v6, s23
	v_addc_co_u32_e64 v5, s[2:3], v5, v6, s[4:5]
	v_mov_b32_e32 v6, s25
	v_add_co_u32_e64 v19, s[2:3], s24, v19
	v_addc_co_u32_e64 v20, s[2:3], v20, v6, s[2:3]
	s_cbranch_vccz .LBB125_10
.LBB125_7:                              ; =>This Inner Loop Header: Depth=1
	v_mov_b32_e32 v6, 0
	v_mov_b32_e32 v7, 0
	s_and_saveexec_b64 s[2:3], s[0:1]
	s_cbranch_execz .LBB125_6
; %bb.8:                                ;   in Loop: Header=BB125_7 Depth=1
	v_cmp_gt_i64_e32 vcc, s[8:9], v[2:3]
	v_mov_b32_e32 v6, 0
	v_mov_b32_e32 v7, 0
	s_and_saveexec_b64 s[4:5], vcc
	s_cbranch_execz .LBB125_5
; %bb.9:                                ;   in Loop: Header=BB125_7 Depth=1
	global_load_dwordx2 v[6:7], v[4:5], off
	s_branch .LBB125_5
.LBB125_10:
	s_movk_i32 s0, 0x41
	v_mad_u32_u24 v2, v1, s0, v0
	v_lshl_add_u32 v4, v2, 3, 0
	v_mov_b32_e32 v2, 0
	v_mov_b32_e32 v3, v2
	ds_write_b64 v4, v[2:3] offset:8320
	v_lshrrev_b32_e32 v2, 6, v0
	v_add_u32_e32 v1, v2, v1
	v_cmp_gt_u32_e32 vcc, 64, v1
	ds_write_b64 v4, v[8:9]
	s_waitcnt lgkmcnt(0)
	s_barrier
	s_and_saveexec_b64 s[0:1], vcc
	s_cbranch_execz .LBB125_30
; %bb.11:
	v_and_b32_e32 v2, 63, v0
	v_cmp_gt_u32_e32 vcc, 16, v2
	v_mul_u32_u24_e32 v5, 0x41, v2
                                        ; implicit-def: $vgpr2_vgpr3
	s_and_saveexec_b64 s[0:1], vcc
; %bb.12:
	v_lshlrev_b32_e32 v2, 3, v1
	v_lshlrev_b32_e32 v3, 3, v5
	v_add3_u32 v2, 0, v2, v3
	ds_read_b64 v[2:3], v2
; %bb.13:
	s_or_b64 exec, exec, s[0:1]
	v_mbcnt_hi_u32_b32 v4, -1, v10
	v_and_b32_e32 v6, 64, v4
	v_add_u32_e32 v11, 64, v6
	v_xor_b32_e32 v6, 8, v4
	v_cmp_lt_i32_e64 s[0:1], v6, v11
	v_cndmask_b32_e64 v6, v4, v6, s[0:1]
	v_lshlrev_b32_e32 v6, 2, v6
	s_waitcnt lgkmcnt(0)
	ds_bpermute_b32 v7, v6, v2
	ds_bpermute_b32 v8, v6, v3
	s_cmp_lg_u64 s[16:17], 0
	s_mov_b32 s7, 0
	s_cselect_b64 s[2:3], -1, 0
	s_waitcnt lgkmcnt(0)
	v_add_f64 v[2:3], v[2:3], v[7:8]
	v_xor_b32_e32 v7, 4, v4
	v_cmp_lt_i32_e64 s[0:1], v7, v11
	v_cndmask_b32_e64 v7, v4, v7, s[0:1]
	v_lshlrev_b32_e32 v7, 2, v7
	ds_bpermute_b32 v8, v7, v2
	ds_bpermute_b32 v9, v7, v3
	s_waitcnt lgkmcnt(0)
	v_add_f64 v[2:3], v[2:3], v[8:9]
	v_xor_b32_e32 v8, 2, v4
	v_cmp_lt_i32_e64 s[0:1], v8, v11
	v_cndmask_b32_e64 v8, v4, v8, s[0:1]
	v_lshlrev_b32_e32 v8, 2, v8
	ds_bpermute_b32 v9, v8, v2
	ds_bpermute_b32 v10, v8, v3
	s_waitcnt lgkmcnt(0)
	v_add_f64 v[2:3], v[2:3], v[9:10]
	v_xor_b32_e32 v9, 1, v4
	v_cmp_lt_i32_e64 s[0:1], v9, v11
	v_cndmask_b32_e64 v4, v4, v9, s[0:1]
	v_lshlrev_b32_e32 v9, 2, v4
	v_cmp_eq_u32_e64 s[0:1], 0, v0
	s_and_b64 s[2:3], s[0:1], s[2:3]
	s_lshl_b64 s[0:1], s[6:7], 9
	ds_bpermute_b32 v10, v9, v2
	ds_bpermute_b32 v11, v9, v3
	s_add_u32 s6, s16, s0
	s_addc_u32 s7, s17, s1
	s_waitcnt lgkmcnt(0)
	v_add_f64 v[3:4], v[2:3], v[10:11]
	s_and_saveexec_b64 s[4:5], s[2:3]
	s_cbranch_execz .LBB125_15
; %bb.14:
	v_mov_b32_e32 v2, 0
	v_lshlrev_b64 v[10:11], 3, v[1:2]
	v_mov_b32_e32 v0, s7
	v_add_co_u32_e64 v10, s[0:1], s6, v10
	v_addc_co_u32_e64 v11, s[0:1], v0, v11, s[0:1]
	global_store_dwordx2 v[10:11], v[3:4], off
.LBB125_15:
	s_or_b64 exec, exec, s[4:5]
	v_cmp_gt_u32_e64 s[0:1], 48, v1
	s_and_b64 exec, exec, s[0:1]
	s_cbranch_execz .LBB125_30
; %bb.16:
	s_and_saveexec_b64 s[0:1], vcc
; %bb.17:
	v_lshlrev_b32_e32 v0, 3, v1
	v_lshlrev_b32_e32 v2, 3, v5
	v_add3_u32 v0, 0, v0, v2
	ds_read_b64 v[3:4], v0 offset:128
; %bb.18:
	s_or_b64 exec, exec, s[0:1]
	s_waitcnt lgkmcnt(0)
	ds_bpermute_b32 v10, v6, v3
	ds_bpermute_b32 v11, v6, v4
	s_waitcnt lgkmcnt(0)
	v_add_f64 v[2:3], v[3:4], v[10:11]
	ds_bpermute_b32 v10, v7, v2
	ds_bpermute_b32 v11, v7, v3
	s_waitcnt lgkmcnt(0)
	v_add_f64 v[2:3], v[2:3], v[10:11]
	;; [unrolled: 4-line block ×4, first 2 shown]
	s_and_saveexec_b64 s[4:5], s[2:3]
	s_cbranch_execz .LBB125_20
; %bb.19:
	v_mov_b32_e32 v2, 0
	v_lshlrev_b64 v[10:11], 3, v[1:2]
	v_mov_b32_e32 v0, s7
	v_add_co_u32_e64 v10, s[0:1], s6, v10
	v_addc_co_u32_e64 v11, s[0:1], v0, v11, s[0:1]
	global_store_dwordx2 v[10:11], v[3:4], off offset:128
.LBB125_20:
	s_or_b64 exec, exec, s[4:5]
	v_cmp_gt_u32_e64 s[0:1], 32, v1
	s_and_b64 exec, exec, s[0:1]
	s_cbranch_execz .LBB125_30
; %bb.21:
	s_and_saveexec_b64 s[0:1], vcc
; %bb.22:
	v_lshlrev_b32_e32 v0, 3, v1
	v_lshlrev_b32_e32 v2, 3, v5
	v_add3_u32 v0, 0, v0, v2
	ds_read_b64 v[3:4], v0 offset:256
; %bb.23:
	s_or_b64 exec, exec, s[0:1]
	s_waitcnt lgkmcnt(0)
	ds_bpermute_b32 v10, v6, v3
	ds_bpermute_b32 v11, v6, v4
	s_waitcnt lgkmcnt(0)
	v_add_f64 v[2:3], v[3:4], v[10:11]
	ds_bpermute_b32 v10, v7, v2
	ds_bpermute_b32 v11, v7, v3
	s_waitcnt lgkmcnt(0)
	v_add_f64 v[2:3], v[2:3], v[10:11]
	;; [unrolled: 4-line block ×4, first 2 shown]
	s_and_saveexec_b64 s[4:5], s[2:3]
	s_cbranch_execz .LBB125_25
; %bb.24:
	v_mov_b32_e32 v2, 0
	v_lshlrev_b64 v[10:11], 3, v[1:2]
	v_mov_b32_e32 v0, s7
	v_add_co_u32_e64 v10, s[0:1], s6, v10
	v_addc_co_u32_e64 v11, s[0:1], v0, v11, s[0:1]
	global_store_dwordx2 v[10:11], v[3:4], off offset:256
.LBB125_25:
	s_or_b64 exec, exec, s[4:5]
	v_cmp_gt_u32_e64 s[0:1], 16, v1
	s_and_b64 exec, exec, s[0:1]
	s_cbranch_execz .LBB125_30
; %bb.26:
	s_and_saveexec_b64 s[0:1], vcc
; %bb.27:
	v_lshlrev_b32_e32 v0, 3, v1
	v_lshlrev_b32_e32 v2, 3, v5
	v_add3_u32 v0, 0, v0, v2
	ds_read_b64 v[3:4], v0 offset:384
; %bb.28:
	s_or_b64 exec, exec, s[0:1]
	s_waitcnt lgkmcnt(0)
	ds_bpermute_b32 v5, v6, v3
	ds_bpermute_b32 v6, v6, v4
	s_waitcnt lgkmcnt(0)
	v_add_f64 v[2:3], v[3:4], v[5:6]
	ds_bpermute_b32 v4, v7, v2
	ds_bpermute_b32 v5, v7, v3
	s_waitcnt lgkmcnt(0)
	v_add_f64 v[2:3], v[2:3], v[4:5]
	;; [unrolled: 4-line block ×3, first 2 shown]
	ds_bpermute_b32 v4, v9, v2
	ds_bpermute_b32 v5, v9, v3
	s_and_saveexec_b64 s[0:1], s[2:3]
	s_xor_b64 s[0:1], exec, s[0:1]
	s_cbranch_execz .LBB125_30
; %bb.29:
	s_waitcnt lgkmcnt(0)
	v_add_f64 v[3:4], v[2:3], v[4:5]
	v_mov_b32_e32 v2, 0
	v_lshlrev_b64 v[0:1], 3, v[1:2]
	v_mov_b32_e32 v2, s7
	v_add_co_u32_e32 v0, vcc, s6, v0
	v_addc_co_u32_e32 v1, vcc, v2, v1, vcc
	global_store_dwordx2 v[0:1], v[3:4], off offset:384
.LBB125_30:
	s_endpgm
	.section	.rodata,"a",@progbits
	.p2align	6, 0x0
	.amdhsa_kernel _ZN2at6native12_GLOBAL__N_135GammaBetaBackwardCUDAKernelTemplateIddLj64ELj16ELj128ELb0ELb1ELb1EEEvllPKT_S5_PKT0_S8_PS3_S9_
		.amdhsa_group_segment_fixed_size 0
		.amdhsa_private_segment_fixed_size 0
		.amdhsa_kernarg_size 320
		.amdhsa_user_sgpr_count 6
		.amdhsa_user_sgpr_private_segment_buffer 1
		.amdhsa_user_sgpr_dispatch_ptr 0
		.amdhsa_user_sgpr_queue_ptr 0
		.amdhsa_user_sgpr_kernarg_segment_ptr 1
		.amdhsa_user_sgpr_dispatch_id 0
		.amdhsa_user_sgpr_flat_scratch_init 0
		.amdhsa_user_sgpr_private_segment_size 0
		.amdhsa_uses_dynamic_stack 0
		.amdhsa_system_sgpr_private_segment_wavefront_offset 0
		.amdhsa_system_sgpr_workgroup_id_x 1
		.amdhsa_system_sgpr_workgroup_id_y 1
		.amdhsa_system_sgpr_workgroup_id_z 0
		.amdhsa_system_sgpr_workgroup_info 0
		.amdhsa_system_vgpr_workitem_id 1
		.amdhsa_next_free_vgpr 31
		.amdhsa_next_free_sgpr 26
		.amdhsa_reserve_vcc 1
		.amdhsa_reserve_flat_scratch 0
		.amdhsa_float_round_mode_32 0
		.amdhsa_float_round_mode_16_64 0
		.amdhsa_float_denorm_mode_32 3
		.amdhsa_float_denorm_mode_16_64 3
		.amdhsa_dx10_clamp 1
		.amdhsa_ieee_mode 1
		.amdhsa_fp16_overflow 0
		.amdhsa_exception_fp_ieee_invalid_op 0
		.amdhsa_exception_fp_denorm_src 0
		.amdhsa_exception_fp_ieee_div_zero 0
		.amdhsa_exception_fp_ieee_overflow 0
		.amdhsa_exception_fp_ieee_underflow 0
		.amdhsa_exception_fp_ieee_inexact 0
		.amdhsa_exception_int_div_zero 0
	.end_amdhsa_kernel
	.section	.text._ZN2at6native12_GLOBAL__N_135GammaBetaBackwardCUDAKernelTemplateIddLj64ELj16ELj128ELb0ELb1ELb1EEEvllPKT_S5_PKT0_S8_PS3_S9_,"axG",@progbits,_ZN2at6native12_GLOBAL__N_135GammaBetaBackwardCUDAKernelTemplateIddLj64ELj16ELj128ELb0ELb1ELb1EEEvllPKT_S5_PKT0_S8_PS3_S9_,comdat
.Lfunc_end125:
	.size	_ZN2at6native12_GLOBAL__N_135GammaBetaBackwardCUDAKernelTemplateIddLj64ELj16ELj128ELb0ELb1ELb1EEEvllPKT_S5_PKT0_S8_PS3_S9_, .Lfunc_end125-_ZN2at6native12_GLOBAL__N_135GammaBetaBackwardCUDAKernelTemplateIddLj64ELj16ELj128ELb0ELb1ELb1EEEvllPKT_S5_PKT0_S8_PS3_S9_
                                        ; -- End function
	.set _ZN2at6native12_GLOBAL__N_135GammaBetaBackwardCUDAKernelTemplateIddLj64ELj16ELj128ELb0ELb1ELb1EEEvllPKT_S5_PKT0_S8_PS3_S9_.num_vgpr, 31
	.set _ZN2at6native12_GLOBAL__N_135GammaBetaBackwardCUDAKernelTemplateIddLj64ELj16ELj128ELb0ELb1ELb1EEEvllPKT_S5_PKT0_S8_PS3_S9_.num_agpr, 0
	.set _ZN2at6native12_GLOBAL__N_135GammaBetaBackwardCUDAKernelTemplateIddLj64ELj16ELj128ELb0ELb1ELb1EEEvllPKT_S5_PKT0_S8_PS3_S9_.numbered_sgpr, 26
	.set _ZN2at6native12_GLOBAL__N_135GammaBetaBackwardCUDAKernelTemplateIddLj64ELj16ELj128ELb0ELb1ELb1EEEvllPKT_S5_PKT0_S8_PS3_S9_.num_named_barrier, 0
	.set _ZN2at6native12_GLOBAL__N_135GammaBetaBackwardCUDAKernelTemplateIddLj64ELj16ELj128ELb0ELb1ELb1EEEvllPKT_S5_PKT0_S8_PS3_S9_.private_seg_size, 0
	.set _ZN2at6native12_GLOBAL__N_135GammaBetaBackwardCUDAKernelTemplateIddLj64ELj16ELj128ELb0ELb1ELb1EEEvllPKT_S5_PKT0_S8_PS3_S9_.uses_vcc, 1
	.set _ZN2at6native12_GLOBAL__N_135GammaBetaBackwardCUDAKernelTemplateIddLj64ELj16ELj128ELb0ELb1ELb1EEEvllPKT_S5_PKT0_S8_PS3_S9_.uses_flat_scratch, 0
	.set _ZN2at6native12_GLOBAL__N_135GammaBetaBackwardCUDAKernelTemplateIddLj64ELj16ELj128ELb0ELb1ELb1EEEvllPKT_S5_PKT0_S8_PS3_S9_.has_dyn_sized_stack, 0
	.set _ZN2at6native12_GLOBAL__N_135GammaBetaBackwardCUDAKernelTemplateIddLj64ELj16ELj128ELb0ELb1ELb1EEEvllPKT_S5_PKT0_S8_PS3_S9_.has_recursion, 0
	.set _ZN2at6native12_GLOBAL__N_135GammaBetaBackwardCUDAKernelTemplateIddLj64ELj16ELj128ELb0ELb1ELb1EEEvllPKT_S5_PKT0_S8_PS3_S9_.has_indirect_call, 0
	.section	.AMDGPU.csdata,"",@progbits
; Kernel info:
; codeLenInByte = 2156
; TotalNumSgprs: 30
; NumVgprs: 31
; ScratchSize: 0
; MemoryBound: 0
; FloatMode: 240
; IeeeMode: 1
; LDSByteSize: 0 bytes/workgroup (compile time only)
; SGPRBlocks: 3
; VGPRBlocks: 7
; NumSGPRsForWavesPerEU: 30
; NumVGPRsForWavesPerEU: 31
; Occupancy: 8
; WaveLimiterHint : 0
; COMPUTE_PGM_RSRC2:SCRATCH_EN: 0
; COMPUTE_PGM_RSRC2:USER_SGPR: 6
; COMPUTE_PGM_RSRC2:TRAP_HANDLER: 0
; COMPUTE_PGM_RSRC2:TGID_X_EN: 1
; COMPUTE_PGM_RSRC2:TGID_Y_EN: 1
; COMPUTE_PGM_RSRC2:TGID_Z_EN: 0
; COMPUTE_PGM_RSRC2:TIDIG_COMP_CNT: 1
	.section	.text._ZN2at6native12_GLOBAL__N_135GammaBetaBackwardCUDAKernelTemplateIddLj64ELj16ELj128ELb0ELb0ELb1EEEvllPKT_S5_PKT0_S8_PS3_S9_,"axG",@progbits,_ZN2at6native12_GLOBAL__N_135GammaBetaBackwardCUDAKernelTemplateIddLj64ELj16ELj128ELb0ELb0ELb1EEEvllPKT_S5_PKT0_S8_PS3_S9_,comdat
	.globl	_ZN2at6native12_GLOBAL__N_135GammaBetaBackwardCUDAKernelTemplateIddLj64ELj16ELj128ELb0ELb0ELb1EEEvllPKT_S5_PKT0_S8_PS3_S9_ ; -- Begin function _ZN2at6native12_GLOBAL__N_135GammaBetaBackwardCUDAKernelTemplateIddLj64ELj16ELj128ELb0ELb0ELb1EEEvllPKT_S5_PKT0_S8_PS3_S9_
	.p2align	8
	.type	_ZN2at6native12_GLOBAL__N_135GammaBetaBackwardCUDAKernelTemplateIddLj64ELj16ELj128ELb0ELb0ELb1EEEvllPKT_S5_PKT0_S8_PS3_S9_,@function
_ZN2at6native12_GLOBAL__N_135GammaBetaBackwardCUDAKernelTemplateIddLj64ELj16ELj128ELb0ELb0ELb1EEEvllPKT_S5_PKT0_S8_PS3_S9_: ; @_ZN2at6native12_GLOBAL__N_135GammaBetaBackwardCUDAKernelTemplateIddLj64ELj16ELj128ELb0ELb0ELb1EEEvllPKT_S5_PKT0_S8_PS3_S9_
; %bb.0:
	s_mov_b64 s[38:39], s[2:3]
	s_mov_b64 s[36:37], s[0:1]
	s_add_u32 s36, s36, s8
	s_addc_u32 s37, s37, 0
	buffer_store_dword v1, off, s[36:39], 0 offset:24 ; 4-byte Folded Spill
	s_load_dwordx8 s[12:19], s[4:5], 0x0
	s_load_dwordx2 s[10:11], s[4:5], 0x28
	s_lshl_b32 s33, s6, 6
	s_or_b32 s0, s33, 63
	v_mov_b32_e32 v17, v0
	v_mov_b32_e32 v0, s0
	;; [unrolled: 1-line block ×3, first 2 shown]
	s_lshl_b32 s20, s7, 7
	s_mov_b32 s21, 0
	s_waitcnt lgkmcnt(0)
	v_cmp_le_i64_e32 vcc, s[14:15], v[0:1]
	v_mov_b32_e32 v0, s20
	v_mov_b32_e32 v1, s21
	v_cmp_gt_i64_e64 s[0:1], s[12:13], v[0:1]
	v_cndmask_b32_e64 v0, 0, 1, s[0:1]
	v_cmp_ne_u32_e64 s[0:1], 1, v0
	s_cbranch_vccz .LBB126_49
; %bb.1:
	v_mov_b32_e32 v4, 0
	v_mov_b32_e32 v5, 0
	s_and_b64 vcc, exec, s[0:1]
	s_cbranch_vccnz .LBB126_51
; %bb.2:
	buffer_load_dword v0, off, s[36:39], 0 offset:24 ; 4-byte Folded Reload
	v_mov_b32_e32 v2, 0
	s_load_dword s7, s[4:5], 0x44
	v_add_u32_e32 v5, s33, v17
	v_mov_b32_e32 v6, v2
	v_lshlrev_b64 v[19:20], 3, v[5:6]
	s_add_u32 s22, s4, 64
	s_addc_u32 s23, s5, 0
	s_waitcnt lgkmcnt(0)
	s_lshl_b32 s7, s7, 7
	s_mul_i32 s8, s15, s7
	s_mul_hi_u32 s9, s14, s7
	s_add_i32 s9, s9, s8
	s_mul_i32 s8, s14, s7
	s_lshl_b64 s[24:25], s[8:9], 3
	v_mov_b32_e32 v9, s19
	buffer_store_dword v17, off, s[36:39], 0 offset:140 ; 4-byte Folded Spill
	s_add_u32 s26, s20, 0x7f
	s_addc_u32 s27, 0, 0
	s_mov_b64 s[28:29], s[20:21]
	s_waitcnt vmcnt(1)
	v_lshlrev_b32_e32 v0, 3, v0
	buffer_store_dword v0, off, s[36:39], 0 offset:44 ; 4-byte Folded Spill
	v_add_co_u32_e32 v0, vcc, s20, v0
	v_addc_co_u32_e64 v1, s[2:3], 0, 0, vcc
	v_mul_lo_u32 v7, s15, v0
	v_mul_lo_u32 v8, s14, v1
	v_mad_u64_u32 v[3:4], s[2:3], s14, v0, 0
	v_cmp_gt_i64_e64 s[2:3], s[14:15], v[5:6]
	v_add3_u32 v4, v4, v8, v7
	v_lshlrev_b64 v[5:6], 3, v[3:4]
	v_mov_b32_e32 v7, s17
	v_add_co_u32_e32 v8, vcc, s16, v5
	v_addc_co_u32_e32 v7, vcc, v7, v6, vcc
	buffer_store_dword v7, off, s[36:39], 0 offset:4 ; 4-byte Folded Spill
	v_add_co_u32_e32 v7, vcc, 7, v0
	buffer_store_dword v8, off, s[36:39], 0 ; 4-byte Folded Spill
	v_addc_co_u32_e32 v8, vcc, 0, v1, vcc
	v_mul_lo_u32 v10, s15, v7
	v_mul_lo_u32 v11, s14, v8
	v_mad_u64_u32 v[7:8], s[8:9], s14, v7, 0
	v_add_co_u32_e32 v5, vcc, s18, v5
	buffer_store_dword v5, off, s[36:39], 0 offset:8 ; 4-byte Folded Spill
	v_addc_co_u32_e32 v5, vcc, v9, v6, vcc
	v_add3_u32 v8, v8, v11, v10
	buffer_store_dword v5, off, s[36:39], 0 offset:12 ; 4-byte Folded Spill
	v_lshlrev_b64 v[5:6], 3, v[7:8]
	v_mov_b32_e32 v7, s17
	v_add_co_u32_e32 v8, vcc, s16, v5
	v_addc_co_u32_e32 v7, vcc, v7, v6, vcc
	buffer_store_dword v7, off, s[36:39], 0 offset:20 ; 4-byte Folded Spill
	v_add_co_u32_e32 v7, vcc, 6, v0
	buffer_store_dword v8, off, s[36:39], 0 offset:16 ; 4-byte Folded Spill
	v_addc_co_u32_e32 v8, vcc, 0, v1, vcc
	v_mul_lo_u32 v10, s15, v7
	v_mul_lo_u32 v11, s14, v8
	v_mad_u64_u32 v[7:8], s[8:9], s14, v7, 0
	v_add_co_u32_e32 v46, vcc, s18, v5
	v_add3_u32 v8, v8, v11, v10
	v_addc_co_u32_e32 v47, vcc, v9, v6, vcc
	v_lshlrev_b64 v[5:6], 3, v[7:8]
	v_mov_b32_e32 v7, s17
	v_add_co_u32_e32 v48, vcc, s16, v5
	v_addc_co_u32_e32 v49, vcc, v7, v6, vcc
	v_add_co_u32_e32 v7, vcc, 5, v0
	v_addc_co_u32_e32 v8, vcc, 0, v1, vcc
	v_mul_lo_u32 v10, s15, v7
	v_mul_lo_u32 v11, s14, v8
	v_mad_u64_u32 v[7:8], s[8:9], s14, v7, 0
	v_add_co_u32_e32 v50, vcc, s18, v5
	v_add3_u32 v8, v8, v11, v10
	v_addc_co_u32_e32 v51, vcc, v9, v6, vcc
	v_lshlrev_b64 v[5:6], 3, v[7:8]
	v_mov_b32_e32 v7, s17
	v_add_co_u32_e32 v52, vcc, s16, v5
	v_addc_co_u32_e32 v53, vcc, v7, v6, vcc
	v_add_co_u32_e32 v7, vcc, 4, v0
	;; [unrolled: 12-line block ×4, first 2 shown]
	v_addc_co_u32_e32 v1, vcc, 0, v1, vcc
	v_mul_lo_u32 v8, s15, v0
	v_mul_lo_u32 v9, s14, v1
	v_mad_u64_u32 v[0:1], s[8:9], s14, v0, 0
	v_mov_b32_e32 v7, s19
	v_add_co_u32_e32 v62, vcc, s18, v5
	v_add3_u32 v1, v1, v9, v8
	v_lshlrev_b64 v[0:1], 3, v[0:1]
	v_addc_co_u32_e32 v63, vcc, v7, v6, vcc
	v_mov_b32_e32 v5, s17
	v_add_co_u32_e32 v39, vcc, s16, v0
	v_addc_co_u32_e32 v27, vcc, v5, v1, vcc
	v_mov_b32_e32 v5, s19
	v_add_co_u32_e32 v28, vcc, s18, v0
	v_addc_co_u32_e32 v23, vcc, v5, v1, vcc
	v_mov_b32_e32 v1, s15
	v_add_co_u32_e32 v0, vcc, s14, v3
	v_addc_co_u32_e32 v1, vcc, v4, v1, vcc
	v_lshlrev_b64 v[0:1], 3, v[0:1]
	v_mov_b32_e32 v3, s17
	v_add_co_u32_e32 v24, vcc, s16, v0
	v_addc_co_u32_e32 v40, vcc, v3, v1, vcc
	v_mov_b32_e32 v3, s19
	v_add_co_u32_e32 v41, vcc, s18, v0
	v_addc_co_u32_e32 v42, vcc, v3, v1, vcc
	v_mov_b32_e32 v0, 0
	v_mov_b32_e32 v1, 0
	buffer_store_dword v0, off, s[36:39], 0 offset:28 ; 4-byte Folded Spill
	s_nop 0
	buffer_store_dword v1, off, s[36:39], 0 offset:32 ; 4-byte Folded Spill
	v_mbcnt_lo_u32_b32 v0, -1, 0
	v_mbcnt_hi_u32_b32 v0, -1, v0
	v_lshlrev_b32_e32 v0, 2, v0
	v_and_b32_e32 v43, 0x100, v0
.LBB126_3:                              ; =>This Inner Loop Header: Depth=1
	v_mov_b32_e32 v0, s12
	v_mov_b32_e32 v1, s13
	v_cmp_ge_i64_e32 vcc, s[26:27], v[0:1]
	buffer_load_dword v1, off, s[36:39], 0 offset:44 ; 4-byte Folded Reload
	v_mov_b32_e32 v0, s27
	s_and_b64 vcc, exec, vcc
                                        ; implicit-def: $vgpr3_vgpr4_vgpr5_vgpr6_vgpr7_vgpr8_vgpr9_vgpr10_vgpr11_vgpr12_vgpr13_vgpr14_vgpr15_vgpr16_vgpr17_vgpr18
                                        ; implicit-def: $vgpr31_vgpr32
                                        ; implicit-def: $vgpr3
	s_waitcnt vmcnt(0)
	v_add_co_u32_e64 v25, s[8:9], s26, v1
	v_addc_co_u32_e64 v26, s[8:9], 0, v0, s[8:9]
	s_mov_b64 s[8:9], -1
                                        ; implicit-def: $vgpr0_vgpr1
	s_cbranch_vccz .LBB126_25
; %bb.4:                                ;   in Loop: Header=BB126_3 Depth=1
	s_load_dword s8, s[22:23], 0xc
	buffer_load_dword v0, off, s[36:39], 0 offset:140 ; 4-byte Folded Reload
	buffer_load_dword v1, off, s[36:39], 0 offset:24 ; 4-byte Folded Reload
	v_mov_b32_e32 v44, 0
	v_mov_b32_e32 v21, 0
	;; [unrolled: 1-line block ×3, first 2 shown]
	s_waitcnt lgkmcnt(0)
	s_and_b32 s8, s8, 0xffff
	v_mov_b32_e32 v22, 0
	s_waitcnt vmcnt(0)
	v_mad_u32_u24 v0, v1, s8, v0
	v_and_b32_e32 v0, 63, v0
	v_cmp_gt_u32_e32 vcc, 8, v0
	s_and_saveexec_b64 s[8:9], vcc
	s_cbranch_execz .LBB126_8
; %bb.5:                                ;   in Loop: Header=BB126_3 Depth=1
	v_add_co_u32_e32 v0, vcc, v25, v0
	v_addc_co_u32_e32 v1, vcc, 0, v26, vcc
	v_add_co_u32_e32 v0, vcc, 0xffffff81, v0
	v_addc_co_u32_e32 v1, vcc, -1, v1, vcc
	v_cmp_gt_i64_e32 vcc, s[12:13], v[0:1]
	v_mov_b32_e32 v21, 0
	v_mov_b32_e32 v22, 0
	s_and_saveexec_b64 s[30:31], vcc
	s_cbranch_execz .LBB126_7
; %bb.6:                                ;   in Loop: Header=BB126_3 Depth=1
	v_lshlrev_b64 v[0:1], 3, v[0:1]
	v_mov_b32_e32 v3, s11
	v_add_co_u32_e32 v0, vcc, s10, v0
	v_addc_co_u32_e32 v1, vcc, v3, v1, vcc
	global_load_dwordx2 v[21:22], v[0:1], off
.LBB126_7:                              ;   in Loop: Header=BB126_3 Depth=1
	s_or_b64 exec, exec, s[30:31]
.LBB126_8:                              ;   in Loop: Header=BB126_3 Depth=1
	s_or_b64 exec, exec, s[8:9]
	v_add_co_u32_e32 v0, vcc, 0xffffff81, v25
	v_addc_co_u32_e32 v1, vcc, -1, v26, vcc
	v_cmp_gt_i64_e32 vcc, s[12:13], v[0:1]
	v_mov_b32_e32 v3, v2
	v_mov_b32_e32 v4, v2
	;; [unrolled: 1-line block ×31, first 2 shown]
	s_and_b64 s[30:31], s[2:3], vcc
	s_and_saveexec_b64 s[8:9], s[30:31]
	s_cbranch_execz .LBB126_10
; %bb.9:                                ;   in Loop: Header=BB126_3 Depth=1
	buffer_load_dword v0, off, s[36:39], 0  ; 4-byte Folded Reload
	buffer_load_dword v1, off, s[36:39], 0 offset:4 ; 4-byte Folded Reload
	v_mov_b32_e32 v5, v2
	v_mov_b32_e32 v6, v2
	;; [unrolled: 1-line block ×14, first 2 shown]
	s_waitcnt vmcnt(1)
	v_add_co_u32_e32 v0, vcc, v0, v19
	s_waitcnt vmcnt(0)
	v_addc_co_u32_e32 v1, vcc, v1, v20, vcc
	global_load_dwordx2 v[3:4], v[0:1], off
	s_nop 0
	buffer_load_dword v0, off, s[36:39], 0 offset:8 ; 4-byte Folded Reload
	buffer_load_dword v1, off, s[36:39], 0 offset:12 ; 4-byte Folded Reload
	s_waitcnt vmcnt(1)
	v_add_co_u32_e32 v0, vcc, v0, v19
	s_waitcnt vmcnt(0)
	v_addc_co_u32_e32 v1, vcc, v1, v20, vcc
	global_load_dwordx2 v[44:45], v[0:1], off
.LBB126_10:                             ;   in Loop: Header=BB126_3 Depth=1
	s_or_b64 exec, exec, s[8:9]
	v_add_co_u32_e32 v0, vcc, 0xffffff82, v25
	v_addc_co_u32_e32 v1, vcc, -1, v26, vcc
	v_cmp_gt_i64_e32 vcc, s[12:13], v[0:1]
	v_mov_b32_e32 v0, 0
	v_mov_b32_e32 v29, 0
	;; [unrolled: 1-line block ×4, first 2 shown]
	s_and_b64 s[30:31], s[2:3], vcc
	buffer_store_dword v0, off, s[36:39], 0 offset:36 ; 4-byte Folded Spill
	s_nop 0
	buffer_store_dword v1, off, s[36:39], 0 offset:40 ; 4-byte Folded Spill
	s_and_saveexec_b64 s[8:9], s[30:31]
	s_cbranch_execz .LBB126_12
; %bb.11:                               ;   in Loop: Header=BB126_3 Depth=1
	v_add_co_u32_e32 v0, vcc, v24, v19
	v_addc_co_u32_e32 v1, vcc, v40, v20, vcc
	global_load_dwordx2 v[5:6], v[0:1], off
	v_add_co_u32_e32 v0, vcc, v41, v19
	v_addc_co_u32_e32 v1, vcc, v42, v20, vcc
	global_load_dwordx2 v[29:30], v[0:1], off
.LBB126_12:                             ;   in Loop: Header=BB126_3 Depth=1
	s_or_b64 exec, exec, s[8:9]
	v_add_co_u32_e32 v0, vcc, 0xffffff83, v25
	v_addc_co_u32_e32 v1, vcc, -1, v26, vcc
	v_cmp_gt_i64_e32 vcc, s[12:13], v[0:1]
	s_and_b64 s[30:31], s[2:3], vcc
	s_and_saveexec_b64 s[8:9], s[30:31]
	s_cbranch_execz .LBB126_14
; %bb.13:                               ;   in Loop: Header=BB126_3 Depth=1
	v_add_co_u32_e32 v0, vcc, v39, v19
	v_addc_co_u32_e32 v1, vcc, v27, v20, vcc
	global_load_dwordx2 v[7:8], v[0:1], off
	v_add_co_u32_e32 v0, vcc, v28, v19
	v_addc_co_u32_e32 v1, vcc, v23, v20, vcc
	global_load_dwordx2 v[0:1], v[0:1], off
	s_waitcnt vmcnt(0)
	buffer_store_dword v0, off, s[36:39], 0 offset:36 ; 4-byte Folded Spill
	s_nop 0
	buffer_store_dword v1, off, s[36:39], 0 offset:40 ; 4-byte Folded Spill
.LBB126_14:                             ;   in Loop: Header=BB126_3 Depth=1
	s_or_b64 exec, exec, s[8:9]
	v_add_co_u32_e32 v0, vcc, 0xffffff84, v25
	v_addc_co_u32_e32 v1, vcc, -1, v26, vcc
	v_cmp_gt_i64_e32 vcc, s[12:13], v[0:1]
	v_mov_b32_e32 v33, 0
	v_mov_b32_e32 v35, 0
	;; [unrolled: 1-line block ×4, first 2 shown]
	s_and_b64 s[30:31], s[2:3], vcc
	s_and_saveexec_b64 s[8:9], s[30:31]
	s_cbranch_execz .LBB126_16
; %bb.15:                               ;   in Loop: Header=BB126_3 Depth=1
	v_add_co_u32_e32 v0, vcc, v60, v19
	v_addc_co_u32_e32 v1, vcc, v61, v20, vcc
	global_load_dwordx2 v[9:10], v[0:1], off
	v_add_co_u32_e32 v0, vcc, v62, v19
	v_addc_co_u32_e32 v1, vcc, v63, v20, vcc
	global_load_dwordx2 v[35:36], v[0:1], off
.LBB126_16:                             ;   in Loop: Header=BB126_3 Depth=1
	s_or_b64 exec, exec, s[8:9]
	v_add_co_u32_e32 v0, vcc, 0xffffff85, v25
	v_addc_co_u32_e32 v1, vcc, -1, v26, vcc
	v_cmp_gt_i64_e32 vcc, s[12:13], v[0:1]
	s_and_b64 s[30:31], s[2:3], vcc
	s_and_saveexec_b64 s[8:9], s[30:31]
	s_cbranch_execz .LBB126_18
; %bb.17:                               ;   in Loop: Header=BB126_3 Depth=1
	v_add_co_u32_e32 v0, vcc, v56, v19
	v_addc_co_u32_e32 v1, vcc, v57, v20, vcc
	global_load_dwordx2 v[11:12], v[0:1], off
	v_add_co_u32_e32 v0, vcc, v58, v19
	v_addc_co_u32_e32 v1, vcc, v59, v20, vcc
	global_load_dwordx2 v[33:34], v[0:1], off
.LBB126_18:                             ;   in Loop: Header=BB126_3 Depth=1
	s_or_b64 exec, exec, s[8:9]
	v_add_co_u32_e32 v0, vcc, 0xffffff86, v25
	v_addc_co_u32_e32 v1, vcc, -1, v26, vcc
	v_cmp_gt_i64_e32 vcc, s[12:13], v[0:1]
	v_mov_b32_e32 v37, 0
	v_mov_b32_e32 v0, 0
	;; [unrolled: 1-line block ×4, first 2 shown]
	s_and_b64 s[30:31], s[2:3], vcc
	s_and_saveexec_b64 s[8:9], s[30:31]
	s_cbranch_execz .LBB126_20
; %bb.19:                               ;   in Loop: Header=BB126_3 Depth=1
	v_add_co_u32_e32 v0, vcc, v52, v19
	v_addc_co_u32_e32 v1, vcc, v53, v20, vcc
	global_load_dwordx2 v[13:14], v[0:1], off
	v_add_co_u32_e32 v0, vcc, v54, v19
	v_addc_co_u32_e32 v1, vcc, v55, v20, vcc
	global_load_dwordx2 v[0:1], v[0:1], off
.LBB126_20:                             ;   in Loop: Header=BB126_3 Depth=1
	s_or_b64 exec, exec, s[8:9]
	v_add_co_u32_e32 v31, vcc, 0xffffff87, v25
	v_addc_co_u32_e32 v32, vcc, -1, v26, vcc
	v_cmp_gt_i64_e32 vcc, s[12:13], v[31:32]
	s_and_b64 s[30:31], s[2:3], vcc
	s_and_saveexec_b64 s[8:9], s[30:31]
	s_cbranch_execz .LBB126_22
; %bb.21:                               ;   in Loop: Header=BB126_3 Depth=1
	v_add_co_u32_e32 v15, vcc, v48, v19
	v_addc_co_u32_e32 v16, vcc, v49, v20, vcc
	v_add_co_u32_e32 v31, vcc, v50, v19
	v_addc_co_u32_e32 v32, vcc, v51, v20, vcc
	global_load_dwordx2 v[15:16], v[15:16], off
	s_nop 0
	global_load_dwordx2 v[37:38], v[31:32], off
.LBB126_22:                             ;   in Loop: Header=BB126_3 Depth=1
	s_or_b64 exec, exec, s[8:9]
	v_add_co_u32_e32 v31, vcc, 0xffffff88, v25
	v_addc_co_u32_e32 v32, vcc, -1, v26, vcc
	v_cmp_gt_i64_e32 vcc, s[12:13], v[31:32]
	v_mov_b32_e32 v31, 0
	v_mov_b32_e32 v32, 0
	s_and_b64 s[30:31], s[2:3], vcc
	s_and_saveexec_b64 s[8:9], s[30:31]
	s_cbranch_execz .LBB126_24
; %bb.23:                               ;   in Loop: Header=BB126_3 Depth=1
	buffer_load_dword v17, off, s[36:39], 0 offset:16 ; 4-byte Folded Reload
	buffer_load_dword v18, off, s[36:39], 0 offset:20 ; 4-byte Folded Reload
	s_waitcnt vmcnt(1)
	v_add_co_u32_e32 v17, vcc, v17, v19
	s_waitcnt vmcnt(0)
	v_addc_co_u32_e32 v18, vcc, v18, v20, vcc
	v_add_co_u32_e32 v31, vcc, v46, v19
	v_addc_co_u32_e32 v32, vcc, v47, v20, vcc
	global_load_dwordx2 v[17:18], v[17:18], off
	s_nop 0
	global_load_dwordx2 v[31:32], v[31:32], off
.LBB126_24:                             ;   in Loop: Header=BB126_3 Depth=1
	s_or_b64 exec, exec, s[8:9]
	s_waitcnt vmcnt(0)
	v_mul_f64 v[5:6], v[29:30], v[5:6]
	buffer_load_dword v29, off, s[36:39], 0 offset:28 ; 4-byte Folded Reload
	buffer_load_dword v30, off, s[36:39], 0 offset:32 ; 4-byte Folded Reload
	v_mul_f64 v[3:4], v[44:45], v[3:4]
	ds_bpermute_b32 v44, v43, v21
	ds_bpermute_b32 v45, v43, v22
	v_mul_f64 v[9:10], v[35:36], v[9:10]
	v_mul_f64 v[0:1], v[0:1], v[13:14]
	s_mov_b64 s[8:9], 0
	s_waitcnt vmcnt(0) lgkmcnt(0)
	v_fma_f64 v[3:4], v[3:4], v[44:45], v[29:30]
	buffer_load_dword v44, off, s[36:39], 0 offset:36 ; 4-byte Folded Reload
	buffer_load_dword v45, off, s[36:39], 0 offset:40 ; 4-byte Folded Reload
	ds_bpermute_b32 v29, v43, v21 offset:4
	ds_bpermute_b32 v30, v43, v22 offset:4
	s_waitcnt lgkmcnt(0)
	v_fma_f64 v[3:4], v[5:6], v[29:30], v[3:4]
	ds_bpermute_b32 v5, v43, v21 offset:8
	ds_bpermute_b32 v6, v43, v22 offset:8
	s_waitcnt vmcnt(0)
	v_mul_f64 v[7:8], v[44:45], v[7:8]
	s_waitcnt lgkmcnt(0)
	v_fma_f64 v[3:4], v[7:8], v[5:6], v[3:4]
	ds_bpermute_b32 v5, v43, v21 offset:12
	ds_bpermute_b32 v6, v43, v22 offset:12
	v_mul_f64 v[7:8], v[33:34], v[11:12]
	s_waitcnt lgkmcnt(0)
	v_fma_f64 v[3:4], v[9:10], v[5:6], v[3:4]
	ds_bpermute_b32 v5, v43, v21 offset:16
	ds_bpermute_b32 v6, v43, v22 offset:16
	s_waitcnt lgkmcnt(0)
	v_fma_f64 v[3:4], v[7:8], v[5:6], v[3:4]
	ds_bpermute_b32 v5, v43, v21 offset:20
	ds_bpermute_b32 v6, v43, v22 offset:20
	s_waitcnt lgkmcnt(0)
	v_fma_f64 v[0:1], v[0:1], v[5:6], v[3:4]
	v_mul_f64 v[3:4], v[37:38], v[15:16]
	ds_bpermute_b32 v5, v43, v21 offset:24
	ds_bpermute_b32 v6, v43, v22 offset:24
	s_waitcnt lgkmcnt(0)
	v_fma_f64 v[0:1], v[3:4], v[5:6], v[0:1]
	ds_bpermute_b32 v3, v43, v21 offset:28
	ds_bpermute_b32 v4, v43, v22 offset:28
.LBB126_25:                             ;   in Loop: Header=BB126_3 Depth=1
	s_and_b64 vcc, exec, s[8:9]
	s_cbranch_vccz .LBB126_47
; %bb.26:                               ;   in Loop: Header=BB126_3 Depth=1
	s_load_dword s8, s[22:23], 0x0
	v_mov_b32_e32 v44, 0
	v_mov_b32_e32 v21, 0
	v_mov_b32_e32 v45, 0
	v_mov_b32_e32 v22, 0
	s_waitcnt lgkmcnt(0)
	s_cmp_lt_u32 s6, s8
	s_cselect_b32 s8, 12, 18
	s_add_u32 s8, s22, s8
	s_addc_u32 s9, s23, 0
	global_load_ushort v0, v2, s[8:9]
	buffer_load_dword v1, off, s[36:39], 0 offset:140 ; 4-byte Folded Reload
	buffer_load_dword v3, off, s[36:39], 0 offset:24 ; 4-byte Folded Reload
	s_waitcnt vmcnt(0)
	v_mad_u32_u24 v0, v3, v0, v1
	v_and_b32_e32 v0, 63, v0
	v_cmp_gt_u32_e32 vcc, 8, v0
	s_and_saveexec_b64 s[8:9], vcc
	s_cbranch_execz .LBB126_30
; %bb.27:                               ;   in Loop: Header=BB126_3 Depth=1
	v_add_co_u32_e32 v0, vcc, v25, v0
	v_addc_co_u32_e32 v1, vcc, 0, v26, vcc
	v_add_co_u32_e32 v0, vcc, 0xffffff81, v0
	v_addc_co_u32_e32 v1, vcc, -1, v1, vcc
	v_cmp_gt_i64_e32 vcc, s[12:13], v[0:1]
	v_mov_b32_e32 v21, 0
	v_mov_b32_e32 v22, 0
	s_and_saveexec_b64 s[30:31], vcc
	s_cbranch_execz .LBB126_29
; %bb.28:                               ;   in Loop: Header=BB126_3 Depth=1
	v_lshlrev_b64 v[0:1], 3, v[0:1]
	v_mov_b32_e32 v3, s11
	v_add_co_u32_e32 v0, vcc, s10, v0
	v_addc_co_u32_e32 v1, vcc, v3, v1, vcc
	global_load_dwordx2 v[21:22], v[0:1], off
.LBB126_29:                             ;   in Loop: Header=BB126_3 Depth=1
	s_or_b64 exec, exec, s[30:31]
.LBB126_30:                             ;   in Loop: Header=BB126_3 Depth=1
	s_or_b64 exec, exec, s[8:9]
	v_mov_b32_e32 v3, v2
	v_mov_b32_e32 v4, v2
	;; [unrolled: 1-line block ×31, first 2 shown]
	s_and_saveexec_b64 s[8:9], s[2:3]
	s_cbranch_execz .LBB126_32
; %bb.31:                               ;   in Loop: Header=BB126_3 Depth=1
	buffer_load_dword v0, off, s[36:39], 0  ; 4-byte Folded Reload
	buffer_load_dword v1, off, s[36:39], 0 offset:4 ; 4-byte Folded Reload
	v_mov_b32_e32 v5, v2
	v_mov_b32_e32 v6, v2
	;; [unrolled: 1-line block ×14, first 2 shown]
	s_waitcnt vmcnt(1)
	v_add_co_u32_e32 v0, vcc, v0, v19
	s_waitcnt vmcnt(0)
	v_addc_co_u32_e32 v1, vcc, v1, v20, vcc
	global_load_dwordx2 v[3:4], v[0:1], off
	s_nop 0
	buffer_load_dword v0, off, s[36:39], 0 offset:8 ; 4-byte Folded Reload
	buffer_load_dword v1, off, s[36:39], 0 offset:12 ; 4-byte Folded Reload
	s_waitcnt vmcnt(1)
	v_add_co_u32_e32 v0, vcc, v0, v19
	s_waitcnt vmcnt(0)
	v_addc_co_u32_e32 v1, vcc, v1, v20, vcc
	global_load_dwordx2 v[44:45], v[0:1], off
.LBB126_32:                             ;   in Loop: Header=BB126_3 Depth=1
	s_or_b64 exec, exec, s[8:9]
	v_mov_b32_e32 v25, 0
	v_mov_b32_e32 v29, 0
	v_mov_b32_e32 v26, 0
	v_mov_b32_e32 v30, 0
	s_and_saveexec_b64 s[8:9], s[2:3]
	s_cbranch_execz .LBB126_34
; %bb.33:                               ;   in Loop: Header=BB126_3 Depth=1
	v_add_co_u32_e32 v0, vcc, v24, v19
	v_addc_co_u32_e32 v1, vcc, v40, v20, vcc
	global_load_dwordx2 v[5:6], v[0:1], off
	v_add_co_u32_e32 v0, vcc, v41, v19
	v_addc_co_u32_e32 v1, vcc, v42, v20, vcc
	global_load_dwordx2 v[29:30], v[0:1], off
.LBB126_34:                             ;   in Loop: Header=BB126_3 Depth=1
	s_or_b64 exec, exec, s[8:9]
	s_and_saveexec_b64 s[8:9], s[2:3]
	s_cbranch_execz .LBB126_36
; %bb.35:                               ;   in Loop: Header=BB126_3 Depth=1
	v_add_co_u32_e32 v0, vcc, v39, v19
	v_addc_co_u32_e32 v1, vcc, v27, v20, vcc
	global_load_dwordx2 v[7:8], v[0:1], off
	v_add_co_u32_e32 v0, vcc, v28, v19
	v_addc_co_u32_e32 v1, vcc, v23, v20, vcc
	global_load_dwordx2 v[25:26], v[0:1], off
.LBB126_36:                             ;   in Loop: Header=BB126_3 Depth=1
	s_or_b64 exec, exec, s[8:9]
	v_mov_b32_e32 v33, 0
	v_mov_b32_e32 v35, 0
	;; [unrolled: 1-line block ×4, first 2 shown]
	s_and_saveexec_b64 s[8:9], s[2:3]
	s_cbranch_execz .LBB126_38
; %bb.37:                               ;   in Loop: Header=BB126_3 Depth=1
	v_add_co_u32_e32 v0, vcc, v60, v19
	v_addc_co_u32_e32 v1, vcc, v61, v20, vcc
	global_load_dwordx2 v[9:10], v[0:1], off
	v_add_co_u32_e32 v0, vcc, v62, v19
	v_addc_co_u32_e32 v1, vcc, v63, v20, vcc
	global_load_dwordx2 v[35:36], v[0:1], off
.LBB126_38:                             ;   in Loop: Header=BB126_3 Depth=1
	s_or_b64 exec, exec, s[8:9]
	s_and_saveexec_b64 s[8:9], s[2:3]
	s_cbranch_execz .LBB126_40
; %bb.39:                               ;   in Loop: Header=BB126_3 Depth=1
	v_add_co_u32_e32 v0, vcc, v56, v19
	v_addc_co_u32_e32 v1, vcc, v57, v20, vcc
	global_load_dwordx2 v[11:12], v[0:1], off
	v_add_co_u32_e32 v0, vcc, v58, v19
	v_addc_co_u32_e32 v1, vcc, v59, v20, vcc
	global_load_dwordx2 v[33:34], v[0:1], off
.LBB126_40:                             ;   in Loop: Header=BB126_3 Depth=1
	s_or_b64 exec, exec, s[8:9]
	v_mov_b32_e32 v0, 0
	v_mov_b32_e32 v37, 0
	;; [unrolled: 1-line block ×4, first 2 shown]
	s_and_saveexec_b64 s[8:9], s[2:3]
	s_cbranch_execz .LBB126_42
; %bb.41:                               ;   in Loop: Header=BB126_3 Depth=1
	v_add_co_u32_e32 v13, vcc, v52, v19
	v_addc_co_u32_e32 v14, vcc, v53, v20, vcc
	v_add_co_u32_e32 v31, vcc, v54, v19
	v_addc_co_u32_e32 v32, vcc, v55, v20, vcc
	global_load_dwordx2 v[13:14], v[13:14], off
	s_nop 0
	global_load_dwordx2 v[37:38], v[31:32], off
.LBB126_42:                             ;   in Loop: Header=BB126_3 Depth=1
	s_or_b64 exec, exec, s[8:9]
	s_and_saveexec_b64 s[8:9], s[2:3]
	s_cbranch_execz .LBB126_44
; %bb.43:                               ;   in Loop: Header=BB126_3 Depth=1
	v_add_co_u32_e32 v0, vcc, v48, v19
	v_addc_co_u32_e32 v1, vcc, v49, v20, vcc
	global_load_dwordx2 v[15:16], v[0:1], off
	v_add_co_u32_e32 v0, vcc, v50, v19
	v_addc_co_u32_e32 v1, vcc, v51, v20, vcc
	global_load_dwordx2 v[0:1], v[0:1], off
.LBB126_44:                             ;   in Loop: Header=BB126_3 Depth=1
	s_or_b64 exec, exec, s[8:9]
	v_mov_b32_e32 v31, 0
	v_mov_b32_e32 v32, 0
	s_and_saveexec_b64 s[8:9], s[2:3]
	s_cbranch_execz .LBB126_46
; %bb.45:                               ;   in Loop: Header=BB126_3 Depth=1
	buffer_load_dword v17, off, s[36:39], 0 offset:16 ; 4-byte Folded Reload
	buffer_load_dword v18, off, s[36:39], 0 offset:20 ; 4-byte Folded Reload
	s_waitcnt vmcnt(1)
	v_add_co_u32_e32 v17, vcc, v17, v19
	s_waitcnt vmcnt(0)
	v_addc_co_u32_e32 v18, vcc, v18, v20, vcc
	v_add_co_u32_e32 v31, vcc, v46, v19
	v_addc_co_u32_e32 v32, vcc, v47, v20, vcc
	global_load_dwordx2 v[17:18], v[17:18], off
	s_nop 0
	global_load_dwordx2 v[31:32], v[31:32], off
.LBB126_46:                             ;   in Loop: Header=BB126_3 Depth=1
	s_or_b64 exec, exec, s[8:9]
	s_waitcnt vmcnt(0)
	v_mul_f64 v[5:6], v[29:30], v[5:6]
	buffer_load_dword v29, off, s[36:39], 0 offset:28 ; 4-byte Folded Reload
	buffer_load_dword v30, off, s[36:39], 0 offset:32 ; 4-byte Folded Reload
	v_mul_f64 v[3:4], v[44:45], v[3:4]
	ds_bpermute_b32 v44, v43, v21
	ds_bpermute_b32 v45, v43, v22
	v_mul_f64 v[7:8], v[25:26], v[7:8]
	v_mul_f64 v[9:10], v[35:36], v[9:10]
	;; [unrolled: 1-line block ×3, first 2 shown]
	s_waitcnt vmcnt(0) lgkmcnt(0)
	v_fma_f64 v[3:4], v[3:4], v[44:45], v[29:30]
	ds_bpermute_b32 v29, v43, v21 offset:4
	ds_bpermute_b32 v30, v43, v22 offset:4
	s_waitcnt lgkmcnt(0)
	v_fma_f64 v[3:4], v[5:6], v[29:30], v[3:4]
	ds_bpermute_b32 v5, v43, v21 offset:8
	ds_bpermute_b32 v6, v43, v22 offset:8
	s_waitcnt lgkmcnt(0)
	v_fma_f64 v[3:4], v[7:8], v[5:6], v[3:4]
	ds_bpermute_b32 v5, v43, v21 offset:12
	ds_bpermute_b32 v6, v43, v22 offset:12
	v_mul_f64 v[7:8], v[33:34], v[11:12]
	s_waitcnt lgkmcnt(0)
	v_fma_f64 v[3:4], v[9:10], v[5:6], v[3:4]
	ds_bpermute_b32 v5, v43, v21 offset:16
	ds_bpermute_b32 v6, v43, v22 offset:16
	v_mul_f64 v[9:10], v[37:38], v[13:14]
	s_waitcnt lgkmcnt(0)
	v_fma_f64 v[3:4], v[7:8], v[5:6], v[3:4]
	ds_bpermute_b32 v5, v43, v21 offset:20
	ds_bpermute_b32 v6, v43, v22 offset:20
	s_waitcnt lgkmcnt(0)
	v_fma_f64 v[3:4], v[9:10], v[5:6], v[3:4]
	ds_bpermute_b32 v5, v43, v21 offset:24
	ds_bpermute_b32 v6, v43, v22 offset:24
	;; [unrolled: 4-line block ×3, first 2 shown]
.LBB126_47:                             ;   in Loop: Header=BB126_3 Depth=1
	buffer_load_dword v8, off, s[36:39], 0  ; 4-byte Folded Reload
	v_mul_f64 v[5:6], v[31:32], v[17:18]
	v_mov_b32_e32 v7, s25
	s_add_u32 s28, s28, s7
	s_addc_u32 s29, s29, 0
	s_add_u32 s26, s26, s7
	s_addc_u32 s27, s27, 0
	s_waitcnt lgkmcnt(0)
	v_fma_f64 v[4:5], v[5:6], v[3:4], v[0:1]
	buffer_load_dword v0, off, s[36:39], 0 offset:8 ; 4-byte Folded Reload
	s_waitcnt vmcnt(1)
	v_add_co_u32_e32 v8, vcc, s24, v8
	buffer_store_dword v8, off, s[36:39], 0 ; 4-byte Folded Spill
	buffer_load_dword v8, off, s[36:39], 0 offset:4 ; 4-byte Folded Reload
	s_waitcnt vmcnt(0)
	v_addc_co_u32_e32 v8, vcc, v8, v7, vcc
	v_add_co_u32_e32 v0, vcc, s24, v0
	buffer_store_dword v0, off, s[36:39], 0 offset:8 ; 4-byte Folded Spill
	buffer_load_dword v0, off, s[36:39], 0 offset:12 ; 4-byte Folded Reload
	s_waitcnt vmcnt(0)
	v_addc_co_u32_e32 v0, vcc, v0, v7, vcc
	buffer_store_dword v0, off, s[36:39], 0 offset:12 ; 4-byte Folded Spill
	buffer_load_dword v0, off, s[36:39], 0 offset:16 ; 4-byte Folded Reload
	s_waitcnt vmcnt(0)
	v_add_co_u32_e32 v0, vcc, s24, v0
	buffer_store_dword v0, off, s[36:39], 0 offset:16 ; 4-byte Folded Spill
	buffer_load_dword v0, off, s[36:39], 0 offset:20 ; 4-byte Folded Reload
	s_waitcnt vmcnt(0)
	v_addc_co_u32_e32 v0, vcc, v0, v7, vcc
	v_add_co_u32_e32 v46, vcc, s24, v46
	v_addc_co_u32_e32 v47, vcc, v47, v7, vcc
	v_add_co_u32_e32 v48, vcc, s24, v48
	;; [unrolled: 2-line block ×12, first 2 shown]
	v_addc_co_u32_e32 v40, vcc, v40, v7, vcc
	buffer_store_dword v0, off, s[36:39], 0 offset:20 ; 4-byte Folded Spill
	v_add_co_u32_e32 v41, vcc, s24, v41
	v_mov_b32_e32 v0, s12
	v_addc_co_u32_e32 v42, vcc, v42, v7, vcc
	v_mov_b32_e32 v1, s13
	v_cmp_lt_i64_e32 vcc, s[28:29], v[0:1]
	buffer_store_dword v8, off, s[36:39], 0 offset:4 ; 4-byte Folded Spill
	s_cbranch_vccz .LBB126_50
; %bb.48:                               ;   in Loop: Header=BB126_3 Depth=1
	buffer_store_dword v4, off, s[36:39], 0 offset:28 ; 4-byte Folded Spill
	s_nop 0
	buffer_store_dword v5, off, s[36:39], 0 offset:32 ; 4-byte Folded Spill
	s_branch .LBB126_3
.LBB126_49:
                                        ; implicit-def: $vgpr4_vgpr5
	s_branch .LBB126_52
.LBB126_50:
	buffer_load_dword v17, off, s[36:39], 0 offset:140 ; 4-byte Folded Reload
.LBB126_51:
	s_cbranch_execnz .LBB126_85
.LBB126_52:
	v_mov_b32_e32 v4, 0
	v_mov_b32_e32 v5, 0
	s_and_b64 vcc, exec, s[0:1]
	s_cbranch_vccnz .LBB126_85
; %bb.53:
	buffer_load_dword v7, off, s[36:39], 0 offset:24 ; 4-byte Folded Reload
	s_load_dword s7, s[4:5], 0x44
	s_add_u32 s2, s4, 64
	s_addc_u32 s3, s5, 0
	v_mov_b32_e32 v6, s17
	v_mov_b32_e32 v11, s15
	s_waitcnt lgkmcnt(0)
	s_lshl_b32 s7, s7, 7
	v_mov_b32_e32 v59, 0
	v_mov_b32_e32 v60, 0
	s_waitcnt vmcnt(0)
	v_lshlrev_b32_e32 v0, 3, v7
	buffer_store_dword v0, off, s[36:39], 0 offset:168 ; 4-byte Folded Spill
	v_add_co_u32_e32 v0, vcc, s20, v0
	v_addc_co_u32_e64 v1, s[0:1], 0, 0, vcc
	v_mul_lo_u32 v2, s15, v0
	v_mul_lo_u32 v3, s14, v1
	v_mad_u64_u32 v[4:5], s[0:1], s14, v0, 0
	s_mul_i32 s0, s15, s7
	s_mul_hi_u32 s1, s14, s7
	v_add3_u32 v5, v5, v3, v2
	v_lshlrev_b64 v[2:3], 3, v[4:5]
	s_add_i32 s1, s1, s0
	v_add_co_u32_e32 v8, vcc, s16, v2
	v_addc_co_u32_e32 v6, vcc, v6, v3, vcc
	s_mul_i32 s0, s14, s7
	buffer_store_dword v6, off, s[36:39], 0 offset:4 ; 4-byte Folded Spill
	s_lshl_b64 s[8:9], s[0:1], 3
	v_mov_b32_e32 v6, s19
	v_add_co_u32_e32 v2, vcc, s18, v2
	buffer_store_dword v2, off, s[36:39], 0 offset:8 ; 4-byte Folded Spill
	v_addc_co_u32_e32 v2, vcc, v6, v3, vcc
	s_add_u32 s22, s20, 0x7f
	buffer_store_dword v2, off, s[36:39], 0 offset:12 ; 4-byte Folded Spill
	s_addc_u32 s23, 0, 0
	v_lshlrev_b32_e32 v2, 6, v7
	s_lshl_b64 s[0:1], s[20:21], 3
	v_mov_b32_e32 v3, s1
	v_add_co_u32_e32 v6, vcc, s0, v2
	v_addc_co_u32_e32 v7, vcc, 0, v3, vcc
	buffer_store_dword v8, off, s[36:39], 0 ; 4-byte Folded Spill
	v_add_co_u32_e32 v8, vcc, 8, v6
	v_addc_co_u32_e32 v9, vcc, 0, v7, vcc
	v_mov_b32_e32 v2, s16
	v_mul_lo_u32 v12, s14, v9
	v_mov_b32_e32 v9, s18
	v_mov_b32_e32 v3, s17
	v_mov_b32_e32 v10, s19
	v_mad_u64_u32 v[19:20], s[0:1], s14, v8, v[2:3]
	v_mul_lo_u32 v13, s15, v8
	v_mad_u64_u32 v[21:22], s[0:1], s14, v8, v[9:10]
	v_add_co_u32_e32 v8, vcc, 16, v6
	v_addc_co_u32_e32 v14, vcc, 0, v7, vcc
	v_add_co_u32_e32 v4, vcc, s14, v4
	v_addc_co_u32_e32 v5, vcc, v5, v11, vcc
	v_mul_lo_u32 v15, s15, v8
	v_mad_u64_u32 v[23:24], s[0:1], s14, v8, v[2:3]
	v_mad_u64_u32 v[25:26], s[0:1], s14, v8, v[9:10]
	v_add_co_u32_e32 v8, vcc, 24, v6
	v_addc_co_u32_e32 v11, vcc, 0, v7, vcc
	v_add3_u32 v20, v13, v20, v12
	v_add3_u32 v22, v13, v22, v12
	v_mul_lo_u32 v11, s14, v11
	v_mul_lo_u32 v12, s15, v8
	v_mad_u64_u32 v[29:30], s[0:1], s14, v8, v[2:3]
	v_mad_u64_u32 v[31:32], s[0:1], s14, v8, v[9:10]
	v_add_co_u32_e32 v8, vcc, 32, v6
	v_mul_lo_u32 v14, s14, v14
	v_addc_co_u32_e32 v13, vcc, 0, v7, vcc
	v_mul_lo_u32 v16, s15, v8
	v_mad_u64_u32 v[33:34], s[0:1], s14, v8, v[2:3]
	v_mad_u64_u32 v[35:36], s[0:1], s14, v8, v[9:10]
	v_add_co_u32_e32 v8, vcc, 40, v6
	v_add3_u32 v30, v12, v30, v11
	v_add3_u32 v32, v12, v32, v11
	v_addc_co_u32_e32 v11, vcc, 0, v7, vcc
	v_mul_lo_u32 v12, s15, v8
	v_mad_u64_u32 v[37:38], s[0:1], s14, v8, v[2:3]
	v_mad_u64_u32 v[39:40], s[0:1], s14, v8, v[9:10]
	v_add_co_u32_e32 v8, vcc, 48, v6
	v_add3_u32 v24, v15, v24, v14
	v_add3_u32 v26, v15, v26, v14
	v_addc_co_u32_e32 v14, vcc, 0, v7, vcc
	v_add_co_u32_e32 v6, vcc, 56, v6
	v_addc_co_u32_e32 v7, vcc, 0, v7, vcc
	v_mad_u64_u32 v[41:42], s[0:1], s14, v8, v[2:3]
	v_mad_u64_u32 v[45:46], s[0:1], s14, v6, v[2:3]
	v_add_co_u32_e32 v2, vcc, 7, v0
	v_addc_co_u32_e32 v3, vcc, 0, v1, vcc
	v_mul_lo_u32 v15, s15, v8
	v_mad_u64_u32 v[43:44], s[0:1], s14, v8, v[9:10]
	v_mad_u64_u32 v[47:48], s[0:1], s14, v6, v[9:10]
	v_mul_lo_u32 v8, s14, v3
	v_mul_lo_u32 v9, s15, v2
	v_mad_u64_u32 v[2:3], s[0:1], s14, v2, 0
	v_mul_lo_u32 v7, s14, v7
	v_mul_lo_u32 v6, s15, v6
	v_add3_u32 v3, v3, v8, v9
	v_lshlrev_b64 v[2:3], 3, v[2:3]
	v_mov_b32_e32 v8, s19
	v_add3_u32 v46, v6, v46, v7
	v_add3_u32 v48, v6, v48, v7
	v_mov_b32_e32 v6, s17
	v_add_co_u32_e32 v7, vcc, s16, v2
	v_addc_co_u32_e32 v6, vcc, v6, v3, vcc
	buffer_store_dword v6, off, s[36:39], 0 offset:20 ; 4-byte Folded Spill
	v_add_co_u32_e32 v6, vcc, 6, v0
	buffer_store_dword v7, off, s[36:39], 0 offset:16 ; 4-byte Folded Spill
	v_addc_co_u32_e32 v7, vcc, 0, v1, vcc
	v_mul_lo_u32 v9, s14, v7
	v_mul_lo_u32 v10, s15, v6
	v_mad_u64_u32 v[6:7], s[0:1], s14, v6, 0
	v_add_co_u32_e32 v2, vcc, s18, v2
	buffer_store_dword v2, off, s[36:39], 0 offset:28 ; 4-byte Folded Spill
	v_addc_co_u32_e32 v2, vcc, v8, v3, vcc
	v_add3_u32 v7, v7, v9, v10
	buffer_store_dword v2, off, s[36:39], 0 offset:36 ; 4-byte Folded Spill
	v_lshlrev_b64 v[2:3], 3, v[6:7]
	v_mov_b32_e32 v6, s17
	v_add_co_u32_e32 v7, vcc, s16, v2
	v_addc_co_u32_e32 v6, vcc, v6, v3, vcc
	buffer_store_dword v6, off, s[36:39], 0 offset:48 ; 4-byte Folded Spill
	v_add_co_u32_e32 v6, vcc, 5, v0
	buffer_store_dword v7, off, s[36:39], 0 offset:44 ; 4-byte Folded Spill
	v_addc_co_u32_e32 v7, vcc, 0, v1, vcc
	v_mul_lo_u32 v9, s14, v7
	v_mul_lo_u32 v10, s15, v6
	v_mad_u64_u32 v[6:7], s[0:1], s14, v6, 0
	v_add_co_u32_e32 v2, vcc, s18, v2
	buffer_store_dword v2, off, s[36:39], 0 offset:52 ; 4-byte Folded Spill
	v_addc_co_u32_e32 v2, vcc, v8, v3, vcc
	v_add3_u32 v7, v7, v9, v10
	buffer_store_dword v2, off, s[36:39], 0 offset:56 ; 4-byte Folded Spill
	v_lshlrev_b64 v[2:3], 3, v[6:7]
	v_mov_b32_e32 v6, s17
	v_add_co_u32_e32 v7, vcc, s16, v2
	v_addc_co_u32_e32 v6, vcc, v6, v3, vcc
	buffer_store_dword v6, off, s[36:39], 0 offset:64 ; 4-byte Folded Spill
	v_add_co_u32_e32 v6, vcc, 4, v0
	buffer_store_dword v7, off, s[36:39], 0 offset:60 ; 4-byte Folded Spill
	v_addc_co_u32_e32 v7, vcc, 0, v1, vcc
	v_mul_lo_u32 v9, s14, v7
	v_mul_lo_u32 v10, s15, v6
	v_mad_u64_u32 v[6:7], s[0:1], s14, v6, 0
	v_add_co_u32_e32 v2, vcc, s18, v2
	buffer_store_dword v2, off, s[36:39], 0 offset:68 ; 4-byte Folded Spill
	v_addc_co_u32_e32 v2, vcc, v8, v3, vcc
	v_add3_u32 v7, v7, v9, v10
	buffer_store_dword v2, off, s[36:39], 0 offset:72 ; 4-byte Folded Spill
	v_lshlrev_b64 v[2:3], 3, v[6:7]
	v_mov_b32_e32 v6, s17
	v_add_co_u32_e32 v7, vcc, s16, v2
	v_addc_co_u32_e32 v6, vcc, v6, v3, vcc
	buffer_store_dword v6, off, s[36:39], 0 offset:80 ; 4-byte Folded Spill
	v_mov_b32_e32 v6, s19
	v_add_co_u32_e32 v2, vcc, s18, v2
	buffer_store_dword v2, off, s[36:39], 0 offset:84 ; 4-byte Folded Spill
	v_addc_co_u32_e32 v2, vcc, v6, v3, vcc
	buffer_store_dword v2, off, s[36:39], 0 offset:88 ; 4-byte Folded Spill
	v_add_co_u32_e32 v2, vcc, 3, v0
	v_addc_co_u32_e32 v3, vcc, 0, v1, vcc
	buffer_store_dword v7, off, s[36:39], 0 offset:76 ; 4-byte Folded Spill
	v_mul_lo_u32 v6, s14, v3
	v_mul_lo_u32 v7, s15, v2
	v_mad_u64_u32 v[2:3], s[0:1], s14, v2, 0
	v_mul_lo_u32 v13, s14, v13
	v_mul_lo_u32 v11, s14, v11
	v_add3_u32 v3, v3, v6, v7
	v_lshlrev_b64 v[2:3], 3, v[2:3]
	v_mov_b32_e32 v6, s17
	v_add_co_u32_e32 v7, vcc, s16, v2
	v_addc_co_u32_e32 v6, vcc, v6, v3, vcc
	buffer_store_dword v6, off, s[36:39], 0 offset:96 ; 4-byte Folded Spill
	v_mov_b32_e32 v6, s19
	v_add_co_u32_e32 v2, vcc, s18, v2
	buffer_store_dword v2, off, s[36:39], 0 offset:100 ; 4-byte Folded Spill
	v_addc_co_u32_e32 v2, vcc, v6, v3, vcc
	v_add_co_u32_e32 v0, vcc, 2, v0
	v_addc_co_u32_e32 v1, vcc, 0, v1, vcc
	buffer_store_dword v2, off, s[36:39], 0 offset:104 ; 4-byte Folded Spill
	v_mul_lo_u32 v2, s14, v1
	v_mul_lo_u32 v3, s15, v0
	v_mad_u64_u32 v[0:1], s[0:1], s14, v0, 0
	v_mul_lo_u32 v14, s14, v14
	buffer_store_dword v7, off, s[36:39], 0 offset:92 ; 4-byte Folded Spill
	v_add3_u32 v1, v1, v2, v3
	v_lshlrev_b64 v[0:1], 3, v[0:1]
	v_mov_b32_e32 v2, s17
	v_add_co_u32_e32 v3, vcc, s16, v0
	v_addc_co_u32_e32 v2, vcc, v2, v1, vcc
	buffer_store_dword v2, off, s[36:39], 0 offset:112 ; 4-byte Folded Spill
	v_mov_b32_e32 v2, s19
	v_add_co_u32_e32 v0, vcc, s18, v0
	buffer_store_dword v0, off, s[36:39], 0 offset:116 ; 4-byte Folded Spill
	v_addc_co_u32_e32 v0, vcc, v2, v1, vcc
	buffer_store_dword v0, off, s[36:39], 0 offset:120 ; 4-byte Folded Spill
	v_lshlrev_b64 v[0:1], 3, v[4:5]
	buffer_store_dword v3, off, s[36:39], 0 offset:108 ; 4-byte Folded Spill
	v_mov_b32_e32 v2, s17
	v_add_co_u32_e32 v3, vcc, s16, v0
	v_addc_co_u32_e32 v2, vcc, v2, v1, vcc
	buffer_store_dword v2, off, s[36:39], 0 offset:128 ; 4-byte Folded Spill
	v_mov_b32_e32 v2, s19
	v_add_co_u32_e32 v0, vcc, s18, v0
	buffer_store_dword v0, off, s[36:39], 0 offset:132 ; 4-byte Folded Spill
	v_addc_co_u32_e32 v0, vcc, v2, v1, vcc
	v_mov_b32_e32 v2, 0
	buffer_store_dword v3, off, s[36:39], 0 offset:124 ; 4-byte Folded Spill
	buffer_store_dword v0, off, s[36:39], 0 offset:136 ; 4-byte Folded Spill
	buffer_store_dword v17, off, s[36:39], 0 offset:140 ; 4-byte Folded Spill
	v_add_u32_e32 v0, s33, v17
	v_mov_b32_e32 v1, v2
	v_lshlrev_b64 v[49:50], 3, v[0:1]
	v_mbcnt_lo_u32_b32 v0, -1, 0
	v_mbcnt_hi_u32_b32 v0, -1, v0
	v_lshlrev_b32_e32 v0, 2, v0
	v_add3_u32 v34, v16, v34, v13
	v_add3_u32 v36, v16, v36, v13
	;; [unrolled: 1-line block ×6, first 2 shown]
	v_and_b32_e32 v63, 0x100, v0
.LBB126_54:                             ; =>This Inner Loop Header: Depth=1
	v_mov_b32_e32 v0, s12
	v_mov_b32_e32 v1, s13
	v_cmp_ge_i64_e32 vcc, s[22:23], v[0:1]
	buffer_load_dword v1, off, s[36:39], 0 offset:168 ; 4-byte Folded Reload
	v_mov_b32_e32 v0, s23
	s_and_b64 vcc, exec, vcc
                                        ; implicit-def: $vgpr4_vgpr5
	s_waitcnt vmcnt(0)
	v_add_co_u32_e64 v55, s[0:1], s22, v1
	v_addc_co_u32_e64 v56, s[0:1], 0, v0, s[0:1]
	s_mov_b64 s[0:1], -1
	s_cbranch_vccz .LBB126_76
; %bb.55:                               ;   in Loop: Header=BB126_54 Depth=1
	buffer_store_dword v59, off, s[36:39], 0 offset:172 ; 4-byte Folded Spill
	s_nop 0
	buffer_store_dword v60, off, s[36:39], 0 offset:176 ; 4-byte Folded Spill
	s_load_dword s0, s[2:3], 0xc
	buffer_load_dword v0, off, s[36:39], 0 offset:140 ; 4-byte Folded Reload
	buffer_load_dword v1, off, s[36:39], 0 offset:24 ; 4-byte Folded Reload
	v_mov_b32_e32 v57, 0
	v_mov_b32_e32 v27, 0
	;; [unrolled: 1-line block ×3, first 2 shown]
	s_waitcnt lgkmcnt(0)
	s_and_b32 s0, s0, 0xffff
	v_mov_b32_e32 v28, 0
	s_waitcnt vmcnt(0)
	v_mad_u32_u24 v0, v1, s0, v0
	v_and_b32_e32 v0, 63, v0
	v_cmp_gt_u32_e32 vcc, 8, v0
	s_and_saveexec_b64 s[0:1], vcc
	s_cbranch_execz .LBB126_59
; %bb.56:                               ;   in Loop: Header=BB126_54 Depth=1
	v_add_co_u32_e32 v0, vcc, v55, v0
	v_addc_co_u32_e32 v1, vcc, 0, v56, vcc
	v_add_co_u32_e32 v0, vcc, 0xffffff81, v0
	v_addc_co_u32_e32 v1, vcc, -1, v1, vcc
	v_cmp_gt_i64_e32 vcc, s[12:13], v[0:1]
	v_mov_b32_e32 v27, 0
	v_mov_b32_e32 v28, 0
	s_and_saveexec_b64 s[16:17], vcc
	s_cbranch_execz .LBB126_58
; %bb.57:                               ;   in Loop: Header=BB126_54 Depth=1
	v_lshlrev_b64 v[0:1], 3, v[0:1]
	v_mov_b32_e32 v3, s11
	v_add_co_u32_e32 v0, vcc, s10, v0
	v_addc_co_u32_e32 v1, vcc, v3, v1, vcc
	global_load_dwordx2 v[27:28], v[0:1], off
.LBB126_58:                             ;   in Loop: Header=BB126_54 Depth=1
	s_or_b64 exec, exec, s[16:17]
.LBB126_59:                             ;   in Loop: Header=BB126_54 Depth=1
	s_or_b64 exec, exec, s[0:1]
	v_add_co_u32_e32 v0, vcc, 0xffffff81, v55
	v_addc_co_u32_e32 v1, vcc, -1, v56, vcc
	v_mov_b32_e32 v3, v2
	v_mov_b32_e32 v4, v2
	;; [unrolled: 1-line block ×15, first 2 shown]
	v_cmp_gt_i64_e32 vcc, s[12:13], v[0:1]
	v_mov_b32_e32 v18, v17
	v_mov_b32_e32 v17, v16
	;; [unrolled: 1-line block ×16, first 2 shown]
	s_and_saveexec_b64 s[0:1], vcc
	s_cbranch_execz .LBB126_61
; %bb.60:                               ;   in Loop: Header=BB126_54 Depth=1
	buffer_load_dword v0, off, s[36:39], 0  ; 4-byte Folded Reload
	buffer_load_dword v1, off, s[36:39], 0 offset:4 ; 4-byte Folded Reload
	v_mov_b32_e32 v5, v2
	v_mov_b32_e32 v6, v2
	;; [unrolled: 1-line block ×14, first 2 shown]
	s_waitcnt vmcnt(1)
	v_add_co_u32_e32 v0, vcc, v0, v49
	s_waitcnt vmcnt(0)
	v_addc_co_u32_e32 v1, vcc, v1, v50, vcc
	global_load_dwordx2 v[3:4], v[0:1], off
	s_nop 0
	buffer_load_dword v0, off, s[36:39], 0 offset:8 ; 4-byte Folded Reload
	buffer_load_dword v1, off, s[36:39], 0 offset:12 ; 4-byte Folded Reload
	s_waitcnt vmcnt(1)
	v_add_co_u32_e32 v0, vcc, v0, v49
	s_waitcnt vmcnt(0)
	v_addc_co_u32_e32 v1, vcc, v1, v50, vcc
	global_load_dwordx2 v[57:58], v[0:1], off
.LBB126_61:                             ;   in Loop: Header=BB126_54 Depth=1
	s_or_b64 exec, exec, s[0:1]
	v_add_co_u32_e32 v0, vcc, 0xffffff82, v55
	v_addc_co_u32_e32 v1, vcc, -1, v56, vcc
	v_cmp_gt_i64_e32 vcc, s[12:13], v[0:1]
	v_mov_b32_e32 v61, 0
	v_mov_b32_e32 v0, 0
	;; [unrolled: 1-line block ×4, first 2 shown]
	buffer_store_dword v0, off, s[36:39], 0 offset:144 ; 4-byte Folded Spill
	s_nop 0
	buffer_store_dword v1, off, s[36:39], 0 offset:148 ; 4-byte Folded Spill
	s_and_saveexec_b64 s[0:1], vcc
	s_cbranch_execz .LBB126_63
; %bb.62:                               ;   in Loop: Header=BB126_54 Depth=1
	buffer_load_dword v0, off, s[36:39], 0 offset:124 ; 4-byte Folded Reload
	buffer_load_dword v1, off, s[36:39], 0 offset:128 ; 4-byte Folded Reload
	s_waitcnt vmcnt(1)
	v_add_co_u32_e32 v0, vcc, v0, v49
	s_waitcnt vmcnt(0)
	v_addc_co_u32_e32 v1, vcc, v1, v50, vcc
	global_load_dwordx2 v[5:6], v[0:1], off
	s_nop 0
	buffer_load_dword v0, off, s[36:39], 0 offset:132 ; 4-byte Folded Reload
	buffer_load_dword v1, off, s[36:39], 0 offset:136 ; 4-byte Folded Reload
	s_waitcnt vmcnt(1)
	v_add_co_u32_e32 v0, vcc, v0, v49
	s_waitcnt vmcnt(0)
	v_addc_co_u32_e32 v1, vcc, v1, v50, vcc
	global_load_dwordx2 v[0:1], v[0:1], off
	s_waitcnt vmcnt(0)
	buffer_store_dword v0, off, s[36:39], 0 offset:144 ; 4-byte Folded Spill
	s_nop 0
	buffer_store_dword v1, off, s[36:39], 0 offset:148 ; 4-byte Folded Spill
.LBB126_63:                             ;   in Loop: Header=BB126_54 Depth=1
	s_or_b64 exec, exec, s[0:1]
	v_add_co_u32_e32 v0, vcc, 0xffffff83, v55
	v_addc_co_u32_e32 v1, vcc, -1, v56, vcc
	v_cmp_gt_i64_e32 vcc, s[12:13], v[0:1]
	s_and_saveexec_b64 s[0:1], vcc
	s_cbranch_execz .LBB126_65
; %bb.64:                               ;   in Loop: Header=BB126_54 Depth=1
	buffer_load_dword v0, off, s[36:39], 0 offset:108 ; 4-byte Folded Reload
	buffer_load_dword v1, off, s[36:39], 0 offset:112 ; 4-byte Folded Reload
	s_waitcnt vmcnt(1)
	v_add_co_u32_e32 v0, vcc, v0, v49
	s_waitcnt vmcnt(0)
	v_addc_co_u32_e32 v1, vcc, v1, v50, vcc
	global_load_dwordx2 v[7:8], v[0:1], off
	s_nop 0
	buffer_load_dword v0, off, s[36:39], 0 offset:116 ; 4-byte Folded Reload
	buffer_load_dword v1, off, s[36:39], 0 offset:120 ; 4-byte Folded Reload
	s_waitcnt vmcnt(1)
	v_add_co_u32_e32 v0, vcc, v0, v49
	s_waitcnt vmcnt(0)
	v_addc_co_u32_e32 v1, vcc, v1, v50, vcc
	global_load_dwordx2 v[61:62], v[0:1], off
.LBB126_65:                             ;   in Loop: Header=BB126_54 Depth=1
	s_or_b64 exec, exec, s[0:1]
	v_add_co_u32_e32 v0, vcc, 0xffffff84, v55
	v_addc_co_u32_e32 v1, vcc, -1, v56, vcc
	v_cmp_gt_i64_e32 vcc, s[12:13], v[0:1]
	v_mov_b32_e32 v0, 0
	v_mov_b32_e32 v1, 0
	buffer_store_dword v0, off, s[36:39], 0 offset:152 ; 4-byte Folded Spill
	s_nop 0
	buffer_store_dword v1, off, s[36:39], 0 offset:156 ; 4-byte Folded Spill
	v_mov_b32_e32 v0, 0
	v_mov_b32_e32 v1, 0
	buffer_store_dword v0, off, s[36:39], 0 offset:160 ; 4-byte Folded Spill
	s_nop 0
	buffer_store_dword v1, off, s[36:39], 0 offset:164 ; 4-byte Folded Spill
	s_and_saveexec_b64 s[0:1], vcc
	s_cbranch_execz .LBB126_67
; %bb.66:                               ;   in Loop: Header=BB126_54 Depth=1
	buffer_load_dword v0, off, s[36:39], 0 offset:92 ; 4-byte Folded Reload
	buffer_load_dword v1, off, s[36:39], 0 offset:96 ; 4-byte Folded Reload
	s_waitcnt vmcnt(1)
	v_add_co_u32_e32 v0, vcc, v0, v49
	s_waitcnt vmcnt(0)
	v_addc_co_u32_e32 v1, vcc, v1, v50, vcc
	global_load_dwordx2 v[9:10], v[0:1], off
	s_nop 0
	buffer_load_dword v0, off, s[36:39], 0 offset:100 ; 4-byte Folded Reload
	buffer_load_dword v1, off, s[36:39], 0 offset:104 ; 4-byte Folded Reload
	s_waitcnt vmcnt(1)
	v_add_co_u32_e32 v0, vcc, v0, v49
	s_waitcnt vmcnt(0)
	v_addc_co_u32_e32 v1, vcc, v1, v50, vcc
	global_load_dwordx2 v[0:1], v[0:1], off
	s_waitcnt vmcnt(0)
	buffer_store_dword v0, off, s[36:39], 0 offset:160 ; 4-byte Folded Spill
	s_nop 0
	buffer_store_dword v1, off, s[36:39], 0 offset:164 ; 4-byte Folded Spill
.LBB126_67:                             ;   in Loop: Header=BB126_54 Depth=1
	s_or_b64 exec, exec, s[0:1]
	v_add_co_u32_e32 v0, vcc, 0xffffff85, v55
	v_addc_co_u32_e32 v1, vcc, -1, v56, vcc
	v_cmp_gt_i64_e32 vcc, s[12:13], v[0:1]
	s_and_saveexec_b64 s[0:1], vcc
	s_cbranch_execz .LBB126_69
; %bb.68:                               ;   in Loop: Header=BB126_54 Depth=1
	buffer_load_dword v0, off, s[36:39], 0 offset:76 ; 4-byte Folded Reload
	buffer_load_dword v1, off, s[36:39], 0 offset:80 ; 4-byte Folded Reload
	s_waitcnt vmcnt(1)
	v_add_co_u32_e32 v0, vcc, v0, v49
	s_waitcnt vmcnt(0)
	v_addc_co_u32_e32 v1, vcc, v1, v50, vcc
	global_load_dwordx2 v[11:12], v[0:1], off
	s_nop 0
	buffer_load_dword v0, off, s[36:39], 0 offset:84 ; 4-byte Folded Reload
	buffer_load_dword v1, off, s[36:39], 0 offset:88 ; 4-byte Folded Reload
	s_waitcnt vmcnt(1)
	v_add_co_u32_e32 v0, vcc, v0, v49
	s_waitcnt vmcnt(0)
	v_addc_co_u32_e32 v1, vcc, v1, v50, vcc
	global_load_dwordx2 v[0:1], v[0:1], off
	s_waitcnt vmcnt(0)
	buffer_store_dword v0, off, s[36:39], 0 offset:152 ; 4-byte Folded Spill
	s_nop 0
	buffer_store_dword v1, off, s[36:39], 0 offset:156 ; 4-byte Folded Spill
.LBB126_69:                             ;   in Loop: Header=BB126_54 Depth=1
	s_or_b64 exec, exec, s[0:1]
	v_add_co_u32_e32 v0, vcc, 0xffffff86, v55
	v_addc_co_u32_e32 v1, vcc, -1, v56, vcc
	v_cmp_gt_i64_e32 vcc, s[12:13], v[0:1]
	v_mov_b32_e32 v51, 0
	v_mov_b32_e32 v0, 0
	;; [unrolled: 1-line block ×4, first 2 shown]
	s_and_saveexec_b64 s[0:1], vcc
	s_cbranch_execz .LBB126_71
; %bb.70:                               ;   in Loop: Header=BB126_54 Depth=1
	buffer_load_dword v0, off, s[36:39], 0 offset:60 ; 4-byte Folded Reload
	buffer_load_dword v1, off, s[36:39], 0 offset:64 ; 4-byte Folded Reload
	s_waitcnt vmcnt(1)
	v_add_co_u32_e32 v0, vcc, v0, v49
	s_waitcnt vmcnt(0)
	v_addc_co_u32_e32 v1, vcc, v1, v50, vcc
	global_load_dwordx2 v[13:14], v[0:1], off
	s_nop 0
	buffer_load_dword v0, off, s[36:39], 0 offset:68 ; 4-byte Folded Reload
	buffer_load_dword v1, off, s[36:39], 0 offset:72 ; 4-byte Folded Reload
	s_waitcnt vmcnt(1)
	v_add_co_u32_e32 v0, vcc, v0, v49
	s_waitcnt vmcnt(0)
	v_addc_co_u32_e32 v1, vcc, v1, v50, vcc
	global_load_dwordx2 v[0:1], v[0:1], off
.LBB126_71:                             ;   in Loop: Header=BB126_54 Depth=1
	s_or_b64 exec, exec, s[0:1]
	v_add_co_u32_e32 v53, vcc, 0xffffff87, v55
	v_addc_co_u32_e32 v54, vcc, -1, v56, vcc
	v_cmp_gt_i64_e32 vcc, s[12:13], v[53:54]
	s_and_saveexec_b64 s[0:1], vcc
	s_cbranch_execz .LBB126_73
; %bb.72:                               ;   in Loop: Header=BB126_54 Depth=1
	buffer_load_dword v15, off, s[36:39], 0 offset:44 ; 4-byte Folded Reload
	buffer_load_dword v16, off, s[36:39], 0 offset:48 ; 4-byte Folded Reload
	;; [unrolled: 1-line block ×4, first 2 shown]
	s_waitcnt vmcnt(3)
	v_add_co_u32_e32 v15, vcc, v15, v49
	s_waitcnt vmcnt(2)
	v_addc_co_u32_e32 v16, vcc, v16, v50, vcc
	s_waitcnt vmcnt(1)
	v_add_co_u32_e32 v51, vcc, v51, v49
	s_waitcnt vmcnt(0)
	v_addc_co_u32_e32 v52, vcc, v52, v50, vcc
	global_load_dwordx2 v[15:16], v[15:16], off
	s_nop 0
	global_load_dwordx2 v[51:52], v[51:52], off
.LBB126_73:                             ;   in Loop: Header=BB126_54 Depth=1
	s_or_b64 exec, exec, s[0:1]
	v_add_co_u32_e32 v53, vcc, 0xffffff88, v55
	v_addc_co_u32_e32 v54, vcc, -1, v56, vcc
	v_cmp_gt_i64_e32 vcc, s[12:13], v[53:54]
	v_mov_b32_e32 v53, 0
	v_mov_b32_e32 v54, 0
	s_and_saveexec_b64 s[0:1], vcc
	s_cbranch_execz .LBB126_75
; %bb.74:                               ;   in Loop: Header=BB126_54 Depth=1
	buffer_load_dword v17, off, s[36:39], 0 offset:16 ; 4-byte Folded Reload
	buffer_load_dword v18, off, s[36:39], 0 offset:20 ; 4-byte Folded Reload
	;; [unrolled: 1-line block ×4, first 2 shown]
	s_waitcnt vmcnt(3)
	v_add_co_u32_e32 v17, vcc, v17, v49
	s_waitcnt vmcnt(2)
	v_addc_co_u32_e32 v18, vcc, v18, v50, vcc
	s_waitcnt vmcnt(1)
	v_add_co_u32_e32 v53, vcc, v53, v49
	s_waitcnt vmcnt(0)
	v_addc_co_u32_e32 v54, vcc, v54, v50, vcc
	global_load_dwordx2 v[17:18], v[17:18], off
	s_nop 0
	global_load_dwordx2 v[53:54], v[53:54], off
.LBB126_75:                             ;   in Loop: Header=BB126_54 Depth=1
	s_or_b64 exec, exec, s[0:1]
	buffer_load_dword v59, off, s[36:39], 0 offset:144 ; 4-byte Folded Reload
	buffer_load_dword v60, off, s[36:39], 0 offset:148 ; 4-byte Folded Reload
	s_waitcnt vmcnt(8)
	v_mul_f64 v[3:4], v[57:58], v[3:4]
	ds_bpermute_b32 v57, v63, v27
	ds_bpermute_b32 v58, v63, v28
	s_waitcnt vmcnt(6)
	v_mul_f64 v[7:8], v[61:62], v[7:8]
	s_waitcnt vmcnt(2)
	v_mul_f64 v[0:1], v[0:1], v[13:14]
	s_mov_b64 s[0:1], 0
	s_waitcnt vmcnt(0)
	v_mul_f64 v[5:6], v[59:60], v[5:6]
	buffer_load_dword v59, off, s[36:39], 0 offset:172 ; 4-byte Folded Reload
	buffer_load_dword v60, off, s[36:39], 0 offset:176 ; 4-byte Folded Reload
	s_waitcnt vmcnt(0) lgkmcnt(0)
	v_fma_f64 v[3:4], v[3:4], v[57:58], v[59:60]
	ds_bpermute_b32 v57, v63, v27 offset:4
	ds_bpermute_b32 v58, v63, v28 offset:4
	s_waitcnt lgkmcnt(0)
	v_fma_f64 v[3:4], v[5:6], v[57:58], v[3:4]
	buffer_load_dword v57, off, s[36:39], 0 offset:160 ; 4-byte Folded Reload
	buffer_load_dword v58, off, s[36:39], 0 offset:164 ; 4-byte Folded Reload
	ds_bpermute_b32 v5, v63, v27 offset:8
	ds_bpermute_b32 v6, v63, v28 offset:8
	s_waitcnt lgkmcnt(0)
	v_fma_f64 v[3:4], v[7:8], v[5:6], v[3:4]
	buffer_load_dword v7, off, s[36:39], 0 offset:152 ; 4-byte Folded Reload
	buffer_load_dword v8, off, s[36:39], 0 offset:156 ; 4-byte Folded Reload
	ds_bpermute_b32 v5, v63, v27 offset:12
	ds_bpermute_b32 v6, v63, v28 offset:12
	s_waitcnt vmcnt(2)
	v_mul_f64 v[9:10], v[57:58], v[9:10]
	s_waitcnt vmcnt(0)
	v_mul_f64 v[7:8], v[7:8], v[11:12]
	s_waitcnt lgkmcnt(0)
	v_fma_f64 v[3:4], v[9:10], v[5:6], v[3:4]
	ds_bpermute_b32 v5, v63, v27 offset:16
	ds_bpermute_b32 v6, v63, v28 offset:16
	s_waitcnt lgkmcnt(0)
	v_fma_f64 v[3:4], v[7:8], v[5:6], v[3:4]
	ds_bpermute_b32 v5, v63, v27 offset:20
	ds_bpermute_b32 v6, v63, v28 offset:20
	v_mul_f64 v[7:8], v[51:52], v[15:16]
	s_waitcnt lgkmcnt(0)
	v_fma_f64 v[0:1], v[0:1], v[5:6], v[3:4]
	ds_bpermute_b32 v3, v63, v27 offset:24
	ds_bpermute_b32 v4, v63, v28 offset:24
	;; [unrolled: 1-line block ×4, first 2 shown]
	s_waitcnt lgkmcnt(2)
	v_fma_f64 v[0:1], v[7:8], v[3:4], v[0:1]
	v_mul_f64 v[3:4], v[53:54], v[17:18]
	s_waitcnt lgkmcnt(0)
	v_fma_f64 v[4:5], v[3:4], v[5:6], v[0:1]
.LBB126_76:                             ;   in Loop: Header=BB126_54 Depth=1
	s_and_b64 vcc, exec, s[0:1]
	s_cbranch_vccz .LBB126_82
; %bb.77:                               ;   in Loop: Header=BB126_54 Depth=1
	s_load_dword s0, s[2:3], 0x0
	s_waitcnt lgkmcnt(0)
	s_cmp_lt_u32 s6, s0
	s_cselect_b32 s0, 12, 18
	s_add_u32 s0, s2, s0
	s_addc_u32 s1, s3, 0
	global_load_ushort v0, v2, s[0:1]
	buffer_load_dword v1, off, s[36:39], 0 offset:140 ; 4-byte Folded Reload
	buffer_load_dword v3, off, s[36:39], 0 offset:24 ; 4-byte Folded Reload
	s_waitcnt vmcnt(0)
	v_mad_u32_u24 v0, v3, v0, v1
	v_and_b32_e32 v0, 63, v0
	v_mov_b32_e32 v3, 0
	v_mov_b32_e32 v4, 0
	v_cmp_gt_u32_e32 vcc, 8, v0
	s_and_saveexec_b64 s[0:1], vcc
	s_cbranch_execz .LBB126_81
; %bb.78:                               ;   in Loop: Header=BB126_54 Depth=1
	v_add_co_u32_e32 v0, vcc, v55, v0
	v_addc_co_u32_e32 v1, vcc, 0, v56, vcc
	v_add_co_u32_e32 v0, vcc, 0xffffff81, v0
	v_addc_co_u32_e32 v1, vcc, -1, v1, vcc
	v_cmp_gt_i64_e32 vcc, s[12:13], v[0:1]
	v_mov_b32_e32 v3, 0
	v_mov_b32_e32 v4, 0
	s_and_saveexec_b64 s[16:17], vcc
	s_cbranch_execz .LBB126_80
; %bb.79:                               ;   in Loop: Header=BB126_54 Depth=1
	v_lshlrev_b64 v[0:1], 3, v[0:1]
	v_mov_b32_e32 v3, s11
	v_add_co_u32_e32 v0, vcc, s10, v0
	v_addc_co_u32_e32 v1, vcc, v3, v1, vcc
	global_load_dwordx2 v[3:4], v[0:1], off
.LBB126_80:                             ;   in Loop: Header=BB126_54 Depth=1
	s_or_b64 exec, exec, s[16:17]
.LBB126_81:                             ;   in Loop: Header=BB126_54 Depth=1
	s_or_b64 exec, exec, s[0:1]
	buffer_load_dword v0, off, s[36:39], 0  ; 4-byte Folded Reload
	buffer_load_dword v1, off, s[36:39], 0 offset:4 ; 4-byte Folded Reload
	buffer_load_dword v5, off, s[36:39], 0 offset:8 ; 4-byte Folded Reload
	;; [unrolled: 1-line block ×3, first 2 shown]
	v_add_co_u32_e64 v9, s[0:1], v21, v49
	s_waitcnt vmcnt(3)
	v_add_co_u32_e32 v0, vcc, v0, v49
	s_waitcnt vmcnt(2)
	v_addc_co_u32_e32 v1, vcc, v1, v50, vcc
	s_waitcnt vmcnt(1)
	v_add_co_u32_e32 v5, vcc, v5, v49
	s_waitcnt vmcnt(0)
	v_addc_co_u32_e32 v6, vcc, v6, v50, vcc
	global_load_dwordx2 v[0:1], v[0:1], off
	v_add_co_u32_e32 v7, vcc, v19, v49
	global_load_dwordx2 v[5:6], v[5:6], off
	v_addc_co_u32_e32 v8, vcc, v20, v50, vcc
	v_addc_co_u32_e64 v10, vcc, v22, v50, s[0:1]
	global_load_dwordx2 v[7:8], v[7:8], off
	s_nop 0
	global_load_dwordx2 v[9:10], v[9:10], off
	v_add_co_u32_e32 v11, vcc, v23, v49
	v_add_co_u32_e64 v13, s[0:1], v25, v49
	v_addc_co_u32_e32 v12, vcc, v24, v50, vcc
	v_addc_co_u32_e64 v14, vcc, v26, v50, s[0:1]
	global_load_dwordx2 v[11:12], v[11:12], off
	s_nop 0
	global_load_dwordx2 v[13:14], v[13:14], off
	v_add_co_u32_e32 v15, vcc, v29, v49
	v_addc_co_u32_e32 v16, vcc, v30, v50, vcc
	s_waitcnt vmcnt(4)
	v_mul_f64 v[0:1], v[0:1], v[5:6]
	ds_bpermute_b32 v5, v63, v3
	ds_bpermute_b32 v6, v63, v4
	s_waitcnt vmcnt(2)
	v_mul_f64 v[7:8], v[7:8], v[9:10]
	s_waitcnt lgkmcnt(0)
	v_fma_f64 v[0:1], v[0:1], v[5:6], v[59:60]
	v_add_co_u32_e64 v5, s[0:1], v31, v49
	v_addc_co_u32_e64 v6, vcc, v32, v50, s[0:1]
	global_load_dwordx2 v[15:16], v[15:16], off
	s_nop 0
	global_load_dwordx2 v[5:6], v[5:6], off
	v_add_co_u32_e32 v17, vcc, v33, v49
	v_add_co_u32_e64 v9, s[0:1], v35, v49
	v_addc_co_u32_e32 v18, vcc, v34, v50, vcc
	v_addc_co_u32_e64 v10, vcc, v36, v50, s[0:1]
	global_load_dwordx2 v[17:18], v[17:18], off
	s_nop 0
	global_load_dwordx2 v[9:10], v[9:10], off
	s_waitcnt vmcnt(4)
	v_mul_f64 v[11:12], v[11:12], v[13:14]
	ds_bpermute_b32 v13, v63, v3 offset:4
	ds_bpermute_b32 v14, v63, v4 offset:4
	s_waitcnt lgkmcnt(0)
	v_fma_f64 v[0:1], v[7:8], v[13:14], v[0:1]
	ds_bpermute_b32 v7, v63, v3 offset:8
	ds_bpermute_b32 v8, v63, v4 offset:8
	v_add_co_u32_e32 v13, vcc, v37, v49
	v_addc_co_u32_e32 v14, vcc, v38, v50, vcc
	s_waitcnt lgkmcnt(0)
	v_fma_f64 v[0:1], v[11:12], v[7:8], v[0:1]
	v_add_co_u32_e64 v7, s[0:1], v39, v49
	v_addc_co_u32_e64 v8, vcc, v40, v50, s[0:1]
	global_load_dwordx2 v[13:14], v[13:14], off
	s_nop 0
	global_load_dwordx2 v[7:8], v[7:8], off
	ds_bpermute_b32 v11, v63, v3 offset:12
	ds_bpermute_b32 v12, v63, v4 offset:12
	s_waitcnt vmcnt(4)
	v_mul_f64 v[5:6], v[15:16], v[5:6]
	v_add_co_u32_e32 v15, vcc, v41, v49
	v_addc_co_u32_e32 v16, vcc, v42, v50, vcc
	s_waitcnt lgkmcnt(0)
	v_fma_f64 v[0:1], v[5:6], v[11:12], v[0:1]
	v_add_co_u32_e64 v5, s[0:1], v43, v49
	v_addc_co_u32_e64 v6, vcc, v44, v50, s[0:1]
	global_load_dwordx2 v[11:12], v[15:16], off
	s_nop 0
	global_load_dwordx2 v[5:6], v[5:6], off
	v_add_co_u32_e32 v15, vcc, v45, v49
	s_waitcnt vmcnt(4)
	v_mul_f64 v[9:10], v[17:18], v[9:10]
	v_add_co_u32_e64 v17, s[0:1], v47, v49
	v_addc_co_u32_e32 v16, vcc, v46, v50, vcc
	v_addc_co_u32_e64 v18, vcc, v48, v50, s[0:1]
	global_load_dwordx2 v[15:16], v[15:16], off
	s_nop 0
	global_load_dwordx2 v[17:18], v[17:18], off
	s_waitcnt vmcnt(4)
	v_mul_f64 v[7:8], v[13:14], v[7:8]
	ds_bpermute_b32 v13, v63, v3 offset:16
	ds_bpermute_b32 v14, v63, v4 offset:16
	s_waitcnt lgkmcnt(0)
	v_fma_f64 v[0:1], v[9:10], v[13:14], v[0:1]
	ds_bpermute_b32 v9, v63, v3 offset:20
	ds_bpermute_b32 v10, v63, v4 offset:20
	s_waitcnt lgkmcnt(0)
	v_fma_f64 v[0:1], v[7:8], v[9:10], v[0:1]
	ds_bpermute_b32 v7, v63, v3 offset:24
	ds_bpermute_b32 v8, v63, v4 offset:24
	;; [unrolled: 1-line block ×4, first 2 shown]
	s_waitcnt vmcnt(2)
	v_mul_f64 v[5:6], v[11:12], v[5:6]
	s_waitcnt lgkmcnt(2)
	v_fma_f64 v[0:1], v[5:6], v[7:8], v[0:1]
	s_waitcnt vmcnt(0)
	v_mul_f64 v[5:6], v[15:16], v[17:18]
	s_waitcnt lgkmcnt(0)
	v_fma_f64 v[4:5], v[5:6], v[3:4], v[0:1]
.LBB126_82:                             ;   in Loop: Header=BB126_54 Depth=1
	buffer_load_dword v0, off, s[36:39], 0  ; 4-byte Folded Reload
	buffer_load_dword v1, off, s[36:39], 0 offset:4 ; 4-byte Folded Reload
	s_add_u32 s20, s20, s7
	s_addc_u32 s21, s21, 0
	s_add_u32 s22, s22, s7
	s_addc_u32 s23, s23, 0
	s_waitcnt vmcnt(1)
	v_add_co_u32_e32 v0, vcc, s8, v0
	buffer_store_dword v0, off, s[36:39], 0 ; 4-byte Folded Spill
	v_mov_b32_e32 v0, s9
	s_waitcnt vmcnt(1)
	v_addc_co_u32_e32 v1, vcc, v1, v0, vcc
	buffer_store_dword v1, off, s[36:39], 0 offset:4 ; 4-byte Folded Spill
	buffer_load_dword v1, off, s[36:39], 0 offset:8 ; 4-byte Folded Reload
	s_waitcnt vmcnt(0)
	v_add_co_u32_e32 v1, vcc, s8, v1
	buffer_store_dword v1, off, s[36:39], 0 offset:8 ; 4-byte Folded Spill
	buffer_load_dword v1, off, s[36:39], 0 offset:12 ; 4-byte Folded Reload
	s_waitcnt vmcnt(0)
	v_addc_co_u32_e32 v1, vcc, v1, v0, vcc
	buffer_store_dword v1, off, s[36:39], 0 offset:12 ; 4-byte Folded Spill
	buffer_load_dword v1, off, s[36:39], 0 offset:16 ; 4-byte Folded Reload
	v_add_co_u32_e32 v19, vcc, s8, v19
	v_addc_co_u32_e32 v20, vcc, v20, v0, vcc
	v_add_co_u32_e32 v23, vcc, s8, v23
	v_addc_co_u32_e32 v24, vcc, v24, v0, vcc
	;; [unrolled: 2-line block ×14, first 2 shown]
	s_waitcnt vmcnt(0)
	v_add_co_u32_e32 v1, vcc, s8, v1
	buffer_store_dword v1, off, s[36:39], 0 offset:16 ; 4-byte Folded Spill
	buffer_load_dword v1, off, s[36:39], 0 offset:20 ; 4-byte Folded Reload
	s_waitcnt vmcnt(0)
	v_addc_co_u32_e32 v1, vcc, v1, v0, vcc
	buffer_store_dword v1, off, s[36:39], 0 offset:20 ; 4-byte Folded Spill
	buffer_load_dword v1, off, s[36:39], 0 offset:28 ; 4-byte Folded Reload
	s_waitcnt vmcnt(0)
	v_add_co_u32_e32 v1, vcc, s8, v1
	buffer_store_dword v1, off, s[36:39], 0 offset:28 ; 4-byte Folded Spill
	buffer_load_dword v1, off, s[36:39], 0 offset:36 ; 4-byte Folded Reload
	s_waitcnt vmcnt(0)
	v_addc_co_u32_e32 v1, vcc, v1, v0, vcc
	buffer_store_dword v1, off, s[36:39], 0 offset:36 ; 4-byte Folded Spill
	buffer_load_dword v1, off, s[36:39], 0 offset:44 ; 4-byte Folded Reload
	;; [unrolled: 8-line block ×13, first 2 shown]
	s_waitcnt vmcnt(0)
	v_add_co_u32_e32 v1, vcc, s8, v1
	buffer_store_dword v1, off, s[36:39], 0 offset:132 ; 4-byte Folded Spill
	buffer_load_dword v1, off, s[36:39], 0 offset:136 ; 4-byte Folded Reload
	s_waitcnt vmcnt(0)
	v_addc_co_u32_e32 v1, vcc, v1, v0, vcc
	buffer_store_dword v1, off, s[36:39], 0 offset:136 ; 4-byte Folded Spill
	v_mov_b32_e32 v0, s12
	v_mov_b32_e32 v1, s13
	v_cmp_ge_i64_e32 vcc, s[20:21], v[0:1]
	s_cbranch_vccnz .LBB126_84
; %bb.83:                               ;   in Loop: Header=BB126_54 Depth=1
	v_mov_b32_e32 v60, v5
	v_mov_b32_e32 v59, v4
	s_branch .LBB126_54
.LBB126_84:
	buffer_load_dword v17, off, s[36:39], 0 offset:140 ; 4-byte Folded Reload
.LBB126_85:
	buffer_load_dword v3, off, s[36:39], 0 offset:24 ; 4-byte Folded Reload
	s_movk_i32 s0, 0x41
	s_waitcnt vmcnt(0)
	v_mad_u32_u24 v0, v3, s0, v17
	v_lshl_add_u32 v2, v0, 3, 0
	v_mov_b32_e32 v0, 0
	v_mov_b32_e32 v1, v0
	ds_write_b64 v2, v[0:1] offset:8320
	v_lshrrev_b32_e32 v0, 6, v17
	ds_write_b64 v2, v[4:5]
	v_add_u32_e32 v4, v0, v3
	v_cmp_gt_u32_e32 vcc, 64, v4
	s_waitcnt lgkmcnt(0)
	s_barrier
	s_and_saveexec_b64 s[0:1], vcc
	s_cbranch_execz .LBB126_105
; %bb.86:
	s_load_dwordx2 s[4:5], s[4:5], 0x30
	v_and_b32_e32 v0, 63, v17
	v_cmp_gt_u32_e32 vcc, 16, v0
	v_mul_u32_u24_e32 v5, 0x41, v0
                                        ; implicit-def: $vgpr0_vgpr1
	s_and_saveexec_b64 s[0:1], vcc
; %bb.87:
	v_lshlrev_b32_e32 v0, 3, v4
	v_lshlrev_b32_e32 v1, 3, v5
	v_add3_u32 v0, 0, v0, v1
	ds_read_b64 v[0:1], v0
; %bb.88:
	s_or_b64 exec, exec, s[0:1]
	v_mbcnt_lo_u32_b32 v2, -1, 0
	v_mbcnt_hi_u32_b32 v9, -1, v2
	v_and_b32_e32 v2, 64, v9
	v_add_u32_e32 v10, 64, v2
	v_xor_b32_e32 v2, 8, v9
	v_cmp_lt_i32_e64 s[0:1], v2, v10
	v_cndmask_b32_e64 v2, v9, v2, s[0:1]
	v_lshlrev_b32_e32 v6, 2, v2
	s_waitcnt lgkmcnt(0)
	ds_bpermute_b32 v2, v6, v0
	ds_bpermute_b32 v3, v6, v1
	s_mov_b32 s7, 0
	s_lshl_b64 s[6:7], s[6:7], 6
	s_cmp_eq_u64 s[4:5], 0
	s_cselect_b64 s[8:9], -1, 0
	s_waitcnt lgkmcnt(0)
	v_add_f64 v[0:1], v[0:1], v[2:3]
	v_xor_b32_e32 v2, 4, v9
	v_cmp_lt_i32_e64 s[0:1], v2, v10
	v_cndmask_b32_e64 v2, v9, v2, s[0:1]
	v_lshlrev_b32_e32 v7, 2, v2
	ds_bpermute_b32 v2, v7, v0
	ds_bpermute_b32 v3, v7, v1
	s_waitcnt lgkmcnt(0)
	v_add_f64 v[0:1], v[0:1], v[2:3]
	v_xor_b32_e32 v2, 2, v9
	v_cmp_lt_i32_e64 s[0:1], v2, v10
	v_cndmask_b32_e64 v2, v9, v2, s[0:1]
	v_lshlrev_b32_e32 v8, 2, v2
	ds_bpermute_b32 v2, v8, v0
	ds_bpermute_b32 v3, v8, v1
	s_waitcnt lgkmcnt(0)
	v_add_f64 v[0:1], v[0:1], v[2:3]
	v_xor_b32_e32 v2, 1, v9
	v_cmp_lt_i32_e64 s[0:1], v2, v10
	v_cndmask_b32_e64 v2, v9, v2, s[0:1]
	v_lshlrev_b32_e32 v9, 2, v2
	v_cmp_ne_u32_e64 s[0:1], 0, v17
	ds_bpermute_b32 v2, v9, v0
	ds_bpermute_b32 v3, v9, v1
	s_waitcnt lgkmcnt(0)
	v_add_f64 v[0:1], v[0:1], v[2:3]
	v_or_b32_e32 v2, s6, v4
	v_mov_b32_e32 v3, s7
	v_cmp_le_i64_e64 s[2:3], s[14:15], v[2:3]
	s_or_b64 s[2:3], s[0:1], s[2:3]
	s_nor_b64 s[2:3], s[8:9], s[2:3]
	s_and_saveexec_b64 s[10:11], s[2:3]
	s_cbranch_execz .LBB126_90
; %bb.89:
	v_lshlrev_b64 v[2:3], 3, v[2:3]
	v_mov_b32_e32 v10, s5
	v_add_co_u32_e64 v2, s[2:3], s4, v2
	v_addc_co_u32_e64 v3, s[2:3], v10, v3, s[2:3]
	global_store_dwordx2 v[2:3], v[0:1], off
.LBB126_90:
	s_or_b64 exec, exec, s[10:11]
	v_cmp_gt_u32_e64 s[2:3], 48, v4
	s_and_b64 exec, exec, s[2:3]
	s_cbranch_execz .LBB126_105
; %bb.91:
	s_and_saveexec_b64 s[2:3], vcc
; %bb.92:
	v_lshlrev_b32_e32 v0, 3, v4
	v_lshlrev_b32_e32 v1, 3, v5
	v_add3_u32 v0, 0, v0, v1
	ds_read_b64 v[0:1], v0 offset:128
; %bb.93:
	s_or_b64 exec, exec, s[2:3]
	s_waitcnt lgkmcnt(0)
	ds_bpermute_b32 v2, v6, v0
	ds_bpermute_b32 v3, v6, v1
	v_add_u32_e32 v10, 16, v4
	v_mov_b32_e32 v11, s7
	s_waitcnt lgkmcnt(0)
	v_add_f64 v[0:1], v[0:1], v[2:3]
	ds_bpermute_b32 v2, v7, v0
	ds_bpermute_b32 v3, v7, v1
	s_waitcnt lgkmcnt(0)
	v_add_f64 v[0:1], v[0:1], v[2:3]
	ds_bpermute_b32 v2, v8, v0
	ds_bpermute_b32 v3, v8, v1
	;; [unrolled: 4-line block ×3, first 2 shown]
	s_waitcnt lgkmcnt(0)
	v_add_f64 v[0:1], v[0:1], v[2:3]
	v_add_co_u32_e64 v2, s[2:3], s6, v10
	v_addc_co_u32_e64 v3, s[2:3], 0, v11, s[2:3]
	v_cmp_le_i64_e64 s[2:3], s[14:15], v[2:3]
	s_or_b64 s[2:3], s[0:1], s[2:3]
	s_nor_b64 s[2:3], s[8:9], s[2:3]
	s_and_saveexec_b64 s[10:11], s[2:3]
	s_cbranch_execz .LBB126_95
; %bb.94:
	v_mov_b32_e32 v3, s7
	v_add_co_u32_e64 v2, s[2:3], s6, v4
	v_addc_co_u32_e64 v3, s[2:3], 0, v3, s[2:3]
	v_lshlrev_b64 v[2:3], 3, v[2:3]
	v_mov_b32_e32 v10, s5
	v_add_co_u32_e64 v2, s[2:3], s4, v2
	v_addc_co_u32_e64 v3, s[2:3], v10, v3, s[2:3]
	global_store_dwordx2 v[2:3], v[0:1], off offset:128
.LBB126_95:
	s_or_b64 exec, exec, s[10:11]
	v_cmp_gt_u32_e64 s[2:3], 32, v4
	s_and_b64 exec, exec, s[2:3]
	s_cbranch_execz .LBB126_105
; %bb.96:
	s_and_saveexec_b64 s[2:3], vcc
; %bb.97:
	v_lshlrev_b32_e32 v0, 3, v4
	v_lshlrev_b32_e32 v1, 3, v5
	v_add3_u32 v0, 0, v0, v1
	ds_read_b64 v[0:1], v0 offset:256
; %bb.98:
	s_or_b64 exec, exec, s[2:3]
	s_waitcnt lgkmcnt(0)
	ds_bpermute_b32 v2, v6, v0
	ds_bpermute_b32 v3, v6, v1
	s_waitcnt lgkmcnt(0)
	v_add_f64 v[0:1], v[0:1], v[2:3]
	ds_bpermute_b32 v2, v7, v0
	ds_bpermute_b32 v3, v7, v1
	s_waitcnt lgkmcnt(0)
	v_add_f64 v[0:1], v[0:1], v[2:3]
	;; [unrolled: 4-line block ×4, first 2 shown]
	v_add_u32_e32 v2, 32, v4
	v_or_b32_e32 v2, s6, v2
	v_mov_b32_e32 v3, s7
	v_cmp_le_i64_e64 s[2:3], s[14:15], v[2:3]
	s_or_b64 s[2:3], s[0:1], s[2:3]
	s_nor_b64 s[2:3], s[8:9], s[2:3]
	s_and_saveexec_b64 s[10:11], s[2:3]
	s_cbranch_execz .LBB126_100
; %bb.99:
	v_mov_b32_e32 v3, s7
	v_add_co_u32_e64 v2, s[2:3], s6, v4
	v_addc_co_u32_e64 v3, s[2:3], 0, v3, s[2:3]
	v_lshlrev_b64 v[2:3], 3, v[2:3]
	v_mov_b32_e32 v10, s5
	v_add_co_u32_e64 v2, s[2:3], s4, v2
	v_addc_co_u32_e64 v3, s[2:3], v10, v3, s[2:3]
	global_store_dwordx2 v[2:3], v[0:1], off offset:256
.LBB126_100:
	s_or_b64 exec, exec, s[10:11]
	v_cmp_gt_u32_e64 s[2:3], 16, v4
	s_and_b64 exec, exec, s[2:3]
	s_cbranch_execz .LBB126_105
; %bb.101:
	s_and_saveexec_b64 s[2:3], vcc
; %bb.102:
	v_lshlrev_b32_e32 v0, 3, v4
	v_lshlrev_b32_e32 v1, 3, v5
	v_add3_u32 v0, 0, v0, v1
	ds_read_b64 v[0:1], v0 offset:384
; %bb.103:
	s_or_b64 exec, exec, s[2:3]
	s_waitcnt lgkmcnt(0)
	ds_bpermute_b32 v2, v6, v0
	ds_bpermute_b32 v3, v6, v1
	v_mov_b32_e32 v6, s7
	s_waitcnt lgkmcnt(0)
	v_add_f64 v[0:1], v[0:1], v[2:3]
	ds_bpermute_b32 v2, v7, v0
	ds_bpermute_b32 v3, v7, v1
	s_waitcnt lgkmcnt(0)
	v_add_f64 v[0:1], v[0:1], v[2:3]
	ds_bpermute_b32 v2, v8, v0
	ds_bpermute_b32 v3, v8, v1
	s_waitcnt lgkmcnt(0)
	v_add_f64 v[0:1], v[0:1], v[2:3]
	v_add_u32_e32 v2, 48, v4
	v_or_b32_e32 v5, s6, v2
	v_cmp_le_i64_e32 vcc, s[14:15], v[5:6]
	s_or_b64 s[0:1], s[0:1], vcc
	s_nor_b64 s[0:1], s[8:9], s[0:1]
	ds_bpermute_b32 v2, v9, v0
	ds_bpermute_b32 v3, v9, v1
	s_and_saveexec_b64 s[2:3], s[0:1]
	s_xor_b64 s[2:3], exec, s[2:3]
	s_cbranch_execz .LBB126_105
; %bb.104:
	s_waitcnt lgkmcnt(0)
	v_add_f64 v[0:1], v[0:1], v[2:3]
	v_mov_b32_e32 v3, s7
	v_add_co_u32_e32 v2, vcc, s6, v4
	v_addc_co_u32_e32 v3, vcc, 0, v3, vcc
	v_lshlrev_b64 v[2:3], 3, v[2:3]
	v_mov_b32_e32 v4, s5
	v_add_co_u32_e32 v2, vcc, s4, v2
	v_addc_co_u32_e32 v3, vcc, v4, v3, vcc
	global_store_dwordx2 v[2:3], v[0:1], off offset:384
.LBB126_105:
	s_endpgm
	.section	.rodata,"a",@progbits
	.p2align	6, 0x0
	.amdhsa_kernel _ZN2at6native12_GLOBAL__N_135GammaBetaBackwardCUDAKernelTemplateIddLj64ELj16ELj128ELb0ELb0ELb1EEEvllPKT_S5_PKT0_S8_PS3_S9_
		.amdhsa_group_segment_fixed_size 0
		.amdhsa_private_segment_fixed_size 184
		.amdhsa_kernarg_size 320
		.amdhsa_user_sgpr_count 6
		.amdhsa_user_sgpr_private_segment_buffer 1
		.amdhsa_user_sgpr_dispatch_ptr 0
		.amdhsa_user_sgpr_queue_ptr 0
		.amdhsa_user_sgpr_kernarg_segment_ptr 1
		.amdhsa_user_sgpr_dispatch_id 0
		.amdhsa_user_sgpr_flat_scratch_init 0
		.amdhsa_user_sgpr_private_segment_size 0
		.amdhsa_uses_dynamic_stack 0
		.amdhsa_system_sgpr_private_segment_wavefront_offset 1
		.amdhsa_system_sgpr_workgroup_id_x 1
		.amdhsa_system_sgpr_workgroup_id_y 1
		.amdhsa_system_sgpr_workgroup_id_z 0
		.amdhsa_system_sgpr_workgroup_info 0
		.amdhsa_system_vgpr_workitem_id 1
		.amdhsa_next_free_vgpr 64
		.amdhsa_next_free_sgpr 40
		.amdhsa_reserve_vcc 1
		.amdhsa_reserve_flat_scratch 0
		.amdhsa_float_round_mode_32 0
		.amdhsa_float_round_mode_16_64 0
		.amdhsa_float_denorm_mode_32 3
		.amdhsa_float_denorm_mode_16_64 3
		.amdhsa_dx10_clamp 1
		.amdhsa_ieee_mode 1
		.amdhsa_fp16_overflow 0
		.amdhsa_exception_fp_ieee_invalid_op 0
		.amdhsa_exception_fp_denorm_src 0
		.amdhsa_exception_fp_ieee_div_zero 0
		.amdhsa_exception_fp_ieee_overflow 0
		.amdhsa_exception_fp_ieee_underflow 0
		.amdhsa_exception_fp_ieee_inexact 0
		.amdhsa_exception_int_div_zero 0
	.end_amdhsa_kernel
	.section	.text._ZN2at6native12_GLOBAL__N_135GammaBetaBackwardCUDAKernelTemplateIddLj64ELj16ELj128ELb0ELb0ELb1EEEvllPKT_S5_PKT0_S8_PS3_S9_,"axG",@progbits,_ZN2at6native12_GLOBAL__N_135GammaBetaBackwardCUDAKernelTemplateIddLj64ELj16ELj128ELb0ELb0ELb1EEEvllPKT_S5_PKT0_S8_PS3_S9_,comdat
.Lfunc_end126:
	.size	_ZN2at6native12_GLOBAL__N_135GammaBetaBackwardCUDAKernelTemplateIddLj64ELj16ELj128ELb0ELb0ELb1EEEvllPKT_S5_PKT0_S8_PS3_S9_, .Lfunc_end126-_ZN2at6native12_GLOBAL__N_135GammaBetaBackwardCUDAKernelTemplateIddLj64ELj16ELj128ELb0ELb0ELb1EEEvllPKT_S5_PKT0_S8_PS3_S9_
                                        ; -- End function
	.set _ZN2at6native12_GLOBAL__N_135GammaBetaBackwardCUDAKernelTemplateIddLj64ELj16ELj128ELb0ELb0ELb1EEEvllPKT_S5_PKT0_S8_PS3_S9_.num_vgpr, 64
	.set _ZN2at6native12_GLOBAL__N_135GammaBetaBackwardCUDAKernelTemplateIddLj64ELj16ELj128ELb0ELb0ELb1EEEvllPKT_S5_PKT0_S8_PS3_S9_.num_agpr, 0
	.set _ZN2at6native12_GLOBAL__N_135GammaBetaBackwardCUDAKernelTemplateIddLj64ELj16ELj128ELb0ELb0ELb1EEEvllPKT_S5_PKT0_S8_PS3_S9_.numbered_sgpr, 40
	.set _ZN2at6native12_GLOBAL__N_135GammaBetaBackwardCUDAKernelTemplateIddLj64ELj16ELj128ELb0ELb0ELb1EEEvllPKT_S5_PKT0_S8_PS3_S9_.num_named_barrier, 0
	.set _ZN2at6native12_GLOBAL__N_135GammaBetaBackwardCUDAKernelTemplateIddLj64ELj16ELj128ELb0ELb0ELb1EEEvllPKT_S5_PKT0_S8_PS3_S9_.private_seg_size, 184
	.set _ZN2at6native12_GLOBAL__N_135GammaBetaBackwardCUDAKernelTemplateIddLj64ELj16ELj128ELb0ELb0ELb1EEEvllPKT_S5_PKT0_S8_PS3_S9_.uses_vcc, 1
	.set _ZN2at6native12_GLOBAL__N_135GammaBetaBackwardCUDAKernelTemplateIddLj64ELj16ELj128ELb0ELb0ELb1EEEvllPKT_S5_PKT0_S8_PS3_S9_.uses_flat_scratch, 0
	.set _ZN2at6native12_GLOBAL__N_135GammaBetaBackwardCUDAKernelTemplateIddLj64ELj16ELj128ELb0ELb0ELb1EEEvllPKT_S5_PKT0_S8_PS3_S9_.has_dyn_sized_stack, 0
	.set _ZN2at6native12_GLOBAL__N_135GammaBetaBackwardCUDAKernelTemplateIddLj64ELj16ELj128ELb0ELb0ELb1EEEvllPKT_S5_PKT0_S8_PS3_S9_.has_recursion, 0
	.set _ZN2at6native12_GLOBAL__N_135GammaBetaBackwardCUDAKernelTemplateIddLj64ELj16ELj128ELb0ELb0ELb1EEEvllPKT_S5_PKT0_S8_PS3_S9_.has_indirect_call, 0
	.section	.AMDGPU.csdata,"",@progbits
; Kernel info:
; codeLenInByte = 10096
; TotalNumSgprs: 44
; NumVgprs: 64
; ScratchSize: 184
; MemoryBound: 0
; FloatMode: 240
; IeeeMode: 1
; LDSByteSize: 0 bytes/workgroup (compile time only)
; SGPRBlocks: 5
; VGPRBlocks: 15
; NumSGPRsForWavesPerEU: 44
; NumVGPRsForWavesPerEU: 64
; Occupancy: 4
; WaveLimiterHint : 0
; COMPUTE_PGM_RSRC2:SCRATCH_EN: 1
; COMPUTE_PGM_RSRC2:USER_SGPR: 6
; COMPUTE_PGM_RSRC2:TRAP_HANDLER: 0
; COMPUTE_PGM_RSRC2:TGID_X_EN: 1
; COMPUTE_PGM_RSRC2:TGID_Y_EN: 1
; COMPUTE_PGM_RSRC2:TGID_Z_EN: 0
; COMPUTE_PGM_RSRC2:TIDIG_COMP_CNT: 1
	.section	.text._ZN2at6native12_GLOBAL__N_135GammaBetaBackwardCUDAKernelTemplateIddLj64ELj16ELj256ELb0ELb1ELb1EEEvllPKT_S5_PKT0_S8_PS3_S9_,"axG",@progbits,_ZN2at6native12_GLOBAL__N_135GammaBetaBackwardCUDAKernelTemplateIddLj64ELj16ELj256ELb0ELb1ELb1EEEvllPKT_S5_PKT0_S8_PS3_S9_,comdat
	.globl	_ZN2at6native12_GLOBAL__N_135GammaBetaBackwardCUDAKernelTemplateIddLj64ELj16ELj256ELb0ELb1ELb1EEEvllPKT_S5_PKT0_S8_PS3_S9_ ; -- Begin function _ZN2at6native12_GLOBAL__N_135GammaBetaBackwardCUDAKernelTemplateIddLj64ELj16ELj256ELb0ELb1ELb1EEEvllPKT_S5_PKT0_S8_PS3_S9_
	.p2align	8
	.type	_ZN2at6native12_GLOBAL__N_135GammaBetaBackwardCUDAKernelTemplateIddLj64ELj16ELj256ELb0ELb1ELb1EEEvllPKT_S5_PKT0_S8_PS3_S9_,@function
_ZN2at6native12_GLOBAL__N_135GammaBetaBackwardCUDAKernelTemplateIddLj64ELj16ELj256ELb0ELb1ELb1EEEvllPKT_S5_PKT0_S8_PS3_S9_: ; @_ZN2at6native12_GLOBAL__N_135GammaBetaBackwardCUDAKernelTemplateIddLj64ELj16ELj256ELb0ELb1ELb1EEEvllPKT_S5_PKT0_S8_PS3_S9_
; %bb.0:
	s_load_dwordx4 s[8:11], s[4:5], 0x0
	s_lshl_b32 s18, s7, 8
	s_mov_b32 s19, 0
	v_mov_b32_e32 v2, s18
	v_mov_b32_e32 v3, s19
	s_waitcnt lgkmcnt(0)
	v_cmp_gt_i64_e32 vcc, s[8:9], v[2:3]
	s_cbranch_vccnz .LBB127_2
; %bb.1:
	s_mov_b64 s[0:1], 0
	s_branch .LBB127_3
.LBB127_2:
	s_mov_b64 s[0:1], -1
.LBB127_3:
	s_load_dwordx2 s[16:17], s[4:5], 0x30
	v_mov_b32_e32 v8, 0
	v_mov_b32_e32 v9, 0
	s_andn2_b64 vcc, exec, s[0:1]
	v_mbcnt_lo_u32_b32 v16, -1, 0
	s_cbranch_vccnz .LBB127_10
; %bb.4:
	s_load_dword s0, s[4:5], 0x4c
	s_load_dword s7, s[4:5], 0x44
	s_load_dwordx4 s[12:15], s[4:5], 0x10
	s_load_dwordx2 s[2:3], s[4:5], 0x28
	v_lshlrev_b32_e32 v2, 4, v1
	s_waitcnt lgkmcnt(0)
	s_and_b32 s0, s0, 0xffff
	v_mad_u32_u24 v3, v1, s0, v0
	v_and_b32_e32 v3, 63, v3
	v_add_co_u32_e32 v8, vcc, s18, v2
	v_mbcnt_hi_u32_b32 v4, -1, v16
	v_addc_co_u32_e64 v9, s[20:21], 0, 0, vcc
	v_add_co_u32_e32 v2, vcc, v8, v3
	v_cmp_gt_u32_e64 s[0:1], 16, v3
	v_lshlrev_b32_e32 v4, 2, v4
	v_addc_co_u32_e32 v3, vcc, 0, v9, vcc
	v_and_b32_e32 v17, 0x100, v4
	v_lshlrev_b64 v[4:5], 3, v[2:3]
	v_mov_b32_e32 v10, s3
	v_add_co_u32_e32 v4, vcc, s2, v4
	v_addc_co_u32_e32 v5, vcc, v10, v5, vcc
	v_mul_lo_u32 v10, s11, v8
	v_mul_lo_u32 v11, s10, v9
	v_mad_u64_u32 v[8:9], s[2:3], s10, v8, 0
	v_mov_b32_e32 v7, 0
	v_lshl_add_u32 v6, s6, 6, v0
	v_add3_u32 v9, v9, v11, v10
	v_lshlrev_b64 v[8:9], 3, v[8:9]
	v_lshlrev_b64 v[6:7], 3, v[6:7]
	s_lshl_b32 s4, s7, 8
	v_add_co_u32_e32 v25, vcc, v8, v6
	s_mul_i32 s2, s11, s4
	s_mul_hi_u32 s3, s10, s4
	s_mov_b32 s5, 0
	v_addc_co_u32_e32 v26, vcc, v9, v7, vcc
	s_add_i32 s3, s3, s2
	s_mul_i32 s2, s10, s4
	v_mov_b32_e32 v8, 0
	v_or_b32_e32 v18, 4, v17
	v_or_b32_e32 v19, 8, v17
	;; [unrolled: 1-line block ×10, first 2 shown]
	s_lshl_b64 s[20:21], s[4:5], 3
	s_lshl_b64 s[22:23], s[2:3], 3
	;; [unrolled: 1-line block ×3, first 2 shown]
	v_or_b32_e32 v30, 44, v17
	v_or_b32_e32 v31, 48, v17
	;; [unrolled: 1-line block ×4, first 2 shown]
	v_mov_b32_e32 v9, 0
	v_or_b32_e32 v34, 60, v17
	s_branch .LBB127_7
.LBB127_5:                              ;   in Loop: Header=BB127_7 Depth=1
	s_or_b64 exec, exec, s[24:25]
.LBB127_6:                              ;   in Loop: Header=BB127_7 Depth=1
	s_or_b64 exec, exec, s[2:3]
	v_mov_b32_e32 v11, s13
	v_add_co_u32_e32 v10, vcc, s12, v25
	v_addc_co_u32_e32 v11, vcc, v11, v26, vcc
	v_mov_b32_e32 v13, s15
	v_add_co_u32_e32 v12, vcc, s14, v25
	v_addc_co_u32_e32 v13, vcc, v13, v26, vcc
	global_load_dwordx2 v[14:15], v[10:11], off
	global_load_dwordx2 v[36:37], v[12:13], off
	v_mov_b32_e32 v35, s11
	v_add_co_u32_e32 v10, vcc, s10, v10
	v_addc_co_u32_e32 v11, vcc, v11, v35, vcc
	v_add_co_u32_e32 v12, vcc, s10, v12
	v_addc_co_u32_e32 v13, vcc, v13, v35, vcc
	s_add_u32 s18, s18, s4
	s_addc_u32 s19, s19, 0
	v_add_co_u32_e64 v4, s[2:3], s20, v4
	s_waitcnt vmcnt(0)
	v_mul_f64 v[14:15], v[14:15], v[36:37]
	ds_bpermute_b32 v36, v17, v6
	ds_bpermute_b32 v37, v17, v7
	s_waitcnt lgkmcnt(0)
	v_fma_f64 v[8:9], v[14:15], v[36:37], v[8:9]
	global_load_dwordx2 v[14:15], v[10:11], off
	global_load_dwordx2 v[36:37], v[12:13], off
	v_add_co_u32_e32 v10, vcc, s10, v10
	v_addc_co_u32_e32 v11, vcc, v11, v35, vcc
	v_add_co_u32_e32 v12, vcc, s10, v12
	v_addc_co_u32_e32 v13, vcc, v13, v35, vcc
	s_waitcnt vmcnt(0)
	v_mul_f64 v[14:15], v[14:15], v[36:37]
	ds_bpermute_b32 v36, v18, v6
	ds_bpermute_b32 v37, v18, v7
	s_waitcnt lgkmcnt(0)
	v_fma_f64 v[8:9], v[14:15], v[36:37], v[8:9]
	global_load_dwordx2 v[14:15], v[10:11], off
	global_load_dwordx2 v[36:37], v[12:13], off
	v_add_co_u32_e32 v10, vcc, s10, v10
	v_addc_co_u32_e32 v11, vcc, v11, v35, vcc
	v_add_co_u32_e32 v12, vcc, s10, v12
	v_addc_co_u32_e32 v13, vcc, v13, v35, vcc
	s_waitcnt vmcnt(0)
	v_mul_f64 v[14:15], v[14:15], v[36:37]
	ds_bpermute_b32 v36, v19, v6
	ds_bpermute_b32 v37, v19, v7
	s_waitcnt lgkmcnt(0)
	v_fma_f64 v[8:9], v[14:15], v[36:37], v[8:9]
	global_load_dwordx2 v[14:15], v[10:11], off
	global_load_dwordx2 v[36:37], v[12:13], off
	v_add_co_u32_e32 v10, vcc, s10, v10
	v_addc_co_u32_e32 v11, vcc, v11, v35, vcc
	v_add_co_u32_e32 v12, vcc, s10, v12
	v_addc_co_u32_e32 v13, vcc, v13, v35, vcc
	s_waitcnt vmcnt(0)
	v_mul_f64 v[14:15], v[14:15], v[36:37]
	ds_bpermute_b32 v36, v20, v6
	ds_bpermute_b32 v37, v20, v7
	s_waitcnt lgkmcnt(0)
	v_fma_f64 v[8:9], v[14:15], v[36:37], v[8:9]
	global_load_dwordx2 v[14:15], v[10:11], off
	global_load_dwordx2 v[36:37], v[12:13], off
	v_add_co_u32_e32 v10, vcc, s10, v10
	v_addc_co_u32_e32 v11, vcc, v11, v35, vcc
	v_add_co_u32_e32 v12, vcc, s10, v12
	v_addc_co_u32_e32 v13, vcc, v13, v35, vcc
	s_waitcnt vmcnt(0)
	v_mul_f64 v[14:15], v[14:15], v[36:37]
	ds_bpermute_b32 v36, v21, v6
	ds_bpermute_b32 v37, v21, v7
	s_waitcnt lgkmcnt(0)
	v_fma_f64 v[8:9], v[14:15], v[36:37], v[8:9]
	global_load_dwordx2 v[14:15], v[10:11], off
	global_load_dwordx2 v[36:37], v[12:13], off
	v_add_co_u32_e32 v10, vcc, s10, v10
	v_addc_co_u32_e32 v11, vcc, v11, v35, vcc
	v_add_co_u32_e32 v12, vcc, s10, v12
	v_addc_co_u32_e32 v13, vcc, v13, v35, vcc
	s_waitcnt vmcnt(0)
	v_mul_f64 v[14:15], v[14:15], v[36:37]
	ds_bpermute_b32 v36, v22, v6
	ds_bpermute_b32 v37, v22, v7
	s_waitcnt lgkmcnt(0)
	v_fma_f64 v[8:9], v[14:15], v[36:37], v[8:9]
	global_load_dwordx2 v[14:15], v[10:11], off
	global_load_dwordx2 v[36:37], v[12:13], off
	v_add_co_u32_e32 v10, vcc, s10, v10
	v_addc_co_u32_e32 v11, vcc, v11, v35, vcc
	v_add_co_u32_e32 v12, vcc, s10, v12
	v_addc_co_u32_e32 v13, vcc, v13, v35, vcc
	s_waitcnt vmcnt(0)
	v_mul_f64 v[14:15], v[14:15], v[36:37]
	ds_bpermute_b32 v36, v23, v6
	ds_bpermute_b32 v37, v23, v7
	s_waitcnt lgkmcnt(0)
	v_fma_f64 v[8:9], v[14:15], v[36:37], v[8:9]
	global_load_dwordx2 v[14:15], v[10:11], off
	global_load_dwordx2 v[36:37], v[12:13], off
	v_add_co_u32_e32 v10, vcc, s10, v10
	v_addc_co_u32_e32 v11, vcc, v11, v35, vcc
	v_add_co_u32_e32 v12, vcc, s10, v12
	v_addc_co_u32_e32 v13, vcc, v13, v35, vcc
	s_waitcnt vmcnt(0)
	v_mul_f64 v[14:15], v[14:15], v[36:37]
	ds_bpermute_b32 v36, v24, v6
	ds_bpermute_b32 v37, v24, v7
	s_waitcnt lgkmcnt(0)
	v_fma_f64 v[8:9], v[14:15], v[36:37], v[8:9]
	global_load_dwordx2 v[14:15], v[10:11], off
	global_load_dwordx2 v[36:37], v[12:13], off
	v_add_co_u32_e32 v10, vcc, s10, v10
	v_addc_co_u32_e32 v11, vcc, v11, v35, vcc
	v_add_co_u32_e32 v12, vcc, s10, v12
	v_addc_co_u32_e32 v13, vcc, v13, v35, vcc
	s_waitcnt vmcnt(0)
	v_mul_f64 v[14:15], v[14:15], v[36:37]
	ds_bpermute_b32 v36, v27, v6
	ds_bpermute_b32 v37, v27, v7
	s_waitcnt lgkmcnt(0)
	v_fma_f64 v[8:9], v[14:15], v[36:37], v[8:9]
	global_load_dwordx2 v[14:15], v[10:11], off
	global_load_dwordx2 v[36:37], v[12:13], off
	v_add_co_u32_e32 v10, vcc, s10, v10
	v_addc_co_u32_e32 v11, vcc, v11, v35, vcc
	v_add_co_u32_e32 v12, vcc, s10, v12
	v_addc_co_u32_e32 v13, vcc, v13, v35, vcc
	s_waitcnt vmcnt(0)
	v_mul_f64 v[14:15], v[14:15], v[36:37]
	ds_bpermute_b32 v36, v28, v6
	ds_bpermute_b32 v37, v28, v7
	s_waitcnt lgkmcnt(0)
	v_fma_f64 v[8:9], v[14:15], v[36:37], v[8:9]
	global_load_dwordx2 v[14:15], v[10:11], off
	global_load_dwordx2 v[36:37], v[12:13], off
	v_add_co_u32_e32 v10, vcc, s10, v10
	v_addc_co_u32_e32 v11, vcc, v11, v35, vcc
	v_add_co_u32_e32 v12, vcc, s10, v12
	v_addc_co_u32_e32 v13, vcc, v13, v35, vcc
	s_waitcnt vmcnt(0)
	v_mul_f64 v[14:15], v[14:15], v[36:37]
	ds_bpermute_b32 v36, v29, v6
	ds_bpermute_b32 v37, v29, v7
	s_waitcnt lgkmcnt(0)
	v_fma_f64 v[8:9], v[14:15], v[36:37], v[8:9]
	global_load_dwordx2 v[14:15], v[10:11], off
	global_load_dwordx2 v[36:37], v[12:13], off
	v_add_co_u32_e32 v10, vcc, s10, v10
	v_addc_co_u32_e32 v11, vcc, v11, v35, vcc
	v_add_co_u32_e32 v12, vcc, s10, v12
	v_addc_co_u32_e32 v13, vcc, v13, v35, vcc
	s_waitcnt vmcnt(0)
	v_mul_f64 v[14:15], v[14:15], v[36:37]
	ds_bpermute_b32 v36, v30, v6
	ds_bpermute_b32 v37, v30, v7
	s_waitcnt lgkmcnt(0)
	v_fma_f64 v[8:9], v[14:15], v[36:37], v[8:9]
	global_load_dwordx2 v[14:15], v[10:11], off
	global_load_dwordx2 v[36:37], v[12:13], off
	v_add_co_u32_e32 v10, vcc, s10, v10
	v_addc_co_u32_e32 v11, vcc, v11, v35, vcc
	v_add_co_u32_e32 v12, vcc, s10, v12
	v_addc_co_u32_e32 v13, vcc, v13, v35, vcc
	s_waitcnt vmcnt(0)
	v_mul_f64 v[14:15], v[14:15], v[36:37]
	ds_bpermute_b32 v36, v31, v6
	ds_bpermute_b32 v37, v31, v7
	s_waitcnt lgkmcnt(0)
	v_fma_f64 v[8:9], v[14:15], v[36:37], v[8:9]
	global_load_dwordx2 v[14:15], v[10:11], off
	global_load_dwordx2 v[36:37], v[12:13], off
	v_add_co_u32_e32 v10, vcc, s10, v10
	v_addc_co_u32_e32 v11, vcc, v11, v35, vcc
	v_add_co_u32_e32 v12, vcc, s10, v12
	v_addc_co_u32_e32 v13, vcc, v13, v35, vcc
	s_waitcnt vmcnt(0)
	v_mul_f64 v[14:15], v[14:15], v[36:37]
	ds_bpermute_b32 v36, v32, v6
	ds_bpermute_b32 v37, v32, v7
	s_waitcnt lgkmcnt(0)
	v_fma_f64 v[8:9], v[14:15], v[36:37], v[8:9]
	global_load_dwordx2 v[14:15], v[10:11], off
	v_add_co_u32_e32 v10, vcc, s10, v10
	v_addc_co_u32_e32 v11, vcc, v11, v35, vcc
	v_add_co_u32_e32 v36, vcc, s10, v12
	v_addc_co_u32_e32 v37, vcc, v13, v35, vcc
	global_load_dwordx2 v[12:13], v[12:13], off
	s_nop 0
	global_load_dwordx2 v[10:11], v[10:11], off
	s_nop 0
	global_load_dwordx2 v[35:36], v[36:37], off
	s_waitcnt vmcnt(2)
	v_mul_f64 v[12:13], v[14:15], v[12:13]
	ds_bpermute_b32 v14, v33, v6
	ds_bpermute_b32 v15, v33, v7
	s_waitcnt vmcnt(0)
	v_mul_f64 v[10:11], v[10:11], v[35:36]
	ds_bpermute_b32 v6, v34, v6
	ds_bpermute_b32 v7, v34, v7
	s_waitcnt lgkmcnt(2)
	v_fma_f64 v[8:9], v[12:13], v[14:15], v[8:9]
	s_waitcnt lgkmcnt(0)
	v_fma_f64 v[8:9], v[10:11], v[6:7], v[8:9]
	v_mov_b32_e32 v6, s8
	v_mov_b32_e32 v7, s9
	v_cmp_lt_i64_e32 vcc, s[18:19], v[6:7]
	v_mov_b32_e32 v6, s21
	v_addc_co_u32_e64 v5, s[2:3], v5, v6, s[2:3]
	v_add_co_u32_e64 v2, s[2:3], s4, v2
	v_addc_co_u32_e64 v3, s[2:3], 0, v3, s[2:3]
	v_mov_b32_e32 v6, s23
	v_add_co_u32_e64 v25, s[2:3], s22, v25
	v_addc_co_u32_e64 v26, s[2:3], v26, v6, s[2:3]
	s_cbranch_vccz .LBB127_10
.LBB127_7:                              ; =>This Inner Loop Header: Depth=1
	v_mov_b32_e32 v6, 0
	v_mov_b32_e32 v7, 0
	s_and_saveexec_b64 s[2:3], s[0:1]
	s_cbranch_execz .LBB127_6
; %bb.8:                                ;   in Loop: Header=BB127_7 Depth=1
	v_cmp_gt_i64_e32 vcc, s[8:9], v[2:3]
	v_mov_b32_e32 v6, 0
	v_mov_b32_e32 v7, 0
	s_and_saveexec_b64 s[24:25], vcc
	s_cbranch_execz .LBB127_5
; %bb.9:                                ;   in Loop: Header=BB127_7 Depth=1
	global_load_dwordx2 v[6:7], v[4:5], off
	s_branch .LBB127_5
.LBB127_10:
	s_movk_i32 s0, 0x41
	v_mad_u32_u24 v2, v1, s0, v0
	v_lshl_add_u32 v4, v2, 3, 0
	v_mov_b32_e32 v2, 0
	v_mov_b32_e32 v3, v2
	ds_write_b64 v4, v[2:3] offset:8320
	v_lshrrev_b32_e32 v2, 6, v0
	v_add_u32_e32 v1, v2, v1
	v_cmp_gt_u32_e32 vcc, 64, v1
	ds_write_b64 v4, v[8:9]
	s_waitcnt lgkmcnt(0)
	s_barrier
	s_and_saveexec_b64 s[0:1], vcc
	s_cbranch_execz .LBB127_30
; %bb.11:
	v_and_b32_e32 v2, 63, v0
	v_cmp_gt_u32_e32 vcc, 16, v2
	v_mul_u32_u24_e32 v5, 0x41, v2
                                        ; implicit-def: $vgpr2_vgpr3
	s_and_saveexec_b64 s[0:1], vcc
; %bb.12:
	v_lshlrev_b32_e32 v2, 3, v1
	v_lshlrev_b32_e32 v3, 3, v5
	v_add3_u32 v2, 0, v2, v3
	ds_read_b64 v[2:3], v2
; %bb.13:
	s_or_b64 exec, exec, s[0:1]
	v_mbcnt_hi_u32_b32 v4, -1, v16
	v_and_b32_e32 v6, 64, v4
	v_add_u32_e32 v11, 64, v6
	v_xor_b32_e32 v6, 8, v4
	v_cmp_lt_i32_e64 s[0:1], v6, v11
	v_cndmask_b32_e64 v6, v4, v6, s[0:1]
	v_lshlrev_b32_e32 v6, 2, v6
	s_waitcnt lgkmcnt(0)
	ds_bpermute_b32 v7, v6, v2
	ds_bpermute_b32 v8, v6, v3
	s_cmp_lg_u64 s[16:17], 0
	s_mov_b32 s7, 0
	s_cselect_b64 s[2:3], -1, 0
	s_waitcnt lgkmcnt(0)
	v_add_f64 v[2:3], v[2:3], v[7:8]
	v_xor_b32_e32 v7, 4, v4
	v_cmp_lt_i32_e64 s[0:1], v7, v11
	v_cndmask_b32_e64 v7, v4, v7, s[0:1]
	v_lshlrev_b32_e32 v7, 2, v7
	ds_bpermute_b32 v8, v7, v2
	ds_bpermute_b32 v9, v7, v3
	s_waitcnt lgkmcnt(0)
	v_add_f64 v[2:3], v[2:3], v[8:9]
	v_xor_b32_e32 v8, 2, v4
	v_cmp_lt_i32_e64 s[0:1], v8, v11
	v_cndmask_b32_e64 v8, v4, v8, s[0:1]
	v_lshlrev_b32_e32 v8, 2, v8
	ds_bpermute_b32 v9, v8, v2
	ds_bpermute_b32 v10, v8, v3
	s_waitcnt lgkmcnt(0)
	v_add_f64 v[2:3], v[2:3], v[9:10]
	v_xor_b32_e32 v9, 1, v4
	v_cmp_lt_i32_e64 s[0:1], v9, v11
	v_cndmask_b32_e64 v4, v4, v9, s[0:1]
	v_lshlrev_b32_e32 v9, 2, v4
	v_cmp_eq_u32_e64 s[0:1], 0, v0
	s_and_b64 s[2:3], s[0:1], s[2:3]
	s_lshl_b64 s[0:1], s[6:7], 9
	ds_bpermute_b32 v10, v9, v2
	ds_bpermute_b32 v11, v9, v3
	s_add_u32 s6, s16, s0
	s_addc_u32 s7, s17, s1
	s_waitcnt lgkmcnt(0)
	v_add_f64 v[3:4], v[2:3], v[10:11]
	s_and_saveexec_b64 s[4:5], s[2:3]
	s_cbranch_execz .LBB127_15
; %bb.14:
	v_mov_b32_e32 v2, 0
	v_lshlrev_b64 v[10:11], 3, v[1:2]
	v_mov_b32_e32 v0, s7
	v_add_co_u32_e64 v10, s[0:1], s6, v10
	v_addc_co_u32_e64 v11, s[0:1], v0, v11, s[0:1]
	global_store_dwordx2 v[10:11], v[3:4], off
.LBB127_15:
	s_or_b64 exec, exec, s[4:5]
	v_cmp_gt_u32_e64 s[0:1], 48, v1
	s_and_b64 exec, exec, s[0:1]
	s_cbranch_execz .LBB127_30
; %bb.16:
	s_and_saveexec_b64 s[0:1], vcc
; %bb.17:
	v_lshlrev_b32_e32 v0, 3, v1
	v_lshlrev_b32_e32 v2, 3, v5
	v_add3_u32 v0, 0, v0, v2
	ds_read_b64 v[3:4], v0 offset:128
; %bb.18:
	s_or_b64 exec, exec, s[0:1]
	s_waitcnt lgkmcnt(0)
	ds_bpermute_b32 v10, v6, v3
	ds_bpermute_b32 v11, v6, v4
	s_waitcnt lgkmcnt(0)
	v_add_f64 v[2:3], v[3:4], v[10:11]
	ds_bpermute_b32 v10, v7, v2
	ds_bpermute_b32 v11, v7, v3
	s_waitcnt lgkmcnt(0)
	v_add_f64 v[2:3], v[2:3], v[10:11]
	;; [unrolled: 4-line block ×4, first 2 shown]
	s_and_saveexec_b64 s[4:5], s[2:3]
	s_cbranch_execz .LBB127_20
; %bb.19:
	v_mov_b32_e32 v2, 0
	v_lshlrev_b64 v[10:11], 3, v[1:2]
	v_mov_b32_e32 v0, s7
	v_add_co_u32_e64 v10, s[0:1], s6, v10
	v_addc_co_u32_e64 v11, s[0:1], v0, v11, s[0:1]
	global_store_dwordx2 v[10:11], v[3:4], off offset:128
.LBB127_20:
	s_or_b64 exec, exec, s[4:5]
	v_cmp_gt_u32_e64 s[0:1], 32, v1
	s_and_b64 exec, exec, s[0:1]
	s_cbranch_execz .LBB127_30
; %bb.21:
	s_and_saveexec_b64 s[0:1], vcc
; %bb.22:
	v_lshlrev_b32_e32 v0, 3, v1
	v_lshlrev_b32_e32 v2, 3, v5
	v_add3_u32 v0, 0, v0, v2
	ds_read_b64 v[3:4], v0 offset:256
; %bb.23:
	s_or_b64 exec, exec, s[0:1]
	s_waitcnt lgkmcnt(0)
	ds_bpermute_b32 v10, v6, v3
	ds_bpermute_b32 v11, v6, v4
	s_waitcnt lgkmcnt(0)
	v_add_f64 v[2:3], v[3:4], v[10:11]
	ds_bpermute_b32 v10, v7, v2
	ds_bpermute_b32 v11, v7, v3
	s_waitcnt lgkmcnt(0)
	v_add_f64 v[2:3], v[2:3], v[10:11]
	;; [unrolled: 4-line block ×4, first 2 shown]
	s_and_saveexec_b64 s[4:5], s[2:3]
	s_cbranch_execz .LBB127_25
; %bb.24:
	v_mov_b32_e32 v2, 0
	v_lshlrev_b64 v[10:11], 3, v[1:2]
	v_mov_b32_e32 v0, s7
	v_add_co_u32_e64 v10, s[0:1], s6, v10
	v_addc_co_u32_e64 v11, s[0:1], v0, v11, s[0:1]
	global_store_dwordx2 v[10:11], v[3:4], off offset:256
.LBB127_25:
	s_or_b64 exec, exec, s[4:5]
	v_cmp_gt_u32_e64 s[0:1], 16, v1
	s_and_b64 exec, exec, s[0:1]
	s_cbranch_execz .LBB127_30
; %bb.26:
	s_and_saveexec_b64 s[0:1], vcc
; %bb.27:
	v_lshlrev_b32_e32 v0, 3, v1
	v_lshlrev_b32_e32 v2, 3, v5
	v_add3_u32 v0, 0, v0, v2
	ds_read_b64 v[3:4], v0 offset:384
; %bb.28:
	s_or_b64 exec, exec, s[0:1]
	s_waitcnt lgkmcnt(0)
	ds_bpermute_b32 v5, v6, v3
	ds_bpermute_b32 v6, v6, v4
	s_waitcnt lgkmcnt(0)
	v_add_f64 v[2:3], v[3:4], v[5:6]
	ds_bpermute_b32 v4, v7, v2
	ds_bpermute_b32 v5, v7, v3
	s_waitcnt lgkmcnt(0)
	v_add_f64 v[2:3], v[2:3], v[4:5]
	;; [unrolled: 4-line block ×3, first 2 shown]
	ds_bpermute_b32 v4, v9, v2
	ds_bpermute_b32 v5, v9, v3
	s_and_saveexec_b64 s[0:1], s[2:3]
	s_xor_b64 s[0:1], exec, s[0:1]
	s_cbranch_execz .LBB127_30
; %bb.29:
	s_waitcnt lgkmcnt(0)
	v_add_f64 v[3:4], v[2:3], v[4:5]
	v_mov_b32_e32 v2, 0
	v_lshlrev_b64 v[0:1], 3, v[1:2]
	v_mov_b32_e32 v2, s7
	v_add_co_u32_e32 v0, vcc, s6, v0
	v_addc_co_u32_e32 v1, vcc, v2, v1, vcc
	global_store_dwordx2 v[0:1], v[3:4], off offset:384
.LBB127_30:
	s_endpgm
	.section	.rodata,"a",@progbits
	.p2align	6, 0x0
	.amdhsa_kernel _ZN2at6native12_GLOBAL__N_135GammaBetaBackwardCUDAKernelTemplateIddLj64ELj16ELj256ELb0ELb1ELb1EEEvllPKT_S5_PKT0_S8_PS3_S9_
		.amdhsa_group_segment_fixed_size 0
		.amdhsa_private_segment_fixed_size 0
		.amdhsa_kernarg_size 320
		.amdhsa_user_sgpr_count 6
		.amdhsa_user_sgpr_private_segment_buffer 1
		.amdhsa_user_sgpr_dispatch_ptr 0
		.amdhsa_user_sgpr_queue_ptr 0
		.amdhsa_user_sgpr_kernarg_segment_ptr 1
		.amdhsa_user_sgpr_dispatch_id 0
		.amdhsa_user_sgpr_flat_scratch_init 0
		.amdhsa_user_sgpr_private_segment_size 0
		.amdhsa_uses_dynamic_stack 0
		.amdhsa_system_sgpr_private_segment_wavefront_offset 0
		.amdhsa_system_sgpr_workgroup_id_x 1
		.amdhsa_system_sgpr_workgroup_id_y 1
		.amdhsa_system_sgpr_workgroup_id_z 0
		.amdhsa_system_sgpr_workgroup_info 0
		.amdhsa_system_vgpr_workitem_id 1
		.amdhsa_next_free_vgpr 38
		.amdhsa_next_free_sgpr 26
		.amdhsa_reserve_vcc 1
		.amdhsa_reserve_flat_scratch 0
		.amdhsa_float_round_mode_32 0
		.amdhsa_float_round_mode_16_64 0
		.amdhsa_float_denorm_mode_32 3
		.amdhsa_float_denorm_mode_16_64 3
		.amdhsa_dx10_clamp 1
		.amdhsa_ieee_mode 1
		.amdhsa_fp16_overflow 0
		.amdhsa_exception_fp_ieee_invalid_op 0
		.amdhsa_exception_fp_denorm_src 0
		.amdhsa_exception_fp_ieee_div_zero 0
		.amdhsa_exception_fp_ieee_overflow 0
		.amdhsa_exception_fp_ieee_underflow 0
		.amdhsa_exception_fp_ieee_inexact 0
		.amdhsa_exception_int_div_zero 0
	.end_amdhsa_kernel
	.section	.text._ZN2at6native12_GLOBAL__N_135GammaBetaBackwardCUDAKernelTemplateIddLj64ELj16ELj256ELb0ELb1ELb1EEEvllPKT_S5_PKT0_S8_PS3_S9_,"axG",@progbits,_ZN2at6native12_GLOBAL__N_135GammaBetaBackwardCUDAKernelTemplateIddLj64ELj16ELj256ELb0ELb1ELb1EEEvllPKT_S5_PKT0_S8_PS3_S9_,comdat
.Lfunc_end127:
	.size	_ZN2at6native12_GLOBAL__N_135GammaBetaBackwardCUDAKernelTemplateIddLj64ELj16ELj256ELb0ELb1ELb1EEEvllPKT_S5_PKT0_S8_PS3_S9_, .Lfunc_end127-_ZN2at6native12_GLOBAL__N_135GammaBetaBackwardCUDAKernelTemplateIddLj64ELj16ELj256ELb0ELb1ELb1EEEvllPKT_S5_PKT0_S8_PS3_S9_
                                        ; -- End function
	.set _ZN2at6native12_GLOBAL__N_135GammaBetaBackwardCUDAKernelTemplateIddLj64ELj16ELj256ELb0ELb1ELb1EEEvllPKT_S5_PKT0_S8_PS3_S9_.num_vgpr, 38
	.set _ZN2at6native12_GLOBAL__N_135GammaBetaBackwardCUDAKernelTemplateIddLj64ELj16ELj256ELb0ELb1ELb1EEEvllPKT_S5_PKT0_S8_PS3_S9_.num_agpr, 0
	.set _ZN2at6native12_GLOBAL__N_135GammaBetaBackwardCUDAKernelTemplateIddLj64ELj16ELj256ELb0ELb1ELb1EEEvllPKT_S5_PKT0_S8_PS3_S9_.numbered_sgpr, 26
	.set _ZN2at6native12_GLOBAL__N_135GammaBetaBackwardCUDAKernelTemplateIddLj64ELj16ELj256ELb0ELb1ELb1EEEvllPKT_S5_PKT0_S8_PS3_S9_.num_named_barrier, 0
	.set _ZN2at6native12_GLOBAL__N_135GammaBetaBackwardCUDAKernelTemplateIddLj64ELj16ELj256ELb0ELb1ELb1EEEvllPKT_S5_PKT0_S8_PS3_S9_.private_seg_size, 0
	.set _ZN2at6native12_GLOBAL__N_135GammaBetaBackwardCUDAKernelTemplateIddLj64ELj16ELj256ELb0ELb1ELb1EEEvllPKT_S5_PKT0_S8_PS3_S9_.uses_vcc, 1
	.set _ZN2at6native12_GLOBAL__N_135GammaBetaBackwardCUDAKernelTemplateIddLj64ELj16ELj256ELb0ELb1ELb1EEEvllPKT_S5_PKT0_S8_PS3_S9_.uses_flat_scratch, 0
	.set _ZN2at6native12_GLOBAL__N_135GammaBetaBackwardCUDAKernelTemplateIddLj64ELj16ELj256ELb0ELb1ELb1EEEvllPKT_S5_PKT0_S8_PS3_S9_.has_dyn_sized_stack, 0
	.set _ZN2at6native12_GLOBAL__N_135GammaBetaBackwardCUDAKernelTemplateIddLj64ELj16ELj256ELb0ELb1ELb1EEEvllPKT_S5_PKT0_S8_PS3_S9_.has_recursion, 0
	.set _ZN2at6native12_GLOBAL__N_135GammaBetaBackwardCUDAKernelTemplateIddLj64ELj16ELj256ELb0ELb1ELb1EEEvllPKT_S5_PKT0_S8_PS3_S9_.has_indirect_call, 0
	.section	.AMDGPU.csdata,"",@progbits
; Kernel info:
; codeLenInByte = 2772
; TotalNumSgprs: 30
; NumVgprs: 38
; ScratchSize: 0
; MemoryBound: 0
; FloatMode: 240
; IeeeMode: 1
; LDSByteSize: 0 bytes/workgroup (compile time only)
; SGPRBlocks: 3
; VGPRBlocks: 9
; NumSGPRsForWavesPerEU: 30
; NumVGPRsForWavesPerEU: 38
; Occupancy: 6
; WaveLimiterHint : 0
; COMPUTE_PGM_RSRC2:SCRATCH_EN: 0
; COMPUTE_PGM_RSRC2:USER_SGPR: 6
; COMPUTE_PGM_RSRC2:TRAP_HANDLER: 0
; COMPUTE_PGM_RSRC2:TGID_X_EN: 1
; COMPUTE_PGM_RSRC2:TGID_Y_EN: 1
; COMPUTE_PGM_RSRC2:TGID_Z_EN: 0
; COMPUTE_PGM_RSRC2:TIDIG_COMP_CNT: 1
	.section	.text._ZN2at6native12_GLOBAL__N_135GammaBetaBackwardCUDAKernelTemplateIddLj64ELj16ELj256ELb0ELb0ELb1EEEvllPKT_S5_PKT0_S8_PS3_S9_,"axG",@progbits,_ZN2at6native12_GLOBAL__N_135GammaBetaBackwardCUDAKernelTemplateIddLj64ELj16ELj256ELb0ELb0ELb1EEEvllPKT_S5_PKT0_S8_PS3_S9_,comdat
	.globl	_ZN2at6native12_GLOBAL__N_135GammaBetaBackwardCUDAKernelTemplateIddLj64ELj16ELj256ELb0ELb0ELb1EEEvllPKT_S5_PKT0_S8_PS3_S9_ ; -- Begin function _ZN2at6native12_GLOBAL__N_135GammaBetaBackwardCUDAKernelTemplateIddLj64ELj16ELj256ELb0ELb0ELb1EEEvllPKT_S5_PKT0_S8_PS3_S9_
	.p2align	8
	.type	_ZN2at6native12_GLOBAL__N_135GammaBetaBackwardCUDAKernelTemplateIddLj64ELj16ELj256ELb0ELb0ELb1EEEvllPKT_S5_PKT0_S8_PS3_S9_,@function
_ZN2at6native12_GLOBAL__N_135GammaBetaBackwardCUDAKernelTemplateIddLj64ELj16ELj256ELb0ELb0ELb1EEEvllPKT_S5_PKT0_S8_PS3_S9_: ; @_ZN2at6native12_GLOBAL__N_135GammaBetaBackwardCUDAKernelTemplateIddLj64ELj16ELj256ELb0ELb0ELb1EEEvllPKT_S5_PKT0_S8_PS3_S9_
; %bb.0:
	s_mov_b64 s[38:39], s[2:3]
	s_mov_b64 s[36:37], s[0:1]
	s_add_u32 s36, s36, s8
	s_addc_u32 s37, s37, 0
	buffer_store_dword v1, off, s[36:39], 0 offset:308 ; 4-byte Folded Spill
	s_load_dwordx8 s[12:19], s[4:5], 0x0
	s_load_dwordx2 s[10:11], s[4:5], 0x28
	s_lshl_b32 s33, s6, 6
	s_or_b32 s0, s33, 63
	v_mov_b32_e32 v15, v0
	v_mov_b32_e32 v0, s0
	;; [unrolled: 1-line block ×3, first 2 shown]
	s_lshl_b32 s20, s7, 8
	s_mov_b32 s21, 0
	s_waitcnt lgkmcnt(0)
	v_cmp_le_i64_e32 vcc, s[14:15], v[0:1]
	v_mov_b32_e32 v0, s20
	v_mov_b32_e32 v1, s21
	v_cmp_gt_i64_e64 s[0:1], s[12:13], v[0:1]
	v_cndmask_b32_e64 v0, 0, 1, s[0:1]
	v_cmp_ne_u32_e64 s[0:1], 1, v0
	s_cbranch_vccz .LBB128_81
; %bb.1:
	v_mov_b32_e32 v5, 0
	v_mov_b32_e32 v6, 0
	s_and_b64 vcc, exec, s[0:1]
	s_cbranch_vccnz .LBB128_83
; %bb.2:
	buffer_load_dword v0, off, s[36:39], 0 offset:308 ; 4-byte Folded Reload
	v_mov_b32_e32 v6, s17
	v_mov_b32_e32 v8, s19
	s_load_dword s7, s[4:5], 0x44
	s_add_u32 s22, s4, 64
	s_addc_u32 s23, s5, 0
	buffer_store_dword v15, off, s[36:39], 0 offset:352 ; 4-byte Folded Spill
	s_mov_b64 s[28:29], s[20:21]
	s_waitcnt lgkmcnt(0)
	s_lshl_b32 s7, s7, 8
	s_mul_i32 s8, s15, s7
	s_mul_hi_u32 s9, s14, s7
	s_add_i32 s9, s9, s8
	s_mul_i32 s8, s14, s7
	s_lshl_b64 s[24:25], s[8:9], 3
	s_add_u32 s26, s20, 0xff
	s_addc_u32 s27, 0, 0
	s_waitcnt vmcnt(1)
	v_lshlrev_b32_e32 v0, 4, v0
	v_add_co_u32_e32 v2, vcc, s20, v0
	v_addc_co_u32_e64 v3, s[2:3], 0, 0, vcc
	buffer_store_dword v0, off, s[36:39], 0 offset:356 ; 4-byte Folded Spill
	v_mul_lo_u32 v4, s15, v2
	v_mul_lo_u32 v5, s14, v3
	v_mad_u64_u32 v[0:1], s[2:3], s14, v2, 0
	v_add3_u32 v1, v1, v5, v4
	v_lshlrev_b64 v[4:5], 3, v[0:1]
	v_add_co_u32_e32 v7, vcc, s16, v4
	v_addc_co_u32_e32 v6, vcc, v6, v5, vcc
	buffer_store_dword v6, off, s[36:39], 0 offset:4 ; 4-byte Folded Spill
	v_add_co_u32_e32 v6, vcc, 15, v2
	buffer_store_dword v7, off, s[36:39], 0 ; 4-byte Folded Spill
	v_addc_co_u32_e32 v7, vcc, 0, v3, vcc
	v_mul_lo_u32 v9, s15, v6
	v_mul_lo_u32 v10, s14, v7
	v_mad_u64_u32 v[6:7], s[2:3], s14, v6, 0
	v_add_co_u32_e32 v4, vcc, s18, v4
	buffer_store_dword v4, off, s[36:39], 0 offset:8 ; 4-byte Folded Spill
	v_addc_co_u32_e32 v4, vcc, v8, v5, vcc
	v_add3_u32 v7, v7, v10, v9
	buffer_store_dword v4, off, s[36:39], 0 offset:12 ; 4-byte Folded Spill
	v_lshlrev_b64 v[4:5], 3, v[6:7]
	v_mov_b32_e32 v6, s17
	v_add_co_u32_e32 v7, vcc, s16, v4
	v_addc_co_u32_e32 v6, vcc, v6, v5, vcc
	buffer_store_dword v6, off, s[36:39], 0 offset:24 ; 4-byte Folded Spill
	v_add_co_u32_e32 v6, vcc, 14, v2
	buffer_store_dword v7, off, s[36:39], 0 offset:16 ; 4-byte Folded Spill
	v_addc_co_u32_e32 v7, vcc, 0, v3, vcc
	v_mul_lo_u32 v9, s15, v6
	v_mul_lo_u32 v10, s14, v7
	v_mad_u64_u32 v[6:7], s[2:3], s14, v6, 0
	v_add_co_u32_e32 v4, vcc, s18, v4
	buffer_store_dword v4, off, s[36:39], 0 offset:32 ; 4-byte Folded Spill
	v_addc_co_u32_e32 v4, vcc, v8, v5, vcc
	v_add3_u32 v7, v7, v10, v9
	buffer_store_dword v4, off, s[36:39], 0 offset:40 ; 4-byte Folded Spill
	v_lshlrev_b64 v[4:5], 3, v[6:7]
	v_mov_b32_e32 v6, s17
	v_add_co_u32_e32 v7, vcc, s16, v4
	v_addc_co_u32_e32 v6, vcc, v6, v5, vcc
	buffer_store_dword v6, off, s[36:39], 0 offset:56 ; 4-byte Folded Spill
	v_add_co_u32_e32 v6, vcc, 13, v2
	buffer_store_dword v7, off, s[36:39], 0 offset:48 ; 4-byte Folded Spill
	;; [unrolled: 16-line block ×10, first 2 shown]
	v_addc_co_u32_e32 v7, vcc, 0, v3, vcc
	v_mul_lo_u32 v9, s15, v6
	v_mul_lo_u32 v10, s14, v7
	v_mad_u64_u32 v[6:7], s[2:3], s14, v6, 0
	v_add_co_u32_e32 v4, vcc, s18, v4
	buffer_store_dword v4, off, s[36:39], 0 offset:224 ; 4-byte Folded Spill
	v_addc_co_u32_e32 v4, vcc, v8, v5, vcc
	v_add3_u32 v7, v7, v10, v9
	buffer_store_dword v4, off, s[36:39], 0 offset:228 ; 4-byte Folded Spill
	v_lshlrev_b64 v[4:5], 3, v[6:7]
	v_mov_b32_e32 v6, s17
	v_add_co_u32_e32 v7, vcc, s16, v4
	v_addc_co_u32_e32 v6, vcc, v6, v5, vcc
	buffer_store_dword v6, off, s[36:39], 0 offset:236 ; 4-byte Folded Spill
	v_mov_b32_e32 v6, s19
	v_add_co_u32_e32 v4, vcc, s18, v4
	buffer_store_dword v4, off, s[36:39], 0 offset:240 ; 4-byte Folded Spill
	v_addc_co_u32_e32 v4, vcc, v6, v5, vcc
	buffer_store_dword v4, off, s[36:39], 0 offset:244 ; 4-byte Folded Spill
	v_add_co_u32_e32 v4, vcc, 4, v2
	v_addc_co_u32_e32 v5, vcc, 0, v3, vcc
	buffer_store_dword v7, off, s[36:39], 0 offset:232 ; 4-byte Folded Spill
	v_mul_lo_u32 v6, s15, v4
	v_mul_lo_u32 v7, s14, v5
	v_mad_u64_u32 v[4:5], s[2:3], s14, v4, 0
	v_add_co_u32_e32 v0, vcc, s14, v0
	v_add3_u32 v5, v5, v7, v6
	v_lshlrev_b64 v[4:5], 3, v[4:5]
	v_mov_b32_e32 v6, s15
	v_addc_co_u32_e32 v1, vcc, v1, v6, vcc
	v_mov_b32_e32 v6, s17
	v_add_co_u32_e32 v7, vcc, s16, v4
	v_addc_co_u32_e32 v6, vcc, v6, v5, vcc
	buffer_store_dword v6, off, s[36:39], 0 offset:252 ; 4-byte Folded Spill
	v_mov_b32_e32 v6, s19
	v_add_co_u32_e32 v4, vcc, s18, v4
	buffer_store_dword v4, off, s[36:39], 0 offset:256 ; 4-byte Folded Spill
	v_addc_co_u32_e32 v4, vcc, v6, v5, vcc
	buffer_store_dword v4, off, s[36:39], 0 offset:260 ; 4-byte Folded Spill
	v_add_co_u32_e32 v4, vcc, 3, v2
	v_addc_co_u32_e32 v5, vcc, 0, v3, vcc
	buffer_store_dword v7, off, s[36:39], 0 offset:248 ; 4-byte Folded Spill
	v_mul_lo_u32 v6, s14, v5
	v_mul_lo_u32 v7, s15, v4
	v_mad_u64_u32 v[4:5], s[2:3], s14, v4, 0
	v_lshlrev_b64 v[0:1], 3, v[0:1]
	v_add3_u32 v5, v5, v6, v7
	v_lshlrev_b64 v[4:5], 3, v[4:5]
	v_mov_b32_e32 v6, s17
	v_add_co_u32_e32 v7, vcc, s16, v4
	v_addc_co_u32_e32 v6, vcc, v6, v5, vcc
	buffer_store_dword v6, off, s[36:39], 0 offset:268 ; 4-byte Folded Spill
	v_mov_b32_e32 v6, s19
	v_add_co_u32_e32 v4, vcc, s18, v4
	buffer_store_dword v4, off, s[36:39], 0 offset:272 ; 4-byte Folded Spill
	v_addc_co_u32_e32 v4, vcc, v6, v5, vcc
	v_add_co_u32_e32 v2, vcc, 2, v2
	v_addc_co_u32_e32 v3, vcc, 0, v3, vcc
	buffer_store_dword v4, off, s[36:39], 0 offset:276 ; 4-byte Folded Spill
	v_mul_lo_u32 v4, s14, v3
	v_mul_lo_u32 v5, s15, v2
	v_mad_u64_u32 v[2:3], s[2:3], s14, v2, 0
	buffer_store_dword v7, off, s[36:39], 0 offset:264 ; 4-byte Folded Spill
	v_add3_u32 v3, v3, v4, v5
	v_lshlrev_b64 v[2:3], 3, v[2:3]
	v_mov_b32_e32 v4, s17
	v_add_co_u32_e32 v5, vcc, s16, v2
	v_addc_co_u32_e32 v4, vcc, v4, v3, vcc
	buffer_store_dword v4, off, s[36:39], 0 offset:284 ; 4-byte Folded Spill
	v_mov_b32_e32 v4, s19
	v_add_co_u32_e32 v2, vcc, s18, v2
	buffer_store_dword v2, off, s[36:39], 0 offset:288 ; 4-byte Folded Spill
	v_addc_co_u32_e32 v2, vcc, v4, v3, vcc
	buffer_store_dword v2, off, s[36:39], 0 offset:292 ; 4-byte Folded Spill
	v_mov_b32_e32 v2, s17
	v_add_co_u32_e32 v3, vcc, s16, v0
	v_addc_co_u32_e32 v2, vcc, v2, v1, vcc
	v_add_co_u32_e32 v0, vcc, s18, v0
	buffer_store_dword v0, off, s[36:39], 0 offset:304 ; 4-byte Folded Spill
	v_mbcnt_lo_u32_b32 v0, -1, 0
	buffer_store_dword v2, off, s[36:39], 0 offset:300 ; 4-byte Folded Spill
	v_mov_b32_e32 v2, s19
	v_mov_b32_e32 v4, 0
	v_mbcnt_hi_u32_b32 v0, -1, v0
	v_addc_co_u32_e32 v2, vcc, v2, v1, vcc
	v_lshlrev_b32_e32 v0, 2, v0
	v_mov_b32_e32 v1, v4
	buffer_store_dword v5, off, s[36:39], 0 offset:280 ; 4-byte Folded Spill
	buffer_store_dword v3, off, s[36:39], 0 offset:296 ; 4-byte Folded Spill
	v_add_u32_e32 v3, s33, v15
	v_and_b32_e32 v63, 0x100, v0
	buffer_store_dword v0, off, s[36:39], 0 offset:360 ; 4-byte Folded Spill
	s_nop 0
	buffer_store_dword v1, off, s[36:39], 0 offset:364 ; 4-byte Folded Spill
	v_cmp_gt_i64_e64 s[2:3], s[14:15], v[3:4]
	v_lshlrev_b64 v[3:4], 3, v[3:4]
	v_mov_b32_e32 v0, 0
	v_mov_b32_e32 v1, 0
	buffer_store_dword v0, off, s[36:39], 0 offset:312 ; 4-byte Folded Spill
	s_nop 0
	buffer_store_dword v1, off, s[36:39], 0 offset:316 ; 4-byte Folded Spill
.LBB128_3:                              ; =>This Inner Loop Header: Depth=1
	v_mov_b32_e32 v0, s12
	v_mov_b32_e32 v1, s13
	v_cmp_ge_i64_e32 vcc, s[26:27], v[0:1]
	buffer_load_dword v1, off, s[36:39], 0 offset:356 ; 4-byte Folded Reload
	v_mov_b32_e32 v0, s27
	s_and_b64 vcc, exec, vcc
                                        ; implicit-def: $vgpr41_vgpr42
                                        ; implicit-def: $vgpr5
	s_waitcnt vmcnt(0)
	v_add_co_u32_e64 v11, s[8:9], s26, v1
	v_addc_co_u32_e64 v12, s[8:9], 0, v0, s[8:9]
	s_mov_b64 s[8:9], -1
                                        ; implicit-def: $vgpr0_vgpr1
	s_cbranch_vccz .LBB128_41
; %bb.4:                                ;   in Loop: Header=BB128_3 Depth=1
	s_load_dword s8, s[22:23], 0xc
	buffer_load_dword v0, off, s[36:39], 0 offset:352 ; 4-byte Folded Reload
	buffer_load_dword v1, off, s[36:39], 0 offset:308 ; 4-byte Folded Reload
	v_mov_b32_e32 v17, 0
	v_mov_b32_e32 v5, 0
	v_mov_b32_e32 v18, 0
	s_waitcnt lgkmcnt(0)
	s_and_b32 s8, s8, 0xffff
	v_mov_b32_e32 v6, 0
	s_waitcnt vmcnt(0)
	v_mad_u32_u24 v0, v1, s8, v0
	v_and_b32_e32 v0, 63, v0
	v_cmp_gt_u32_e32 vcc, 16, v0
	s_and_saveexec_b64 s[8:9], vcc
	s_cbranch_execz .LBB128_8
; %bb.5:                                ;   in Loop: Header=BB128_3 Depth=1
	v_add_co_u32_e32 v0, vcc, v11, v0
	v_addc_co_u32_e32 v1, vcc, 0, v12, vcc
	v_add_co_u32_e32 v0, vcc, 0xffffff01, v0
	v_addc_co_u32_e32 v1, vcc, -1, v1, vcc
	v_cmp_gt_i64_e32 vcc, s[12:13], v[0:1]
	v_mov_b32_e32 v5, 0
	v_mov_b32_e32 v6, 0
	s_and_saveexec_b64 s[30:31], vcc
	s_cbranch_execz .LBB128_7
; %bb.6:                                ;   in Loop: Header=BB128_3 Depth=1
	v_lshlrev_b64 v[0:1], 3, v[0:1]
	v_mov_b32_e32 v5, s11
	v_add_co_u32_e32 v0, vcc, s10, v0
	v_addc_co_u32_e32 v1, vcc, v5, v1, vcc
	global_load_dwordx2 v[5:6], v[0:1], off
.LBB128_7:                              ;   in Loop: Header=BB128_3 Depth=1
	s_or_b64 exec, exec, s[30:31]
.LBB128_8:                              ;   in Loop: Header=BB128_3 Depth=1
	s_or_b64 exec, exec, s[8:9]
	v_add_co_u32_e32 v0, vcc, 0xffffff01, v11
	v_addc_co_u32_e32 v1, vcc, -1, v12, vcc
	v_cmp_gt_i64_e32 vcc, s[12:13], v[0:1]
	v_mov_b32_e32 v19, 0
	v_mov_b32_e32 v20, 0
	s_and_b64 s[30:31], s[2:3], vcc
	s_and_saveexec_b64 s[8:9], s[30:31]
	s_cbranch_execz .LBB128_10
; %bb.9:                                ;   in Loop: Header=BB128_3 Depth=1
	buffer_load_dword v0, off, s[36:39], 0  ; 4-byte Folded Reload
	buffer_load_dword v1, off, s[36:39], 0 offset:4 ; 4-byte Folded Reload
	s_waitcnt vmcnt(1)
	v_add_co_u32_e32 v0, vcc, v0, v3
	s_waitcnt vmcnt(0)
	v_addc_co_u32_e32 v1, vcc, v1, v4, vcc
	global_load_dwordx2 v[17:18], v[0:1], off
	s_nop 0
	buffer_load_dword v0, off, s[36:39], 0 offset:8 ; 4-byte Folded Reload
	buffer_load_dword v1, off, s[36:39], 0 offset:12 ; 4-byte Folded Reload
	s_waitcnt vmcnt(1)
	v_add_co_u32_e32 v0, vcc, v0, v3
	s_waitcnt vmcnt(0)
	v_addc_co_u32_e32 v1, vcc, v1, v4, vcc
	global_load_dwordx2 v[19:20], v[0:1], off
.LBB128_10:                             ;   in Loop: Header=BB128_3 Depth=1
	s_or_b64 exec, exec, s[8:9]
	v_add_co_u32_e32 v0, vcc, 0xffffff02, v11
	v_addc_co_u32_e32 v1, vcc, -1, v12, vcc
	v_cmp_gt_i64_e32 vcc, s[12:13], v[0:1]
	v_mov_b32_e32 v21, 0
	v_mov_b32_e32 v0, 0
	;; [unrolled: 1-line block ×6, first 2 shown]
	s_and_b64 s[30:31], s[2:3], vcc
	buffer_store_dword v0, off, s[36:39], 0 offset:320 ; 4-byte Folded Spill
	s_nop 0
	buffer_store_dword v1, off, s[36:39], 0 offset:324 ; 4-byte Folded Spill
	s_and_saveexec_b64 s[8:9], s[30:31]
	s_cbranch_execz .LBB128_12
; %bb.11:                               ;   in Loop: Header=BB128_3 Depth=1
	buffer_load_dword v0, off, s[36:39], 0 offset:296 ; 4-byte Folded Reload
	buffer_load_dword v1, off, s[36:39], 0 offset:300 ; 4-byte Folded Reload
	s_waitcnt vmcnt(1)
	v_add_co_u32_e32 v0, vcc, v0, v3
	s_waitcnt vmcnt(0)
	v_addc_co_u32_e32 v1, vcc, v1, v4, vcc
	global_load_dwordx2 v[0:1], v[0:1], off
	s_waitcnt vmcnt(0)
	buffer_store_dword v0, off, s[36:39], 0 offset:320 ; 4-byte Folded Spill
	s_nop 0
	buffer_store_dword v1, off, s[36:39], 0 offset:324 ; 4-byte Folded Spill
	buffer_load_dword v0, off, s[36:39], 0 offset:304 ; 4-byte Folded Reload
	s_waitcnt vmcnt(0)
	v_add_co_u32_e32 v0, vcc, v0, v3
	v_addc_co_u32_e32 v1, vcc, v2, v4, vcc
	global_load_dwordx2 v[15:16], v[0:1], off
.LBB128_12:                             ;   in Loop: Header=BB128_3 Depth=1
	s_or_b64 exec, exec, s[8:9]
	v_add_co_u32_e32 v0, vcc, 0xffffff03, v11
	v_addc_co_u32_e32 v1, vcc, -1, v12, vcc
	v_cmp_gt_i64_e32 vcc, s[12:13], v[0:1]
	v_mov_b32_e32 v0, 0
	v_mov_b32_e32 v1, 0
	s_and_b64 s[30:31], s[2:3], vcc
	buffer_store_dword v0, off, s[36:39], 0 offset:328 ; 4-byte Folded Spill
	s_nop 0
	buffer_store_dword v1, off, s[36:39], 0 offset:332 ; 4-byte Folded Spill
	s_and_saveexec_b64 s[8:9], s[30:31]
	s_cbranch_execz .LBB128_14
; %bb.13:                               ;   in Loop: Header=BB128_3 Depth=1
	buffer_load_dword v0, off, s[36:39], 0 offset:280 ; 4-byte Folded Reload
	buffer_load_dword v1, off, s[36:39], 0 offset:284 ; 4-byte Folded Reload
	s_waitcnt vmcnt(1)
	v_add_co_u32_e32 v0, vcc, v0, v3
	s_waitcnt vmcnt(0)
	v_addc_co_u32_e32 v1, vcc, v1, v4, vcc
	global_load_dwordx2 v[21:22], v[0:1], off
	s_nop 0
	buffer_load_dword v0, off, s[36:39], 0 offset:288 ; 4-byte Folded Reload
	buffer_load_dword v1, off, s[36:39], 0 offset:292 ; 4-byte Folded Reload
	s_waitcnt vmcnt(1)
	v_add_co_u32_e32 v0, vcc, v0, v3
	s_waitcnt vmcnt(0)
	v_addc_co_u32_e32 v1, vcc, v1, v4, vcc
	global_load_dwordx2 v[0:1], v[0:1], off
	s_waitcnt vmcnt(0)
	buffer_store_dword v0, off, s[36:39], 0 offset:328 ; 4-byte Folded Spill
	s_nop 0
	buffer_store_dword v1, off, s[36:39], 0 offset:332 ; 4-byte Folded Spill
.LBB128_14:                             ;   in Loop: Header=BB128_3 Depth=1
	s_or_b64 exec, exec, s[8:9]
	v_add_co_u32_e32 v0, vcc, 0xffffff04, v11
	v_addc_co_u32_e32 v1, vcc, -1, v12, vcc
	v_cmp_gt_i64_e32 vcc, s[12:13], v[0:1]
	v_mov_b32_e32 v0, 0
	v_mov_b32_e32 v1, 0
	buffer_store_dword v0, off, s[36:39], 0 offset:336 ; 4-byte Folded Spill
	s_nop 0
	buffer_store_dword v1, off, s[36:39], 0 offset:340 ; 4-byte Folded Spill
	v_mov_b32_e32 v0, 0
	v_mov_b32_e32 v23, 0
	;; [unrolled: 1-line block ×4, first 2 shown]
	s_and_b64 s[30:31], s[2:3], vcc
	buffer_store_dword v0, off, s[36:39], 0 offset:344 ; 4-byte Folded Spill
	s_nop 0
	buffer_store_dword v1, off, s[36:39], 0 offset:348 ; 4-byte Folded Spill
	s_and_saveexec_b64 s[8:9], s[30:31]
	s_cbranch_execz .LBB128_16
; %bb.15:                               ;   in Loop: Header=BB128_3 Depth=1
	buffer_load_dword v0, off, s[36:39], 0 offset:264 ; 4-byte Folded Reload
	buffer_load_dword v1, off, s[36:39], 0 offset:268 ; 4-byte Folded Reload
	s_waitcnt vmcnt(1)
	v_add_co_u32_e32 v0, vcc, v0, v3
	s_waitcnt vmcnt(0)
	v_addc_co_u32_e32 v1, vcc, v1, v4, vcc
	global_load_dwordx2 v[0:1], v[0:1], off
	s_waitcnt vmcnt(0)
	buffer_store_dword v0, off, s[36:39], 0 offset:344 ; 4-byte Folded Spill
	s_nop 0
	buffer_store_dword v1, off, s[36:39], 0 offset:348 ; 4-byte Folded Spill
	buffer_load_dword v0, off, s[36:39], 0 offset:272 ; 4-byte Folded Reload
	s_nop 0
	buffer_load_dword v1, off, s[36:39], 0 offset:276 ; 4-byte Folded Reload
	s_waitcnt vmcnt(1)
	v_add_co_u32_e32 v0, vcc, v0, v3
	s_waitcnt vmcnt(0)
	v_addc_co_u32_e32 v1, vcc, v1, v4, vcc
	global_load_dwordx2 v[23:24], v[0:1], off
.LBB128_16:                             ;   in Loop: Header=BB128_3 Depth=1
	s_or_b64 exec, exec, s[8:9]
	v_add_co_u32_e32 v0, vcc, 0xffffff05, v11
	v_addc_co_u32_e32 v1, vcc, -1, v12, vcc
	v_cmp_gt_i64_e32 vcc, s[12:13], v[0:1]
	v_mov_b32_e32 v25, 0
	v_mov_b32_e32 v26, 0
	s_and_b64 s[30:31], s[2:3], vcc
	s_and_saveexec_b64 s[8:9], s[30:31]
	s_cbranch_execz .LBB128_18
; %bb.17:                               ;   in Loop: Header=BB128_3 Depth=1
	buffer_load_dword v0, off, s[36:39], 0 offset:248 ; 4-byte Folded Reload
	buffer_load_dword v1, off, s[36:39], 0 offset:252 ; 4-byte Folded Reload
	s_waitcnt vmcnt(1)
	v_add_co_u32_e32 v0, vcc, v0, v3
	s_waitcnt vmcnt(0)
	v_addc_co_u32_e32 v1, vcc, v1, v4, vcc
	global_load_dwordx2 v[0:1], v[0:1], off
	s_waitcnt vmcnt(0)
	buffer_store_dword v0, off, s[36:39], 0 offset:336 ; 4-byte Folded Spill
	s_nop 0
	buffer_store_dword v1, off, s[36:39], 0 offset:340 ; 4-byte Folded Spill
	buffer_load_dword v0, off, s[36:39], 0 offset:256 ; 4-byte Folded Reload
	s_nop 0
	buffer_load_dword v1, off, s[36:39], 0 offset:260 ; 4-byte Folded Reload
	s_waitcnt vmcnt(1)
	v_add_co_u32_e32 v0, vcc, v0, v3
	s_waitcnt vmcnt(0)
	v_addc_co_u32_e32 v1, vcc, v1, v4, vcc
	global_load_dwordx2 v[25:26], v[0:1], off
.LBB128_18:                             ;   in Loop: Header=BB128_3 Depth=1
	s_or_b64 exec, exec, s[8:9]
	v_add_co_u32_e32 v0, vcc, 0xffffff06, v11
	v_addc_co_u32_e32 v1, vcc, -1, v12, vcc
	v_cmp_gt_i64_e32 vcc, s[12:13], v[0:1]
	v_mov_b32_e32 v27, 0
	v_mov_b32_e32 v29, 0
	v_mov_b32_e32 v31, 0
	v_mov_b32_e32 v28, 0
	v_mov_b32_e32 v30, 0
	v_mov_b32_e32 v32, 0
	s_and_b64 s[30:31], s[2:3], vcc
	s_and_saveexec_b64 s[8:9], s[30:31]
	s_cbranch_execz .LBB128_20
; %bb.19:                               ;   in Loop: Header=BB128_3 Depth=1
	buffer_load_dword v0, off, s[36:39], 0 offset:232 ; 4-byte Folded Reload
	buffer_load_dword v1, off, s[36:39], 0 offset:236 ; 4-byte Folded Reload
	s_waitcnt vmcnt(1)
	v_add_co_u32_e32 v0, vcc, v0, v3
	s_waitcnt vmcnt(0)
	v_addc_co_u32_e32 v1, vcc, v1, v4, vcc
	global_load_dwordx2 v[29:30], v[0:1], off
	s_nop 0
	buffer_load_dword v0, off, s[36:39], 0 offset:240 ; 4-byte Folded Reload
	buffer_load_dword v1, off, s[36:39], 0 offset:244 ; 4-byte Folded Reload
	s_waitcnt vmcnt(1)
	v_add_co_u32_e32 v0, vcc, v0, v3
	s_waitcnt vmcnt(0)
	v_addc_co_u32_e32 v1, vcc, v1, v4, vcc
	global_load_dwordx2 v[31:32], v[0:1], off
.LBB128_20:                             ;   in Loop: Header=BB128_3 Depth=1
	s_or_b64 exec, exec, s[8:9]
	v_add_co_u32_e32 v0, vcc, 0xffffff07, v11
	v_addc_co_u32_e32 v1, vcc, -1, v12, vcc
	v_cmp_gt_i64_e32 vcc, s[12:13], v[0:1]
	v_mov_b32_e32 v33, 0
	v_mov_b32_e32 v34, 0
	s_and_b64 s[30:31], s[2:3], vcc
	s_and_saveexec_b64 s[8:9], s[30:31]
	s_cbranch_execz .LBB128_22
; %bb.21:                               ;   in Loop: Header=BB128_3 Depth=1
	buffer_load_dword v0, off, s[36:39], 0 offset:216 ; 4-byte Folded Reload
	buffer_load_dword v1, off, s[36:39], 0 offset:220 ; 4-byte Folded Reload
	s_waitcnt vmcnt(1)
	v_add_co_u32_e32 v0, vcc, v0, v3
	s_waitcnt vmcnt(0)
	v_addc_co_u32_e32 v1, vcc, v1, v4, vcc
	global_load_dwordx2 v[27:28], v[0:1], off
	s_nop 0
	buffer_load_dword v0, off, s[36:39], 0 offset:224 ; 4-byte Folded Reload
	buffer_load_dword v1, off, s[36:39], 0 offset:228 ; 4-byte Folded Reload
	s_waitcnt vmcnt(1)
	v_add_co_u32_e32 v0, vcc, v0, v3
	s_waitcnt vmcnt(0)
	v_addc_co_u32_e32 v1, vcc, v1, v4, vcc
	global_load_dwordx2 v[33:34], v[0:1], off
.LBB128_22:                             ;   in Loop: Header=BB128_3 Depth=1
	s_or_b64 exec, exec, s[8:9]
	v_add_co_u32_e32 v0, vcc, 0xffffff08, v11
	v_addc_co_u32_e32 v1, vcc, -1, v12, vcc
	v_cmp_gt_i64_e32 vcc, s[12:13], v[0:1]
	v_mov_b32_e32 v35, 0
	v_mov_b32_e32 v37, 0
	v_mov_b32_e32 v39, 0
	v_mov_b32_e32 v36, 0
	v_mov_b32_e32 v38, 0
	v_mov_b32_e32 v40, 0
	s_and_b64 s[30:31], s[2:3], vcc
	s_and_saveexec_b64 s[8:9], s[30:31]
	s_cbranch_execz .LBB128_24
; %bb.23:                               ;   in Loop: Header=BB128_3 Depth=1
	buffer_load_dword v0, off, s[36:39], 0 offset:200 ; 4-byte Folded Reload
	buffer_load_dword v1, off, s[36:39], 0 offset:204 ; 4-byte Folded Reload
	s_waitcnt vmcnt(1)
	v_add_co_u32_e32 v0, vcc, v0, v3
	s_waitcnt vmcnt(0)
	v_addc_co_u32_e32 v1, vcc, v1, v4, vcc
	global_load_dwordx2 v[37:38], v[0:1], off
	s_nop 0
	buffer_load_dword v0, off, s[36:39], 0 offset:208 ; 4-byte Folded Reload
	buffer_load_dword v1, off, s[36:39], 0 offset:212 ; 4-byte Folded Reload
	s_waitcnt vmcnt(1)
	v_add_co_u32_e32 v0, vcc, v0, v3
	s_waitcnt vmcnt(0)
	v_addc_co_u32_e32 v1, vcc, v1, v4, vcc
	global_load_dwordx2 v[39:40], v[0:1], off
.LBB128_24:                             ;   in Loop: Header=BB128_3 Depth=1
	s_or_b64 exec, exec, s[8:9]
	v_add_co_u32_e32 v0, vcc, 0xffffff09, v11
	v_addc_co_u32_e32 v1, vcc, -1, v12, vcc
	v_cmp_gt_i64_e32 vcc, s[12:13], v[0:1]
	v_mov_b32_e32 v43, 0
	v_mov_b32_e32 v44, 0
	s_and_b64 s[30:31], s[2:3], vcc
	s_and_saveexec_b64 s[8:9], s[30:31]
	s_cbranch_execz .LBB128_26
; %bb.25:                               ;   in Loop: Header=BB128_3 Depth=1
	buffer_load_dword v0, off, s[36:39], 0 offset:184 ; 4-byte Folded Reload
	buffer_load_dword v1, off, s[36:39], 0 offset:188 ; 4-byte Folded Reload
	s_waitcnt vmcnt(1)
	v_add_co_u32_e32 v0, vcc, v0, v3
	s_waitcnt vmcnt(0)
	v_addc_co_u32_e32 v1, vcc, v1, v4, vcc
	global_load_dwordx2 v[35:36], v[0:1], off
	s_nop 0
	buffer_load_dword v0, off, s[36:39], 0 offset:192 ; 4-byte Folded Reload
	buffer_load_dword v1, off, s[36:39], 0 offset:196 ; 4-byte Folded Reload
	s_waitcnt vmcnt(1)
	v_add_co_u32_e32 v0, vcc, v0, v3
	s_waitcnt vmcnt(0)
	v_addc_co_u32_e32 v1, vcc, v1, v4, vcc
	global_load_dwordx2 v[43:44], v[0:1], off
.LBB128_26:                             ;   in Loop: Header=BB128_3 Depth=1
	;; [unrolled: 56-line block ×5, first 2 shown]
	s_or_b64 exec, exec, s[8:9]
	v_add_co_u32_e32 v41, vcc, 0xffffff10, v11
	v_addc_co_u32_e32 v42, vcc, -1, v12, vcc
	v_cmp_gt_i64_e32 vcc, s[12:13], v[41:42]
	v_mov_b32_e32 v41, 0
	v_mov_b32_e32 v42, 0
	s_and_b64 s[30:31], s[2:3], vcc
	s_and_saveexec_b64 s[8:9], s[30:31]
	s_cbranch_execz .LBB128_40
; %bb.39:                               ;   in Loop: Header=BB128_3 Depth=1
	buffer_load_dword v13, off, s[36:39], 0 offset:16 ; 4-byte Folded Reload
	buffer_load_dword v14, off, s[36:39], 0 offset:40 ; 4-byte Folded Reload
	s_waitcnt vmcnt(1)
	v_add_co_u32_e32 v41, vcc, v13, v3
	buffer_load_dword v13, off, s[36:39], 0 offset:24 ; 4-byte Folded Reload
	s_waitcnt vmcnt(0)
	v_addc_co_u32_e32 v42, vcc, v13, v4, vcc
	buffer_load_dword v13, off, s[36:39], 0 offset:32 ; 4-byte Folded Reload
	s_waitcnt vmcnt(0)
	v_add_co_u32_e32 v13, vcc, v13, v3
	v_addc_co_u32_e32 v14, vcc, v14, v4, vcc
	global_load_dwordx2 v[41:42], v[41:42], off
	s_nop 0
	global_load_dwordx2 v[13:14], v[13:14], off
	s_waitcnt vmcnt(0)
	v_mul_f64 v[41:42], v[41:42], v[13:14]
.LBB128_40:                             ;   in Loop: Header=BB128_3 Depth=1
	s_or_b64 exec, exec, s[8:9]
	s_waitcnt vmcnt(8)
	v_mul_f64 v[13:14], v[17:18], v[19:20]
	buffer_load_dword v17, off, s[36:39], 0 offset:320 ; 4-byte Folded Reload
	buffer_load_dword v18, off, s[36:39], 0 offset:324 ; 4-byte Folded Reload
	;; [unrolled: 1-line block ×4, first 2 shown]
	s_waitcnt vmcnt(4)
	v_mul_f64 v[0:1], v[7:8], v[0:1]
	s_mov_b64 s[8:9], 0
	s_waitcnt vmcnt(2)
	v_mul_f64 v[15:16], v[17:18], v[15:16]
	ds_bpermute_b32 v17, v63, v5
	ds_bpermute_b32 v18, v63, v6
	s_waitcnt vmcnt(0) lgkmcnt(0)
	v_fma_f64 v[13:14], v[13:14], v[17:18], v[19:20]
	ds_bpermute_b32 v17, v63, v5 offset:4
	ds_bpermute_b32 v18, v63, v6 offset:4
	s_waitcnt lgkmcnt(0)
	v_fma_f64 v[13:14], v[15:16], v[17:18], v[13:14]
	buffer_load_dword v15, off, s[36:39], 0 offset:328 ; 4-byte Folded Reload
	buffer_load_dword v16, off, s[36:39], 0 offset:332 ; 4-byte Folded Reload
	buffer_load_dword v19, off, s[36:39], 0 offset:344 ; 4-byte Folded Reload
	buffer_load_dword v20, off, s[36:39], 0 offset:348 ; 4-byte Folded Reload
	ds_bpermute_b32 v17, v63, v5 offset:8
	ds_bpermute_b32 v18, v63, v6 offset:8
	s_waitcnt vmcnt(2)
	v_mul_f64 v[15:16], v[21:22], v[15:16]
	s_waitcnt vmcnt(0)
	v_mul_f64 v[21:22], v[19:20], v[23:24]
	v_mul_f64 v[19:20], v[29:30], v[31:32]
	s_waitcnt lgkmcnt(0)
	v_fma_f64 v[13:14], v[15:16], v[17:18], v[13:14]
	buffer_load_dword v17, off, s[36:39], 0 offset:336 ; 4-byte Folded Reload
	buffer_load_dword v18, off, s[36:39], 0 offset:340 ; 4-byte Folded Reload
	ds_bpermute_b32 v15, v63, v5 offset:12
	ds_bpermute_b32 v16, v63, v6 offset:12
	s_waitcnt lgkmcnt(0)
	v_fma_f64 v[13:14], v[21:22], v[15:16], v[13:14]
	ds_bpermute_b32 v15, v63, v5 offset:16
	ds_bpermute_b32 v16, v63, v6 offset:16
	s_waitcnt vmcnt(0)
	v_mul_f64 v[17:18], v[17:18], v[25:26]
	s_waitcnt lgkmcnt(0)
	v_fma_f64 v[13:14], v[17:18], v[15:16], v[13:14]
	ds_bpermute_b32 v15, v63, v5 offset:20
	ds_bpermute_b32 v16, v63, v6 offset:20
	v_mul_f64 v[17:18], v[27:28], v[33:34]
	s_waitcnt lgkmcnt(0)
	v_fma_f64 v[13:14], v[19:20], v[15:16], v[13:14]
	ds_bpermute_b32 v15, v63, v5 offset:24
	ds_bpermute_b32 v16, v63, v6 offset:24
	;; [unrolled: 5-line block ×8, first 2 shown]
	s_waitcnt lgkmcnt(0)
	v_fma_f64 v[7:8], v[17:18], v[15:16], v[13:14]
	ds_bpermute_b32 v13, v63, v5 offset:52
	ds_bpermute_b32 v14, v63, v6 offset:52
	s_waitcnt lgkmcnt(0)
	v_fma_f64 v[0:1], v[0:1], v[13:14], v[7:8]
	v_mul_f64 v[7:8], v[61:62], v[9:10]
	ds_bpermute_b32 v9, v63, v5 offset:56
	ds_bpermute_b32 v10, v63, v6 offset:56
	;; [unrolled: 1-line block ×4, first 2 shown]
	s_waitcnt lgkmcnt(2)
	v_fma_f64 v[0:1], v[7:8], v[9:10], v[0:1]
.LBB128_41:                             ;   in Loop: Header=BB128_3 Depth=1
	s_and_b64 vcc, exec, s[8:9]
	s_cbranch_vccz .LBB128_79
; %bb.42:                               ;   in Loop: Header=BB128_3 Depth=1
	s_load_dword s8, s[22:23], 0x0
	buffer_load_dword v0, off, s[36:39], 0 offset:360 ; 4-byte Folded Reload
	buffer_load_dword v1, off, s[36:39], 0 offset:364 ; 4-byte Folded Reload
	v_mov_b32_e32 v13, 0
	v_mov_b32_e32 v14, 0
	s_waitcnt lgkmcnt(0)
	s_cmp_lt_u32 s6, s8
	s_cselect_b32 s8, 12, 18
	s_add_u32 s8, s22, s8
	s_addc_u32 s9, s23, 0
	s_waitcnt vmcnt(0)
	global_load_ushort v0, v1, s[8:9]
	s_nop 0
	buffer_load_dword v1, off, s[36:39], 0 offset:352 ; 4-byte Folded Reload
	buffer_load_dword v5, off, s[36:39], 0 offset:308 ; 4-byte Folded Reload
	s_waitcnt vmcnt(0)
	v_mad_u32_u24 v0, v5, v0, v1
	v_and_b32_e32 v0, 63, v0
	v_mov_b32_e32 v5, 0
	v_mov_b32_e32 v6, 0
	v_cmp_gt_u32_e32 vcc, 16, v0
	s_and_saveexec_b64 s[8:9], vcc
	s_cbranch_execz .LBB128_46
; %bb.43:                               ;   in Loop: Header=BB128_3 Depth=1
	v_add_co_u32_e32 v0, vcc, v11, v0
	v_addc_co_u32_e32 v1, vcc, 0, v12, vcc
	v_add_co_u32_e32 v0, vcc, 0xffffff01, v0
	v_addc_co_u32_e32 v1, vcc, -1, v1, vcc
	v_cmp_gt_i64_e32 vcc, s[12:13], v[0:1]
	v_mov_b32_e32 v5, 0
	v_mov_b32_e32 v6, 0
	s_and_saveexec_b64 s[30:31], vcc
	s_cbranch_execz .LBB128_45
; %bb.44:                               ;   in Loop: Header=BB128_3 Depth=1
	v_lshlrev_b64 v[0:1], 3, v[0:1]
	v_mov_b32_e32 v5, s11
	v_add_co_u32_e32 v0, vcc, s10, v0
	v_addc_co_u32_e32 v1, vcc, v5, v1, vcc
	global_load_dwordx2 v[5:6], v[0:1], off
.LBB128_45:                             ;   in Loop: Header=BB128_3 Depth=1
	s_or_b64 exec, exec, s[30:31]
.LBB128_46:                             ;   in Loop: Header=BB128_3 Depth=1
	s_or_b64 exec, exec, s[8:9]
	v_mov_b32_e32 v15, 0
	v_mov_b32_e32 v16, 0
	s_and_saveexec_b64 s[8:9], s[2:3]
	s_cbranch_execz .LBB128_48
; %bb.47:                               ;   in Loop: Header=BB128_3 Depth=1
	buffer_load_dword v0, off, s[36:39], 0  ; 4-byte Folded Reload
	buffer_load_dword v1, off, s[36:39], 0 offset:4 ; 4-byte Folded Reload
	s_waitcnt vmcnt(1)
	v_add_co_u32_e32 v0, vcc, v0, v3
	s_waitcnt vmcnt(0)
	v_addc_co_u32_e32 v1, vcc, v1, v4, vcc
	global_load_dwordx2 v[13:14], v[0:1], off
	s_nop 0
	buffer_load_dword v0, off, s[36:39], 0 offset:8 ; 4-byte Folded Reload
	buffer_load_dword v1, off, s[36:39], 0 offset:12 ; 4-byte Folded Reload
	s_waitcnt vmcnt(1)
	v_add_co_u32_e32 v0, vcc, v0, v3
	s_waitcnt vmcnt(0)
	v_addc_co_u32_e32 v1, vcc, v1, v4, vcc
	global_load_dwordx2 v[15:16], v[0:1], off
.LBB128_48:                             ;   in Loop: Header=BB128_3 Depth=1
	s_or_b64 exec, exec, s[8:9]
	v_mov_b32_e32 v0, 0
	v_mov_b32_e32 v1, 0
	buffer_store_dword v0, off, s[36:39], 0 offset:320 ; 4-byte Folded Spill
	s_nop 0
	buffer_store_dword v1, off, s[36:39], 0 offset:324 ; 4-byte Folded Spill
	v_mov_b32_e32 v17, 0
	v_mov_b32_e32 v0, 0
	;; [unrolled: 1-line block ×4, first 2 shown]
	buffer_store_dword v0, off, s[36:39], 0 offset:328 ; 4-byte Folded Spill
	s_nop 0
	buffer_store_dword v1, off, s[36:39], 0 offset:332 ; 4-byte Folded Spill
	s_and_saveexec_b64 s[8:9], s[2:3]
	s_cbranch_execz .LBB128_50
; %bb.49:                               ;   in Loop: Header=BB128_3 Depth=1
	buffer_load_dword v0, off, s[36:39], 0 offset:296 ; 4-byte Folded Reload
	buffer_load_dword v1, off, s[36:39], 0 offset:300 ; 4-byte Folded Reload
	s_waitcnt vmcnt(1)
	v_add_co_u32_e32 v0, vcc, v0, v3
	s_waitcnt vmcnt(0)
	v_addc_co_u32_e32 v1, vcc, v1, v4, vcc
	global_load_dwordx2 v[0:1], v[0:1], off
	s_waitcnt vmcnt(0)
	buffer_store_dword v0, off, s[36:39], 0 offset:320 ; 4-byte Folded Spill
	s_nop 0
	buffer_store_dword v1, off, s[36:39], 0 offset:324 ; 4-byte Folded Spill
	buffer_load_dword v0, off, s[36:39], 0 offset:304 ; 4-byte Folded Reload
	s_waitcnt vmcnt(0)
	v_add_co_u32_e32 v0, vcc, v0, v3
	v_addc_co_u32_e32 v1, vcc, v2, v4, vcc
	global_load_dwordx2 v[0:1], v[0:1], off
	s_waitcnt vmcnt(0)
	buffer_store_dword v0, off, s[36:39], 0 offset:328 ; 4-byte Folded Spill
	s_nop 0
	buffer_store_dword v1, off, s[36:39], 0 offset:332 ; 4-byte Folded Spill
.LBB128_50:                             ;   in Loop: Header=BB128_3 Depth=1
	s_or_b64 exec, exec, s[8:9]
	v_mov_b32_e32 v19, 0
	v_mov_b32_e32 v20, 0
	s_and_saveexec_b64 s[8:9], s[2:3]
	s_cbranch_execz .LBB128_52
; %bb.51:                               ;   in Loop: Header=BB128_3 Depth=1
	buffer_load_dword v0, off, s[36:39], 0 offset:280 ; 4-byte Folded Reload
	buffer_load_dword v1, off, s[36:39], 0 offset:284 ; 4-byte Folded Reload
	s_waitcnt vmcnt(1)
	v_add_co_u32_e32 v0, vcc, v0, v3
	s_waitcnt vmcnt(0)
	v_addc_co_u32_e32 v1, vcc, v1, v4, vcc
	global_load_dwordx2 v[17:18], v[0:1], off
	s_nop 0
	buffer_load_dword v0, off, s[36:39], 0 offset:288 ; 4-byte Folded Reload
	buffer_load_dword v1, off, s[36:39], 0 offset:292 ; 4-byte Folded Reload
	s_waitcnt vmcnt(1)
	v_add_co_u32_e32 v0, vcc, v0, v3
	s_waitcnt vmcnt(0)
	v_addc_co_u32_e32 v1, vcc, v1, v4, vcc
	global_load_dwordx2 v[19:20], v[0:1], off
.LBB128_52:                             ;   in Loop: Header=BB128_3 Depth=1
	s_or_b64 exec, exec, s[8:9]
	v_mov_b32_e32 v0, 0
	v_mov_b32_e32 v21, 0
	;; [unrolled: 1-line block ×6, first 2 shown]
	buffer_store_dword v0, off, s[36:39], 0 offset:336 ; 4-byte Folded Spill
	s_nop 0
	buffer_store_dword v1, off, s[36:39], 0 offset:340 ; 4-byte Folded Spill
	s_and_saveexec_b64 s[8:9], s[2:3]
	s_cbranch_execz .LBB128_54
; %bb.53:                               ;   in Loop: Header=BB128_3 Depth=1
	buffer_load_dword v0, off, s[36:39], 0 offset:264 ; 4-byte Folded Reload
	buffer_load_dword v1, off, s[36:39], 0 offset:268 ; 4-byte Folded Reload
	s_waitcnt vmcnt(1)
	v_add_co_u32_e32 v0, vcc, v0, v3
	s_waitcnt vmcnt(0)
	v_addc_co_u32_e32 v1, vcc, v1, v4, vcc
	global_load_dwordx2 v[21:22], v[0:1], off
	s_nop 0
	buffer_load_dword v0, off, s[36:39], 0 offset:272 ; 4-byte Folded Reload
	buffer_load_dword v1, off, s[36:39], 0 offset:276 ; 4-byte Folded Reload
	s_waitcnt vmcnt(1)
	v_add_co_u32_e32 v0, vcc, v0, v3
	s_waitcnt vmcnt(0)
	v_addc_co_u32_e32 v1, vcc, v1, v4, vcc
	global_load_dwordx2 v[23:24], v[0:1], off
.LBB128_54:                             ;   in Loop: Header=BB128_3 Depth=1
	s_or_b64 exec, exec, s[8:9]
	v_mov_b32_e32 v25, 0
	v_mov_b32_e32 v26, 0
	s_and_saveexec_b64 s[8:9], s[2:3]
	s_cbranch_execz .LBB128_56
; %bb.55:                               ;   in Loop: Header=BB128_3 Depth=1
	buffer_load_dword v0, off, s[36:39], 0 offset:248 ; 4-byte Folded Reload
	buffer_load_dword v1, off, s[36:39], 0 offset:252 ; 4-byte Folded Reload
	s_waitcnt vmcnt(1)
	v_add_co_u32_e32 v0, vcc, v0, v3
	s_waitcnt vmcnt(0)
	v_addc_co_u32_e32 v1, vcc, v1, v4, vcc
	global_load_dwordx2 v[0:1], v[0:1], off
	s_waitcnt vmcnt(0)
	buffer_store_dword v0, off, s[36:39], 0 offset:336 ; 4-byte Folded Spill
	s_nop 0
	buffer_store_dword v1, off, s[36:39], 0 offset:340 ; 4-byte Folded Spill
	buffer_load_dword v0, off, s[36:39], 0 offset:256 ; 4-byte Folded Reload
	s_nop 0
	buffer_load_dword v1, off, s[36:39], 0 offset:260 ; 4-byte Folded Reload
	s_waitcnt vmcnt(1)
	v_add_co_u32_e32 v0, vcc, v0, v3
	s_waitcnt vmcnt(0)
	v_addc_co_u32_e32 v1, vcc, v1, v4, vcc
	global_load_dwordx2 v[25:26], v[0:1], off
.LBB128_56:                             ;   in Loop: Header=BB128_3 Depth=1
	s_or_b64 exec, exec, s[8:9]
	v_mov_b32_e32 v27, 0
	v_mov_b32_e32 v29, 0
	v_mov_b32_e32 v31, 0
	v_mov_b32_e32 v28, 0
	v_mov_b32_e32 v30, 0
	v_mov_b32_e32 v32, 0
	s_and_saveexec_b64 s[8:9], s[2:3]
	s_cbranch_execz .LBB128_58
; %bb.57:                               ;   in Loop: Header=BB128_3 Depth=1
	buffer_load_dword v0, off, s[36:39], 0 offset:232 ; 4-byte Folded Reload
	buffer_load_dword v1, off, s[36:39], 0 offset:236 ; 4-byte Folded Reload
	s_waitcnt vmcnt(1)
	v_add_co_u32_e32 v0, vcc, v0, v3
	s_waitcnt vmcnt(0)
	v_addc_co_u32_e32 v1, vcc, v1, v4, vcc
	global_load_dwordx2 v[29:30], v[0:1], off
	s_nop 0
	buffer_load_dword v0, off, s[36:39], 0 offset:240 ; 4-byte Folded Reload
	buffer_load_dword v1, off, s[36:39], 0 offset:244 ; 4-byte Folded Reload
	s_waitcnt vmcnt(1)
	v_add_co_u32_e32 v0, vcc, v0, v3
	s_waitcnt vmcnt(0)
	v_addc_co_u32_e32 v1, vcc, v1, v4, vcc
	global_load_dwordx2 v[31:32], v[0:1], off
.LBB128_58:                             ;   in Loop: Header=BB128_3 Depth=1
	s_or_b64 exec, exec, s[8:9]
	v_mov_b32_e32 v33, 0
	v_mov_b32_e32 v34, 0
	s_and_saveexec_b64 s[8:9], s[2:3]
	s_cbranch_execz .LBB128_60
; %bb.59:                               ;   in Loop: Header=BB128_3 Depth=1
	buffer_load_dword v0, off, s[36:39], 0 offset:216 ; 4-byte Folded Reload
	buffer_load_dword v1, off, s[36:39], 0 offset:220 ; 4-byte Folded Reload
	s_waitcnt vmcnt(1)
	v_add_co_u32_e32 v0, vcc, v0, v3
	s_waitcnt vmcnt(0)
	v_addc_co_u32_e32 v1, vcc, v1, v4, vcc
	global_load_dwordx2 v[27:28], v[0:1], off
	s_nop 0
	buffer_load_dword v0, off, s[36:39], 0 offset:224 ; 4-byte Folded Reload
	buffer_load_dword v1, off, s[36:39], 0 offset:228 ; 4-byte Folded Reload
	s_waitcnt vmcnt(1)
	v_add_co_u32_e32 v0, vcc, v0, v3
	s_waitcnt vmcnt(0)
	v_addc_co_u32_e32 v1, vcc, v1, v4, vcc
	global_load_dwordx2 v[33:34], v[0:1], off
.LBB128_60:                             ;   in Loop: Header=BB128_3 Depth=1
	s_or_b64 exec, exec, s[8:9]
	v_mov_b32_e32 v35, 0
	v_mov_b32_e32 v37, 0
	v_mov_b32_e32 v39, 0
	v_mov_b32_e32 v36, 0
	v_mov_b32_e32 v38, 0
	v_mov_b32_e32 v40, 0
	s_and_saveexec_b64 s[8:9], s[2:3]
	s_cbranch_execz .LBB128_62
; %bb.61:                               ;   in Loop: Header=BB128_3 Depth=1
	buffer_load_dword v0, off, s[36:39], 0 offset:200 ; 4-byte Folded Reload
	buffer_load_dword v1, off, s[36:39], 0 offset:204 ; 4-byte Folded Reload
	s_waitcnt vmcnt(1)
	v_add_co_u32_e32 v0, vcc, v0, v3
	s_waitcnt vmcnt(0)
	v_addc_co_u32_e32 v1, vcc, v1, v4, vcc
	global_load_dwordx2 v[37:38], v[0:1], off
	s_nop 0
	buffer_load_dword v0, off, s[36:39], 0 offset:208 ; 4-byte Folded Reload
	buffer_load_dword v1, off, s[36:39], 0 offset:212 ; 4-byte Folded Reload
	s_waitcnt vmcnt(1)
	v_add_co_u32_e32 v0, vcc, v0, v3
	s_waitcnt vmcnt(0)
	v_addc_co_u32_e32 v1, vcc, v1, v4, vcc
	global_load_dwordx2 v[39:40], v[0:1], off
.LBB128_62:                             ;   in Loop: Header=BB128_3 Depth=1
	s_or_b64 exec, exec, s[8:9]
	v_mov_b32_e32 v43, 0
	v_mov_b32_e32 v44, 0
	s_and_saveexec_b64 s[8:9], s[2:3]
	s_cbranch_execz .LBB128_64
; %bb.63:                               ;   in Loop: Header=BB128_3 Depth=1
	buffer_load_dword v0, off, s[36:39], 0 offset:184 ; 4-byte Folded Reload
	buffer_load_dword v1, off, s[36:39], 0 offset:188 ; 4-byte Folded Reload
	s_waitcnt vmcnt(1)
	v_add_co_u32_e32 v0, vcc, v0, v3
	s_waitcnt vmcnt(0)
	v_addc_co_u32_e32 v1, vcc, v1, v4, vcc
	global_load_dwordx2 v[35:36], v[0:1], off
	s_nop 0
	buffer_load_dword v0, off, s[36:39], 0 offset:192 ; 4-byte Folded Reload
	buffer_load_dword v1, off, s[36:39], 0 offset:196 ; 4-byte Folded Reload
	s_waitcnt vmcnt(1)
	v_add_co_u32_e32 v0, vcc, v0, v3
	s_waitcnt vmcnt(0)
	v_addc_co_u32_e32 v1, vcc, v1, v4, vcc
	global_load_dwordx2 v[43:44], v[0:1], off
.LBB128_64:                             ;   in Loop: Header=BB128_3 Depth=1
	;; [unrolled: 48-line block ×5, first 2 shown]
	s_or_b64 exec, exec, s[8:9]
	v_mov_b32_e32 v41, 0
	v_mov_b32_e32 v42, 0
	s_and_saveexec_b64 s[8:9], s[2:3]
	s_cbranch_execz .LBB128_78
; %bb.77:                               ;   in Loop: Header=BB128_3 Depth=1
	buffer_load_dword v11, off, s[36:39], 0 offset:16 ; 4-byte Folded Reload
	buffer_load_dword v12, off, s[36:39], 0 offset:40 ; 4-byte Folded Reload
	s_waitcnt vmcnt(1)
	v_add_co_u32_e32 v41, vcc, v11, v3
	buffer_load_dword v11, off, s[36:39], 0 offset:24 ; 4-byte Folded Reload
	s_waitcnt vmcnt(0)
	v_addc_co_u32_e32 v42, vcc, v11, v4, vcc
	buffer_load_dword v11, off, s[36:39], 0 offset:32 ; 4-byte Folded Reload
	s_waitcnt vmcnt(0)
	v_add_co_u32_e32 v11, vcc, v11, v3
	v_addc_co_u32_e32 v12, vcc, v12, v4, vcc
	global_load_dwordx2 v[41:42], v[41:42], off
	s_nop 0
	global_load_dwordx2 v[11:12], v[11:12], off
	s_waitcnt vmcnt(0)
	v_mul_f64 v[41:42], v[41:42], v[11:12]
.LBB128_78:                             ;   in Loop: Header=BB128_3 Depth=1
	s_or_b64 exec, exec, s[8:9]
	s_waitcnt vmcnt(6)
	v_mul_f64 v[11:12], v[13:14], v[15:16]
	buffer_load_dword v15, off, s[36:39], 0 offset:312 ; 4-byte Folded Reload
	buffer_load_dword v16, off, s[36:39], 0 offset:316 ; 4-byte Folded Reload
	ds_bpermute_b32 v13, v63, v5
	ds_bpermute_b32 v14, v63, v6
	s_waitcnt vmcnt(2)
	v_mul_f64 v[0:1], v[53:54], v[0:1]
	v_mul_f64 v[7:8], v[61:62], v[7:8]
	s_waitcnt vmcnt(0) lgkmcnt(0)
	v_fma_f64 v[11:12], v[11:12], v[13:14], v[15:16]
	buffer_load_dword v13, off, s[36:39], 0 offset:320 ; 4-byte Folded Reload
	buffer_load_dword v14, off, s[36:39], 0 offset:324 ; 4-byte Folded Reload
	;; [unrolled: 1-line block ×4, first 2 shown]
	s_waitcnt vmcnt(0)
	v_mul_f64 v[13:14], v[13:14], v[15:16]
	v_mul_f64 v[15:16], v[17:18], v[19:20]
	ds_bpermute_b32 v19, v63, v5 offset:4
	ds_bpermute_b32 v20, v63, v6 offset:4
	v_mul_f64 v[17:18], v[29:30], v[31:32]
	s_waitcnt lgkmcnt(0)
	v_fma_f64 v[11:12], v[13:14], v[19:20], v[11:12]
	ds_bpermute_b32 v13, v63, v5 offset:8
	ds_bpermute_b32 v14, v63, v6 offset:8
	v_mul_f64 v[19:20], v[21:22], v[23:24]
	s_waitcnt lgkmcnt(0)
	v_fma_f64 v[11:12], v[15:16], v[13:14], v[11:12]
	buffer_load_dword v15, off, s[36:39], 0 offset:336 ; 4-byte Folded Reload
	buffer_load_dword v16, off, s[36:39], 0 offset:340 ; 4-byte Folded Reload
	ds_bpermute_b32 v13, v63, v5 offset:12
	ds_bpermute_b32 v14, v63, v6 offset:12
	s_waitcnt lgkmcnt(0)
	v_fma_f64 v[11:12], v[19:20], v[13:14], v[11:12]
	ds_bpermute_b32 v13, v63, v5 offset:16
	ds_bpermute_b32 v14, v63, v6 offset:16
	s_waitcnt vmcnt(0)
	v_mul_f64 v[15:16], v[15:16], v[25:26]
	s_waitcnt lgkmcnt(0)
	v_fma_f64 v[11:12], v[15:16], v[13:14], v[11:12]
	ds_bpermute_b32 v13, v63, v5 offset:20
	ds_bpermute_b32 v14, v63, v6 offset:20
	v_mul_f64 v[15:16], v[27:28], v[33:34]
	s_waitcnt lgkmcnt(0)
	v_fma_f64 v[11:12], v[17:18], v[13:14], v[11:12]
	ds_bpermute_b32 v13, v63, v5 offset:24
	ds_bpermute_b32 v14, v63, v6 offset:24
	;; [unrolled: 5-line block ×7, first 2 shown]
	s_waitcnt lgkmcnt(0)
	v_fma_f64 v[11:12], v[17:18], v[13:14], v[11:12]
	ds_bpermute_b32 v13, v63, v5 offset:48
	ds_bpermute_b32 v14, v63, v6 offset:48
	s_waitcnt lgkmcnt(0)
	v_fma_f64 v[0:1], v[0:1], v[13:14], v[11:12]
	ds_bpermute_b32 v11, v63, v5 offset:52
	ds_bpermute_b32 v12, v63, v6 offset:52
	s_waitcnt lgkmcnt(0)
	v_fma_f64 v[0:1], v[7:8], v[11:12], v[0:1]
	v_mul_f64 v[7:8], v[59:60], v[9:10]
	ds_bpermute_b32 v9, v63, v5 offset:56
	ds_bpermute_b32 v10, v63, v6 offset:56
	;; [unrolled: 1-line block ×4, first 2 shown]
	s_waitcnt lgkmcnt(2)
	v_fma_f64 v[0:1], v[7:8], v[9:10], v[0:1]
.LBB128_79:                             ;   in Loop: Header=BB128_3 Depth=1
	s_waitcnt lgkmcnt(0)
	v_fma_f64 v[5:6], v[41:42], v[5:6], v[0:1]
	buffer_load_dword v0, off, s[36:39], 0  ; 4-byte Folded Reload
	buffer_load_dword v1, off, s[36:39], 0 offset:4 ; 4-byte Folded Reload
	s_add_u32 s28, s28, s7
	s_addc_u32 s29, s29, 0
	s_add_u32 s26, s26, s7
	s_addc_u32 s27, s27, 0
	s_waitcnt vmcnt(1)
	v_add_co_u32_e32 v0, vcc, s24, v0
	buffer_store_dword v0, off, s[36:39], 0 ; 4-byte Folded Spill
	v_mov_b32_e32 v0, s25
	s_waitcnt vmcnt(1)
	v_addc_co_u32_e32 v1, vcc, v1, v0, vcc
	buffer_store_dword v1, off, s[36:39], 0 offset:4 ; 4-byte Folded Spill
	buffer_load_dword v1, off, s[36:39], 0 offset:8 ; 4-byte Folded Reload
	s_waitcnt vmcnt(0)
	v_add_co_u32_e32 v1, vcc, s24, v1
	buffer_store_dword v1, off, s[36:39], 0 offset:8 ; 4-byte Folded Spill
	buffer_load_dword v1, off, s[36:39], 0 offset:12 ; 4-byte Folded Reload
	s_waitcnt vmcnt(0)
	v_addc_co_u32_e32 v1, vcc, v1, v0, vcc
	buffer_store_dword v1, off, s[36:39], 0 offset:12 ; 4-byte Folded Spill
	buffer_load_dword v1, off, s[36:39], 0 offset:16 ; 4-byte Folded Reload
	s_waitcnt vmcnt(0)
	v_add_co_u32_e32 v1, vcc, s24, v1
	buffer_store_dword v1, off, s[36:39], 0 offset:16 ; 4-byte Folded Spill
	buffer_load_dword v1, off, s[36:39], 0 offset:24 ; 4-byte Folded Reload
	;; [unrolled: 8-line block ×30, first 2 shown]
	s_waitcnt vmcnt(0)
	v_addc_co_u32_e32 v1, vcc, v1, v0, vcc
	buffer_store_dword v1, off, s[36:39], 0 offset:300 ; 4-byte Folded Spill
	buffer_load_dword v1, off, s[36:39], 0 offset:304 ; 4-byte Folded Reload
	s_waitcnt vmcnt(0)
	v_add_co_u32_e32 v1, vcc, s24, v1
	buffer_store_dword v1, off, s[36:39], 0 offset:304 ; 4-byte Folded Spill
	v_addc_co_u32_e32 v2, vcc, v2, v0, vcc
	v_mov_b32_e32 v0, s12
	v_mov_b32_e32 v1, s13
	v_cmp_lt_i64_e32 vcc, s[28:29], v[0:1]
	s_cbranch_vccz .LBB128_82
; %bb.80:                               ;   in Loop: Header=BB128_3 Depth=1
	buffer_store_dword v5, off, s[36:39], 0 offset:312 ; 4-byte Folded Spill
	s_nop 0
	buffer_store_dword v6, off, s[36:39], 0 offset:316 ; 4-byte Folded Spill
	s_branch .LBB128_3
.LBB128_81:
                                        ; implicit-def: $vgpr5_vgpr6
	s_branch .LBB128_84
.LBB128_82:
	buffer_load_dword v15, off, s[36:39], 0 offset:352 ; 4-byte Folded Reload
.LBB128_83:
	s_cbranch_execnz .LBB128_133
.LBB128_84:
	v_mov_b32_e32 v5, 0
	v_mov_b32_e32 v6, 0
	s_and_b64 vcc, exec, s[0:1]
	s_cbranch_vccnz .LBB128_133
; %bb.85:
	buffer_load_dword v5, off, s[36:39], 0 offset:308 ; 4-byte Folded Reload
	s_load_dword s7, s[4:5], 0x44
	s_add_u32 s2, s4, 64
	s_addc_u32 s3, s5, 0
	v_mov_b32_e32 v4, s17
	v_mov_b32_e32 v11, s15
	s_waitcnt lgkmcnt(0)
	s_lshl_b32 s7, s7, 8
	s_waitcnt vmcnt(1)
	v_mov_b32_e32 v63, v15
	s_waitcnt vmcnt(0)
	v_lshlrev_b32_e32 v0, 4, v5
	v_add_co_u32_e32 v6, vcc, s20, v0
	v_addc_co_u32_e64 v7, s[0:1], 0, 0, vcc
	buffer_store_dword v0, off, s[36:39], 0 offset:564 ; 4-byte Folded Spill
	v_mul_lo_u32 v0, s15, v6
	v_mul_lo_u32 v1, s14, v7
	v_mad_u64_u32 v[2:3], s[0:1], s14, v6, 0
	s_mul_i32 s0, s15, s7
	s_mul_hi_u32 s1, s14, s7
	v_add3_u32 v3, v3, v1, v0
	v_lshlrev_b64 v[0:1], 3, v[2:3]
	s_add_i32 s1, s1, s0
	v_add_co_u32_e32 v8, vcc, s16, v0
	v_addc_co_u32_e32 v4, vcc, v4, v1, vcc
	s_mul_i32 s0, s14, s7
	buffer_store_dword v4, off, s[36:39], 0 offset:4 ; 4-byte Folded Spill
	s_lshl_b64 s[8:9], s[0:1], 3
	v_mov_b32_e32 v4, s19
	v_add_co_u32_e32 v0, vcc, s18, v0
	buffer_store_dword v0, off, s[36:39], 0 offset:8 ; 4-byte Folded Spill
	v_addc_co_u32_e32 v0, vcc, v4, v1, vcc
	s_add_u32 s22, s20, 0xff
	buffer_store_dword v0, off, s[36:39], 0 offset:12 ; 4-byte Folded Spill
	s_addc_u32 s23, 0, 0
	v_lshlrev_b32_e32 v0, 7, v5
	s_lshl_b64 s[0:1], s[20:21], 3
	buffer_store_dword v8, off, s[36:39], 0 ; 4-byte Folded Spill
	v_mov_b32_e32 v1, s1
	v_add_co_u32_e32 v8, vcc, s0, v0
	v_addc_co_u32_e32 v9, vcc, 0, v1, vcc
	v_add_co_u32_e32 v10, vcc, 8, v8
	v_addc_co_u32_e32 v4, vcc, 0, v9, vcc
	v_mov_b32_e32 v0, s16
	v_mul_lo_u32 v12, s14, v4
	v_mov_b32_e32 v4, s18
	v_mov_b32_e32 v1, s17
	;; [unrolled: 1-line block ×3, first 2 shown]
	v_mad_u64_u32 v[16:17], s[0:1], s14, v10, v[0:1]
	v_mul_lo_u32 v13, s15, v10
	v_mad_u64_u32 v[18:19], s[0:1], s14, v10, v[4:5]
	v_add_co_u32_e32 v2, vcc, s14, v2
	v_addc_co_u32_e32 v3, vcc, v3, v11, vcc
	v_add3_u32 v17, v13, v17, v12
	v_add3_u32 v19, v13, v19, v12
	v_add_co_u32_e32 v10, vcc, 16, v8
	buffer_store_dword v16, off, s[36:39], 0 offset:16 ; 4-byte Folded Spill
	s_nop 0
	buffer_store_dword v17, off, s[36:39], 0 offset:20 ; 4-byte Folded Spill
	buffer_store_dword v18, off, s[36:39], 0 offset:24 ; 4-byte Folded Spill
	s_nop 0
	buffer_store_dword v19, off, s[36:39], 0 offset:28 ; 4-byte Folded Spill
	v_addc_co_u32_e32 v11, vcc, 0, v9, vcc
	v_mul_lo_u32 v11, s14, v11
	v_mul_lo_u32 v12, s15, v10
	v_mad_u64_u32 v[16:17], s[0:1], s14, v10, v[0:1]
	v_mad_u64_u32 v[18:19], s[0:1], s14, v10, v[4:5]
	v_add_co_u32_e32 v10, vcc, 24, v8
	v_addc_co_u32_e32 v13, vcc, 0, v9, vcc
	v_mul_lo_u32 v13, s14, v13
	v_mul_lo_u32 v14, s15, v10
	v_mad_u64_u32 v[20:21], s[0:1], s14, v10, v[0:1]
	v_mad_u64_u32 v[22:23], s[0:1], s14, v10, v[4:5]
	v_add3_u32 v17, v12, v17, v11
	v_add3_u32 v19, v12, v19, v11
	v_add_co_u32_e32 v10, vcc, 32, v8
	buffer_store_dword v16, off, s[36:39], 0 offset:32 ; 4-byte Folded Spill
	s_nop 0
	buffer_store_dword v17, off, s[36:39], 0 offset:36 ; 4-byte Folded Spill
	buffer_store_dword v18, off, s[36:39], 0 offset:40 ; 4-byte Folded Spill
	s_nop 0
	buffer_store_dword v19, off, s[36:39], 0 offset:44 ; 4-byte Folded Spill
	v_addc_co_u32_e32 v11, vcc, 0, v9, vcc
	v_add3_u32 v21, v14, v21, v13
	v_mul_lo_u32 v11, s14, v11
	v_mul_lo_u32 v12, s15, v10
	v_mad_u64_u32 v[16:17], s[0:1], s14, v10, v[0:1]
	v_mad_u64_u32 v[18:19], s[0:1], s14, v10, v[4:5]
	v_add_co_u32_e32 v10, vcc, 40, v8
	buffer_store_dword v20, off, s[36:39], 0 offset:48 ; 4-byte Folded Spill
	s_nop 0
	buffer_store_dword v21, off, s[36:39], 0 offset:52 ; 4-byte Folded Spill
	v_add3_u32 v23, v14, v23, v13
	v_addc_co_u32_e32 v13, vcc, 0, v9, vcc
	buffer_store_dword v22, off, s[36:39], 0 offset:56 ; 4-byte Folded Spill
	s_nop 0
	buffer_store_dword v23, off, s[36:39], 0 offset:60 ; 4-byte Folded Spill
	v_mul_lo_u32 v13, s14, v13
	v_mul_lo_u32 v14, s15, v10
	v_mad_u64_u32 v[20:21], s[0:1], s14, v10, v[0:1]
	v_mad_u64_u32 v[22:23], s[0:1], s14, v10, v[4:5]
	v_add3_u32 v17, v12, v17, v11
	v_add3_u32 v19, v12, v19, v11
	v_add_co_u32_e32 v10, vcc, 48, v8
	buffer_store_dword v16, off, s[36:39], 0 offset:64 ; 4-byte Folded Spill
	s_nop 0
	buffer_store_dword v17, off, s[36:39], 0 offset:68 ; 4-byte Folded Spill
	buffer_store_dword v18, off, s[36:39], 0 offset:72 ; 4-byte Folded Spill
	s_nop 0
	buffer_store_dword v19, off, s[36:39], 0 offset:76 ; 4-byte Folded Spill
	v_addc_co_u32_e32 v11, vcc, 0, v9, vcc
	v_add3_u32 v21, v14, v21, v13
	v_mul_lo_u32 v11, s14, v11
	v_mul_lo_u32 v12, s15, v10
	v_mad_u64_u32 v[16:17], s[0:1], s14, v10, v[0:1]
	v_mad_u64_u32 v[18:19], s[0:1], s14, v10, v[4:5]
	v_add_co_u32_e32 v10, vcc, 56, v8
	buffer_store_dword v20, off, s[36:39], 0 offset:80 ; 4-byte Folded Spill
	s_nop 0
	buffer_store_dword v21, off, s[36:39], 0 offset:84 ; 4-byte Folded Spill
	v_add3_u32 v23, v14, v23, v13
	v_addc_co_u32_e32 v13, vcc, 0, v9, vcc
	v_mul_lo_u32 v14, s15, v10
	v_mad_u64_u32 v[20:21], s[0:1], s14, v10, v[0:1]
	v_mad_u64_u32 v[29:30], s[0:1], s14, v10, v[4:5]
	v_add_co_u32_e32 v10, vcc, 64, v8
	v_mul_lo_u32 v13, s14, v13
	v_mad_u64_u32 v[31:32], s[0:1], s14, v10, v[0:1]
	v_mad_u64_u32 v[33:34], s[0:1], s14, v10, v[4:5]
	v_add3_u32 v17, v12, v17, v11
	v_add3_u32 v19, v12, v19, v11
	v_addc_co_u32_e32 v11, vcc, 0, v9, vcc
	s_movk_i32 s0, 0x48
	v_mul_lo_u32 v11, s14, v11
	v_mul_lo_u32 v12, s15, v10
	v_add_co_u32_e32 v10, vcc, s0, v8
	v_mad_u64_u32 v[35:36], s[0:1], s14, v10, v[0:1]
	v_mad_u64_u32 v[37:38], s[0:1], s14, v10, v[4:5]
	v_add3_u32 v21, v14, v21, v13
	v_add3_u32 v30, v14, v30, v13
	v_addc_co_u32_e32 v13, vcc, 0, v9, vcc
	s_movk_i32 s0, 0x50
	v_mul_lo_u32 v14, s15, v10
	v_add_co_u32_e32 v10, vcc, s0, v8
	v_add3_u32 v32, v12, v32, v11
	v_add3_u32 v34, v12, v34, v11
	v_addc_co_u32_e32 v11, vcc, 0, v9, vcc
	v_mul_lo_u32 v11, s14, v11
	v_mul_lo_u32 v12, s15, v10
	v_mad_u64_u32 v[39:40], s[0:1], s14, v10, v[0:1]
	v_mad_u64_u32 v[41:42], s[0:1], s14, v10, v[4:5]
	s_movk_i32 s0, 0x58
	v_add_co_u32_e32 v10, vcc, s0, v8
	v_add3_u32 v40, v12, v40, v11
	v_add3_u32 v42, v12, v42, v11
	v_addc_co_u32_e32 v11, vcc, 0, v9, vcc
	v_mul_lo_u32 v11, s14, v11
	v_mul_lo_u32 v12, s15, v10
	v_mad_u64_u32 v[43:44], s[0:1], s14, v10, v[0:1]
	v_mad_u64_u32 v[45:46], s[0:1], s14, v10, v[4:5]
	s_movk_i32 s0, 0x60
	;; [unrolled: 9-line block ×4, first 2 shown]
	v_add_co_u32_e32 v10, vcc, s0, v8
	v_mad_u64_u32 v[55:56], s[0:1], s14, v10, v[0:1]
	v_mad_u64_u32 v[57:58], s[0:1], s14, v10, v[4:5]
	v_add3_u32 v52, v12, v52, v11
	v_add3_u32 v54, v12, v54, v11
	v_addc_co_u32_e32 v11, vcc, 0, v9, vcc
	s_movk_i32 s0, 0x78
	v_add_co_u32_e32 v8, vcc, s0, v8
	v_addc_co_u32_e32 v9, vcc, 0, v9, vcc
	v_mad_u64_u32 v[59:60], s[0:1], s14, v8, v[0:1]
	v_mul_lo_u32 v0, s14, v9
	v_mad_u64_u32 v[61:62], s[0:1], s14, v8, v[4:5]
	v_mul_lo_u32 v1, s15, v8
	buffer_store_dword v22, off, s[36:39], 0 offset:88 ; 4-byte Folded Spill
	s_nop 0
	buffer_store_dword v23, off, s[36:39], 0 offset:92 ; 4-byte Folded Spill
	buffer_store_dword v16, off, s[36:39], 0 offset:96 ; 4-byte Folded Spill
	s_nop 0
	buffer_store_dword v17, off, s[36:39], 0 offset:100 ; 4-byte Folded Spill
	;; [unrolled: 3-line block ×3, first 2 shown]
	v_add3_u32 v60, v1, v60, v0
	v_add3_u32 v62, v1, v62, v0
	v_add_co_u32_e32 v0, vcc, 15, v6
	v_addc_co_u32_e32 v1, vcc, 0, v7, vcc
	v_mul_lo_u32 v4, s14, v1
	v_mul_lo_u32 v5, s15, v0
	v_mad_u64_u32 v[0:1], s[0:1], s14, v0, 0
	buffer_store_dword v20, off, s[36:39], 0 offset:112 ; 4-byte Folded Spill
	s_nop 0
	buffer_store_dword v21, off, s[36:39], 0 offset:116 ; 4-byte Folded Spill
	v_mul_lo_u32 v13, s14, v13
	v_add3_u32 v1, v1, v4, v5
	v_lshlrev_b64 v[0:1], 3, v[0:1]
	v_mov_b32_e32 v4, s17
	v_add_co_u32_e32 v5, vcc, s16, v0
	v_addc_co_u32_e32 v4, vcc, v4, v1, vcc
	buffer_store_dword v4, off, s[36:39], 0 offset:132 ; 4-byte Folded Spill
	v_mov_b32_e32 v4, s19
	v_add_co_u32_e32 v0, vcc, s18, v0
	buffer_store_dword v0, off, s[36:39], 0 offset:136 ; 4-byte Folded Spill
	v_addc_co_u32_e32 v0, vcc, v4, v1, vcc
	buffer_store_dword v0, off, s[36:39], 0 offset:140 ; 4-byte Folded Spill
	v_add_co_u32_e32 v0, vcc, 14, v6
	v_addc_co_u32_e32 v1, vcc, 0, v7, vcc
	buffer_store_dword v5, off, s[36:39], 0 offset:128 ; 4-byte Folded Spill
	v_mul_lo_u32 v4, s14, v1
	v_mul_lo_u32 v5, s15, v0
	v_mad_u64_u32 v[0:1], s[0:1], s14, v0, 0
	v_mul_lo_u32 v11, s14, v11
	v_mul_lo_u32 v12, s15, v10
	v_add3_u32 v1, v1, v4, v5
	v_lshlrev_b64 v[0:1], 3, v[0:1]
	v_mov_b32_e32 v4, s17
	v_add_co_u32_e32 v5, vcc, s16, v0
	v_addc_co_u32_e32 v4, vcc, v4, v1, vcc
	buffer_store_dword v4, off, s[36:39], 0 offset:148 ; 4-byte Folded Spill
	v_mov_b32_e32 v4, s19
	v_add_co_u32_e32 v0, vcc, s18, v0
	buffer_store_dword v0, off, s[36:39], 0 offset:152 ; 4-byte Folded Spill
	v_addc_co_u32_e32 v0, vcc, v4, v1, vcc
	buffer_store_dword v0, off, s[36:39], 0 offset:156 ; 4-byte Folded Spill
	v_add_co_u32_e32 v0, vcc, 13, v6
	v_addc_co_u32_e32 v1, vcc, 0, v7, vcc
	buffer_store_dword v5, off, s[36:39], 0 offset:144 ; 4-byte Folded Spill
	v_mul_lo_u32 v4, s14, v1
	v_mul_lo_u32 v5, s15, v0
	v_mad_u64_u32 v[0:1], s[0:1], s14, v0, 0
	v_add3_u32 v36, v14, v36, v13
	v_add3_u32 v38, v14, v38, v13
	;; [unrolled: 1-line block ×3, first 2 shown]
	v_lshlrev_b64 v[0:1], 3, v[0:1]
	v_mov_b32_e32 v4, s17
	v_add_co_u32_e32 v5, vcc, s16, v0
	v_addc_co_u32_e32 v4, vcc, v4, v1, vcc
	buffer_store_dword v4, off, s[36:39], 0 offset:164 ; 4-byte Folded Spill
	v_mov_b32_e32 v4, s19
	v_add_co_u32_e32 v0, vcc, s18, v0
	buffer_store_dword v0, off, s[36:39], 0 offset:168 ; 4-byte Folded Spill
	v_addc_co_u32_e32 v0, vcc, v4, v1, vcc
	buffer_store_dword v0, off, s[36:39], 0 offset:172 ; 4-byte Folded Spill
	v_add_co_u32_e32 v0, vcc, 12, v6
	v_addc_co_u32_e32 v1, vcc, 0, v7, vcc
	buffer_store_dword v5, off, s[36:39], 0 offset:160 ; 4-byte Folded Spill
	v_mul_lo_u32 v4, s14, v1
	v_mul_lo_u32 v5, s15, v0
	v_mad_u64_u32 v[0:1], s[0:1], s14, v0, 0
	v_add3_u32 v56, v12, v56, v11
	v_add3_u32 v58, v12, v58, v11
	;; [unrolled: 1-line block ×3, first 2 shown]
	v_lshlrev_b64 v[0:1], 3, v[0:1]
	v_mov_b32_e32 v4, s17
	v_add_co_u32_e32 v5, vcc, s16, v0
	v_addc_co_u32_e32 v4, vcc, v4, v1, vcc
	buffer_store_dword v4, off, s[36:39], 0 offset:180 ; 4-byte Folded Spill
	v_mov_b32_e32 v4, s19
	v_add_co_u32_e32 v0, vcc, s18, v0
	buffer_store_dword v0, off, s[36:39], 0 offset:184 ; 4-byte Folded Spill
	v_addc_co_u32_e32 v0, vcc, v4, v1, vcc
	buffer_store_dword v0, off, s[36:39], 0 offset:188 ; 4-byte Folded Spill
	v_add_co_u32_e32 v0, vcc, 11, v6
	v_addc_co_u32_e32 v1, vcc, 0, v7, vcc
	buffer_store_dword v5, off, s[36:39], 0 offset:176 ; 4-byte Folded Spill
	v_mul_lo_u32 v4, s14, v1
	v_mul_lo_u32 v5, s15, v0
	v_mad_u64_u32 v[0:1], s[0:1], s14, v0, 0
	v_add3_u32 v1, v1, v4, v5
	v_lshlrev_b64 v[0:1], 3, v[0:1]
	v_mov_b32_e32 v4, s17
	v_add_co_u32_e32 v5, vcc, s16, v0
	v_addc_co_u32_e32 v4, vcc, v4, v1, vcc
	buffer_store_dword v4, off, s[36:39], 0 offset:196 ; 4-byte Folded Spill
	v_mov_b32_e32 v4, s19
	v_add_co_u32_e32 v0, vcc, s18, v0
	buffer_store_dword v0, off, s[36:39], 0 offset:200 ; 4-byte Folded Spill
	v_addc_co_u32_e32 v0, vcc, v4, v1, vcc
	buffer_store_dword v0, off, s[36:39], 0 offset:204 ; 4-byte Folded Spill
	v_add_co_u32_e32 v0, vcc, 10, v6
	v_addc_co_u32_e32 v1, vcc, 0, v7, vcc
	buffer_store_dword v5, off, s[36:39], 0 offset:192 ; 4-byte Folded Spill
	v_mul_lo_u32 v4, s14, v1
	v_mul_lo_u32 v5, s15, v0
	v_mad_u64_u32 v[0:1], s[0:1], s14, v0, 0
	v_add3_u32 v1, v1, v4, v5
	;; [unrolled: 17-line block ×10, first 2 shown]
	v_lshlrev_b64 v[0:1], 3, v[0:1]
	v_mov_b32_e32 v4, s17
	v_add_co_u32_e32 v5, vcc, s16, v0
	v_addc_co_u32_e32 v4, vcc, v4, v1, vcc
	buffer_store_dword v4, off, s[36:39], 0 offset:368 ; 4-byte Folded Spill
	v_mov_b32_e32 v4, s19
	v_add_co_u32_e32 v0, vcc, s18, v0
	buffer_store_dword v0, off, s[36:39], 0 offset:372 ; 4-byte Folded Spill
	v_addc_co_u32_e32 v0, vcc, v4, v1, vcc
	buffer_store_dword v0, off, s[36:39], 0 offset:376 ; 4-byte Folded Spill
	v_lshlrev_b64 v[0:1], 3, v[2:3]
	v_mov_b32_e32 v2, s17
	v_add_co_u32_e32 v3, vcc, s16, v0
	v_addc_co_u32_e32 v2, vcc, v2, v1, vcc
	buffer_store_dword v2, off, s[36:39], 0 offset:384 ; 4-byte Folded Spill
	v_mov_b32_e32 v2, s19
	v_add_co_u32_e32 v0, vcc, s18, v0
	buffer_store_dword v0, off, s[36:39], 0 offset:388 ; 4-byte Folded Spill
	v_addc_co_u32_e32 v0, vcc, v2, v1, vcc
	buffer_store_dword v0, off, s[36:39], 0 offset:392 ; 4-byte Folded Spill
	v_mbcnt_lo_u32_b32 v0, -1, 0
	buffer_store_dword v3, off, s[36:39], 0 offset:380 ; 4-byte Folded Spill
	v_mov_b32_e32 v3, 0
	v_mbcnt_hi_u32_b32 v0, -1, v0
	v_lshlrev_b32_e32 v0, 2, v0
	v_mov_b32_e32 v1, v3
	buffer_store_dword v5, off, s[36:39], 0 offset:360 ; 4-byte Folded Spill
	v_add_u32_e32 v2, s33, v15
	v_and_b32_e32 v16, 0x100, v0
	buffer_store_dword v0, off, s[36:39], 0 offset:568 ; 4-byte Folded Spill
	s_nop 0
	buffer_store_dword v1, off, s[36:39], 0 offset:572 ; 4-byte Folded Spill
	v_lshlrev_b64 v[2:3], 3, v[2:3]
	v_mov_b32_e32 v0, 0
	v_mov_b32_e32 v1, 0
	buffer_store_dword v0, off, s[36:39], 0 offset:120 ; 4-byte Folded Spill
	s_nop 0
	buffer_store_dword v1, off, s[36:39], 0 offset:124 ; 4-byte Folded Spill
.LBB128_86:                             ; =>This Inner Loop Header: Depth=1
	v_mov_b32_e32 v0, s12
	v_mov_b32_e32 v1, s13
	v_cmp_ge_i64_e32 vcc, s[22:23], v[0:1]
	buffer_load_dword v1, off, s[36:39], 0 offset:564 ; 4-byte Folded Reload
	v_mov_b32_e32 v0, s23
	s_and_b64 vcc, exec, vcc
                                        ; implicit-def: $vgpr5_vgpr6
	s_waitcnt vmcnt(0)
	v_add_co_u32_e64 v17, s[0:1], s22, v1
	v_addc_co_u32_e64 v18, s[0:1], 0, v0, s[0:1]
	s_mov_b64 s[0:1], -1
	s_cbranch_vccz .LBB128_124
; %bb.87:                               ;   in Loop: Header=BB128_86 Depth=1
	buffer_load_dword v0, off, s[36:39], 0 offset:308 ; 4-byte Folded Reload
	s_load_dword s0, s[2:3], 0xc
	v_mov_b32_e32 v19, 0
	v_mov_b32_e32 v20, 0
	s_waitcnt lgkmcnt(0)
	s_and_b32 s0, s0, 0xffff
	s_waitcnt vmcnt(0)
	v_mad_u32_u24 v0, v0, s0, v63
	v_and_b32_e32 v4, 63, v0
	v_mov_b32_e32 v0, 0
	v_mov_b32_e32 v1, 0
	v_cmp_gt_u32_e32 vcc, 16, v4
	s_and_saveexec_b64 s[0:1], vcc
	s_cbranch_execz .LBB128_91
; %bb.88:                               ;   in Loop: Header=BB128_86 Depth=1
	v_add_co_u32_e32 v0, vcc, v17, v4
	v_addc_co_u32_e32 v1, vcc, 0, v18, vcc
	v_add_co_u32_e32 v4, vcc, 0xffffff01, v0
	v_addc_co_u32_e32 v5, vcc, -1, v1, vcc
	v_cmp_gt_i64_e32 vcc, s[12:13], v[4:5]
	v_mov_b32_e32 v0, 0
	v_mov_b32_e32 v1, 0
	s_and_saveexec_b64 s[16:17], vcc
	s_cbranch_execz .LBB128_90
; %bb.89:                               ;   in Loop: Header=BB128_86 Depth=1
	v_lshlrev_b64 v[0:1], 3, v[4:5]
	v_mov_b32_e32 v4, s11
	v_add_co_u32_e32 v0, vcc, s10, v0
	v_addc_co_u32_e32 v1, vcc, v4, v1, vcc
	global_load_dwordx2 v[0:1], v[0:1], off
.LBB128_90:                             ;   in Loop: Header=BB128_86 Depth=1
	s_or_b64 exec, exec, s[16:17]
.LBB128_91:                             ;   in Loop: Header=BB128_86 Depth=1
	s_or_b64 exec, exec, s[0:1]
	v_add_co_u32_e32 v4, vcc, 0xffffff01, v17
	v_addc_co_u32_e32 v5, vcc, -1, v18, vcc
	v_cmp_gt_i64_e32 vcc, s[12:13], v[4:5]
	v_mov_b32_e32 v23, 0
	v_mov_b32_e32 v24, 0
	s_and_saveexec_b64 s[0:1], vcc
	s_cbranch_execz .LBB128_93
; %bb.92:                               ;   in Loop: Header=BB128_86 Depth=1
	buffer_load_dword v4, off, s[36:39], 0  ; 4-byte Folded Reload
	buffer_load_dword v5, off, s[36:39], 0 offset:4 ; 4-byte Folded Reload
	s_waitcnt vmcnt(1)
	v_add_co_u32_e32 v4, vcc, v4, v2
	s_waitcnt vmcnt(0)
	v_addc_co_u32_e32 v5, vcc, v5, v3, vcc
	global_load_dwordx2 v[19:20], v[4:5], off
	s_nop 0
	buffer_load_dword v4, off, s[36:39], 0 offset:8 ; 4-byte Folded Reload
	buffer_load_dword v5, off, s[36:39], 0 offset:12 ; 4-byte Folded Reload
	s_waitcnt vmcnt(1)
	v_add_co_u32_e32 v4, vcc, v4, v2
	s_waitcnt vmcnt(0)
	v_addc_co_u32_e32 v5, vcc, v5, v3, vcc
	global_load_dwordx2 v[23:24], v[4:5], off
.LBB128_93:                             ;   in Loop: Header=BB128_86 Depth=1
	s_or_b64 exec, exec, s[0:1]
	v_add_co_u32_e32 v4, vcc, 0xffffff02, v17
	v_addc_co_u32_e32 v5, vcc, -1, v18, vcc
	v_cmp_gt_i64_e32 vcc, s[12:13], v[4:5]
	v_mov_b32_e32 v27, 0
	v_mov_b32_e32 v21, 0
	;; [unrolled: 1-line block ×6, first 2 shown]
	s_and_saveexec_b64 s[0:1], vcc
	s_cbranch_execz .LBB128_95
; %bb.94:                               ;   in Loop: Header=BB128_86 Depth=1
	buffer_load_dword v4, off, s[36:39], 0 offset:380 ; 4-byte Folded Reload
	buffer_load_dword v5, off, s[36:39], 0 offset:384 ; 4-byte Folded Reload
	s_waitcnt vmcnt(1)
	v_add_co_u32_e32 v4, vcc, v4, v2
	s_waitcnt vmcnt(0)
	v_addc_co_u32_e32 v5, vcc, v5, v3, vcc
	global_load_dwordx2 v[21:22], v[4:5], off
	s_nop 0
	buffer_load_dword v4, off, s[36:39], 0 offset:388 ; 4-byte Folded Reload
	buffer_load_dword v5, off, s[36:39], 0 offset:392 ; 4-byte Folded Reload
	s_waitcnt vmcnt(1)
	v_add_co_u32_e32 v4, vcc, v4, v2
	s_waitcnt vmcnt(0)
	v_addc_co_u32_e32 v5, vcc, v5, v3, vcc
	global_load_dwordx2 v[25:26], v[4:5], off
.LBB128_95:                             ;   in Loop: Header=BB128_86 Depth=1
	s_or_b64 exec, exec, s[0:1]
	v_add_co_u32_e32 v4, vcc, 0xffffff03, v17
	v_addc_co_u32_e32 v5, vcc, -1, v18, vcc
	v_cmp_gt_i64_e32 vcc, s[12:13], v[4:5]
	v_mov_b32_e32 v4, 0
	v_mov_b32_e32 v5, 0
	buffer_store_dword v4, off, s[36:39], 0 offset:396 ; 4-byte Folded Spill
	s_nop 0
	buffer_store_dword v5, off, s[36:39], 0 offset:400 ; 4-byte Folded Spill
	s_and_saveexec_b64 s[0:1], vcc
	s_cbranch_execz .LBB128_97
; %bb.96:                               ;   in Loop: Header=BB128_86 Depth=1
	buffer_load_dword v4, off, s[36:39], 0 offset:360 ; 4-byte Folded Reload
	buffer_load_dword v5, off, s[36:39], 0 offset:368 ; 4-byte Folded Reload
	s_waitcnt vmcnt(1)
	v_add_co_u32_e32 v4, vcc, v4, v2
	s_waitcnt vmcnt(0)
	v_addc_co_u32_e32 v5, vcc, v5, v3, vcc
	global_load_dwordx2 v[27:28], v[4:5], off
	s_nop 0
	buffer_load_dword v4, off, s[36:39], 0 offset:372 ; 4-byte Folded Reload
	buffer_load_dword v5, off, s[36:39], 0 offset:376 ; 4-byte Folded Reload
	s_waitcnt vmcnt(1)
	v_add_co_u32_e32 v4, vcc, v4, v2
	s_waitcnt vmcnt(0)
	v_addc_co_u32_e32 v5, vcc, v5, v3, vcc
	global_load_dwordx2 v[4:5], v[4:5], off
	s_waitcnt vmcnt(0)
	buffer_store_dword v4, off, s[36:39], 0 offset:396 ; 4-byte Folded Spill
	s_nop 0
	buffer_store_dword v5, off, s[36:39], 0 offset:400 ; 4-byte Folded Spill
.LBB128_97:                             ;   in Loop: Header=BB128_86 Depth=1
	s_or_b64 exec, exec, s[0:1]
	v_add_co_u32_e32 v4, vcc, 0xffffff04, v17
	v_addc_co_u32_e32 v5, vcc, -1, v18, vcc
	v_cmp_gt_i64_e32 vcc, s[12:13], v[4:5]
	v_mov_b32_e32 v4, 0
	v_mov_b32_e32 v5, 0
	buffer_store_dword v4, off, s[36:39], 0 offset:404 ; 4-byte Folded Spill
	s_nop 0
	buffer_store_dword v5, off, s[36:39], 0 offset:408 ; 4-byte Folded Spill
	v_mov_b32_e32 v4, 0
	v_mov_b32_e32 v5, 0
	buffer_store_dword v4, off, s[36:39], 0 offset:412 ; 4-byte Folded Spill
	s_nop 0
	buffer_store_dword v5, off, s[36:39], 0 offset:416 ; 4-byte Folded Spill
	;; [unrolled: 5-line block ×3, first 2 shown]
	s_and_saveexec_b64 s[0:1], vcc
	s_cbranch_execz .LBB128_99
; %bb.98:                               ;   in Loop: Header=BB128_86 Depth=1
	buffer_load_dword v4, off, s[36:39], 0 offset:336 ; 4-byte Folded Reload
	buffer_load_dword v5, off, s[36:39], 0 offset:344 ; 4-byte Folded Reload
	s_waitcnt vmcnt(1)
	v_add_co_u32_e32 v4, vcc, v4, v2
	s_waitcnt vmcnt(0)
	v_addc_co_u32_e32 v5, vcc, v5, v3, vcc
	global_load_dwordx2 v[4:5], v[4:5], off
	s_waitcnt vmcnt(0)
	buffer_store_dword v4, off, s[36:39], 0 offset:412 ; 4-byte Folded Spill
	s_nop 0
	buffer_store_dword v5, off, s[36:39], 0 offset:416 ; 4-byte Folded Spill
	buffer_load_dword v4, off, s[36:39], 0 offset:352 ; 4-byte Folded Reload
	s_nop 0
	buffer_load_dword v5, off, s[36:39], 0 offset:356 ; 4-byte Folded Reload
	s_waitcnt vmcnt(1)
	v_add_co_u32_e32 v4, vcc, v4, v2
	s_waitcnt vmcnt(0)
	v_addc_co_u32_e32 v5, vcc, v5, v3, vcc
	global_load_dwordx2 v[4:5], v[4:5], off
	s_waitcnt vmcnt(0)
	buffer_store_dword v4, off, s[36:39], 0 offset:420 ; 4-byte Folded Spill
	s_nop 0
	buffer_store_dword v5, off, s[36:39], 0 offset:424 ; 4-byte Folded Spill
.LBB128_99:                             ;   in Loop: Header=BB128_86 Depth=1
	s_or_b64 exec, exec, s[0:1]
	v_add_co_u32_e32 v4, vcc, 0xffffff05, v17
	v_addc_co_u32_e32 v5, vcc, -1, v18, vcc
	v_cmp_gt_i64_e32 vcc, s[12:13], v[4:5]
	v_mov_b32_e32 v4, 0
	v_mov_b32_e32 v5, 0
	buffer_store_dword v4, off, s[36:39], 0 offset:428 ; 4-byte Folded Spill
	s_nop 0
	buffer_store_dword v5, off, s[36:39], 0 offset:432 ; 4-byte Folded Spill
	s_and_saveexec_b64 s[0:1], vcc
	s_cbranch_execz .LBB128_101
; %bb.100:                              ;   in Loop: Header=BB128_86 Depth=1
	buffer_load_dword v4, off, s[36:39], 0 offset:304 ; 4-byte Folded Reload
	buffer_load_dword v5, off, s[36:39], 0 offset:312 ; 4-byte Folded Reload
	s_waitcnt vmcnt(1)
	v_add_co_u32_e32 v4, vcc, v4, v2
	s_waitcnt vmcnt(0)
	v_addc_co_u32_e32 v5, vcc, v5, v3, vcc
	global_load_dwordx2 v[4:5], v[4:5], off
	s_waitcnt vmcnt(0)
	buffer_store_dword v4, off, s[36:39], 0 offset:404 ; 4-byte Folded Spill
	s_nop 0
	buffer_store_dword v5, off, s[36:39], 0 offset:408 ; 4-byte Folded Spill
	buffer_load_dword v4, off, s[36:39], 0 offset:320 ; 4-byte Folded Reload
	s_nop 0
	buffer_load_dword v5, off, s[36:39], 0 offset:328 ; 4-byte Folded Reload
	s_waitcnt vmcnt(1)
	v_add_co_u32_e32 v4, vcc, v4, v2
	s_waitcnt vmcnt(0)
	v_addc_co_u32_e32 v5, vcc, v5, v3, vcc
	global_load_dwordx2 v[4:5], v[4:5], off
	s_waitcnt vmcnt(0)
	buffer_store_dword v4, off, s[36:39], 0 offset:428 ; 4-byte Folded Spill
	s_nop 0
	buffer_store_dword v5, off, s[36:39], 0 offset:432 ; 4-byte Folded Spill
.LBB128_101:                            ;   in Loop: Header=BB128_86 Depth=1
	s_or_b64 exec, exec, s[0:1]
	v_add_co_u32_e32 v4, vcc, 0xffffff06, v17
	v_addc_co_u32_e32 v5, vcc, -1, v18, vcc
	v_cmp_gt_i64_e32 vcc, s[12:13], v[4:5]
	v_mov_b32_e32 v4, 0
	v_mov_b32_e32 v5, 0
	buffer_store_dword v4, off, s[36:39], 0 offset:436 ; 4-byte Folded Spill
	s_nop 0
	buffer_store_dword v5, off, s[36:39], 0 offset:440 ; 4-byte Folded Spill
	v_mov_b32_e32 v4, 0
	v_mov_b32_e32 v5, 0
	buffer_store_dword v4, off, s[36:39], 0 offset:444 ; 4-byte Folded Spill
	s_nop 0
	buffer_store_dword v5, off, s[36:39], 0 offset:448 ; 4-byte Folded Spill
	;; [unrolled: 5-line block ×3, first 2 shown]
	s_and_saveexec_b64 s[0:1], vcc
	s_cbranch_execz .LBB128_103
; %bb.102:                              ;   in Loop: Header=BB128_86 Depth=1
	buffer_load_dword v4, off, s[36:39], 0 offset:288 ; 4-byte Folded Reload
	buffer_load_dword v5, off, s[36:39], 0 offset:292 ; 4-byte Folded Reload
	s_waitcnt vmcnt(1)
	v_add_co_u32_e32 v4, vcc, v4, v2
	s_waitcnt vmcnt(0)
	v_addc_co_u32_e32 v5, vcc, v5, v3, vcc
	global_load_dwordx2 v[4:5], v[4:5], off
	s_waitcnt vmcnt(0)
	buffer_store_dword v4, off, s[36:39], 0 offset:444 ; 4-byte Folded Spill
	s_nop 0
	buffer_store_dword v5, off, s[36:39], 0 offset:448 ; 4-byte Folded Spill
	buffer_load_dword v4, off, s[36:39], 0 offset:296 ; 4-byte Folded Reload
	s_nop 0
	buffer_load_dword v5, off, s[36:39], 0 offset:300 ; 4-byte Folded Reload
	s_waitcnt vmcnt(1)
	v_add_co_u32_e32 v4, vcc, v4, v2
	s_waitcnt vmcnt(0)
	v_addc_co_u32_e32 v5, vcc, v5, v3, vcc
	global_load_dwordx2 v[4:5], v[4:5], off
	s_waitcnt vmcnt(0)
	buffer_store_dword v4, off, s[36:39], 0 offset:452 ; 4-byte Folded Spill
	s_nop 0
	buffer_store_dword v5, off, s[36:39], 0 offset:456 ; 4-byte Folded Spill
.LBB128_103:                            ;   in Loop: Header=BB128_86 Depth=1
	s_or_b64 exec, exec, s[0:1]
	v_add_co_u32_e32 v4, vcc, 0xffffff07, v17
	v_addc_co_u32_e32 v5, vcc, -1, v18, vcc
	v_cmp_gt_i64_e32 vcc, s[12:13], v[4:5]
	v_mov_b32_e32 v4, 0
	v_mov_b32_e32 v5, 0
	buffer_store_dword v4, off, s[36:39], 0 offset:460 ; 4-byte Folded Spill
	s_nop 0
	buffer_store_dword v5, off, s[36:39], 0 offset:464 ; 4-byte Folded Spill
	s_and_saveexec_b64 s[0:1], vcc
	s_cbranch_execz .LBB128_105
; %bb.104:                              ;   in Loop: Header=BB128_86 Depth=1
	buffer_load_dword v4, off, s[36:39], 0 offset:272 ; 4-byte Folded Reload
	buffer_load_dword v5, off, s[36:39], 0 offset:276 ; 4-byte Folded Reload
	s_waitcnt vmcnt(1)
	v_add_co_u32_e32 v4, vcc, v4, v2
	s_waitcnt vmcnt(0)
	v_addc_co_u32_e32 v5, vcc, v5, v3, vcc
	global_load_dwordx2 v[4:5], v[4:5], off
	s_waitcnt vmcnt(0)
	buffer_store_dword v4, off, s[36:39], 0 offset:436 ; 4-byte Folded Spill
	s_nop 0
	buffer_store_dword v5, off, s[36:39], 0 offset:440 ; 4-byte Folded Spill
	buffer_load_dword v4, off, s[36:39], 0 offset:280 ; 4-byte Folded Reload
	s_nop 0
	buffer_load_dword v5, off, s[36:39], 0 offset:284 ; 4-byte Folded Reload
	s_waitcnt vmcnt(1)
	v_add_co_u32_e32 v4, vcc, v4, v2
	s_waitcnt vmcnt(0)
	v_addc_co_u32_e32 v5, vcc, v5, v3, vcc
	global_load_dwordx2 v[4:5], v[4:5], off
	s_waitcnt vmcnt(0)
	buffer_store_dword v4, off, s[36:39], 0 offset:460 ; 4-byte Folded Spill
	s_nop 0
	buffer_store_dword v5, off, s[36:39], 0 offset:464 ; 4-byte Folded Spill
.LBB128_105:                            ;   in Loop: Header=BB128_86 Depth=1
	s_or_b64 exec, exec, s[0:1]
	v_add_co_u32_e32 v4, vcc, 0xffffff08, v17
	v_addc_co_u32_e32 v5, vcc, -1, v18, vcc
	v_cmp_gt_i64_e32 vcc, s[12:13], v[4:5]
	v_mov_b32_e32 v4, 0
	v_mov_b32_e32 v5, 0
	buffer_store_dword v4, off, s[36:39], 0 offset:468 ; 4-byte Folded Spill
	s_nop 0
	buffer_store_dword v5, off, s[36:39], 0 offset:472 ; 4-byte Folded Spill
	v_mov_b32_e32 v4, 0
	v_mov_b32_e32 v5, 0
	buffer_store_dword v4, off, s[36:39], 0 offset:476 ; 4-byte Folded Spill
	s_nop 0
	buffer_store_dword v5, off, s[36:39], 0 offset:480 ; 4-byte Folded Spill
	;; [unrolled: 5-line block ×3, first 2 shown]
	s_and_saveexec_b64 s[0:1], vcc
	s_cbranch_execz .LBB128_107
; %bb.106:                              ;   in Loop: Header=BB128_86 Depth=1
	buffer_load_dword v4, off, s[36:39], 0 offset:256 ; 4-byte Folded Reload
	buffer_load_dword v5, off, s[36:39], 0 offset:260 ; 4-byte Folded Reload
	s_waitcnt vmcnt(1)
	v_add_co_u32_e32 v4, vcc, v4, v2
	s_waitcnt vmcnt(0)
	v_addc_co_u32_e32 v5, vcc, v5, v3, vcc
	global_load_dwordx2 v[4:5], v[4:5], off
	s_waitcnt vmcnt(0)
	buffer_store_dword v4, off, s[36:39], 0 offset:476 ; 4-byte Folded Spill
	s_nop 0
	buffer_store_dword v5, off, s[36:39], 0 offset:480 ; 4-byte Folded Spill
	buffer_load_dword v4, off, s[36:39], 0 offset:264 ; 4-byte Folded Reload
	s_nop 0
	buffer_load_dword v5, off, s[36:39], 0 offset:268 ; 4-byte Folded Reload
	s_waitcnt vmcnt(1)
	v_add_co_u32_e32 v4, vcc, v4, v2
	s_waitcnt vmcnt(0)
	v_addc_co_u32_e32 v5, vcc, v5, v3, vcc
	global_load_dwordx2 v[4:5], v[4:5], off
	s_waitcnt vmcnt(0)
	buffer_store_dword v4, off, s[36:39], 0 offset:484 ; 4-byte Folded Spill
	s_nop 0
	buffer_store_dword v5, off, s[36:39], 0 offset:488 ; 4-byte Folded Spill
.LBB128_107:                            ;   in Loop: Header=BB128_86 Depth=1
	s_or_b64 exec, exec, s[0:1]
	v_add_co_u32_e32 v4, vcc, 0xffffff09, v17
	v_addc_co_u32_e32 v5, vcc, -1, v18, vcc
	v_cmp_gt_i64_e32 vcc, s[12:13], v[4:5]
	v_mov_b32_e32 v4, 0
	v_mov_b32_e32 v5, 0
	buffer_store_dword v4, off, s[36:39], 0 offset:492 ; 4-byte Folded Spill
	s_nop 0
	buffer_store_dword v5, off, s[36:39], 0 offset:496 ; 4-byte Folded Spill
	s_and_saveexec_b64 s[0:1], vcc
	s_cbranch_execz .LBB128_109
; %bb.108:                              ;   in Loop: Header=BB128_86 Depth=1
	buffer_load_dword v4, off, s[36:39], 0 offset:240 ; 4-byte Folded Reload
	buffer_load_dword v5, off, s[36:39], 0 offset:244 ; 4-byte Folded Reload
	s_waitcnt vmcnt(1)
	v_add_co_u32_e32 v4, vcc, v4, v2
	s_waitcnt vmcnt(0)
	v_addc_co_u32_e32 v5, vcc, v5, v3, vcc
	global_load_dwordx2 v[4:5], v[4:5], off
	s_waitcnt vmcnt(0)
	buffer_store_dword v4, off, s[36:39], 0 offset:468 ; 4-byte Folded Spill
	s_nop 0
	buffer_store_dword v5, off, s[36:39], 0 offset:472 ; 4-byte Folded Spill
	buffer_load_dword v4, off, s[36:39], 0 offset:248 ; 4-byte Folded Reload
	s_nop 0
	buffer_load_dword v5, off, s[36:39], 0 offset:252 ; 4-byte Folded Reload
	s_waitcnt vmcnt(1)
	v_add_co_u32_e32 v4, vcc, v4, v2
	s_waitcnt vmcnt(0)
	v_addc_co_u32_e32 v5, vcc, v5, v3, vcc
	global_load_dwordx2 v[4:5], v[4:5], off
	s_waitcnt vmcnt(0)
	buffer_store_dword v4, off, s[36:39], 0 offset:492 ; 4-byte Folded Spill
	s_nop 0
	buffer_store_dword v5, off, s[36:39], 0 offset:496 ; 4-byte Folded Spill
.LBB128_109:                            ;   in Loop: Header=BB128_86 Depth=1
	s_or_b64 exec, exec, s[0:1]
	v_add_co_u32_e32 v4, vcc, 0xffffff0a, v17
	v_addc_co_u32_e32 v5, vcc, -1, v18, vcc
	v_cmp_gt_i64_e32 vcc, s[12:13], v[4:5]
	v_mov_b32_e32 v4, 0
	v_mov_b32_e32 v5, 0
	buffer_store_dword v4, off, s[36:39], 0 offset:500 ; 4-byte Folded Spill
	s_nop 0
	buffer_store_dword v5, off, s[36:39], 0 offset:504 ; 4-byte Folded Spill
	v_mov_b32_e32 v4, 0
	v_mov_b32_e32 v5, 0
	buffer_store_dword v4, off, s[36:39], 0 offset:508 ; 4-byte Folded Spill
	s_nop 0
	buffer_store_dword v5, off, s[36:39], 0 offset:512 ; 4-byte Folded Spill
	;; [unrolled: 5-line block ×3, first 2 shown]
	s_and_saveexec_b64 s[0:1], vcc
	s_cbranch_execz .LBB128_111
; %bb.110:                              ;   in Loop: Header=BB128_86 Depth=1
	buffer_load_dword v4, off, s[36:39], 0 offset:224 ; 4-byte Folded Reload
	buffer_load_dword v5, off, s[36:39], 0 offset:228 ; 4-byte Folded Reload
	s_waitcnt vmcnt(1)
	v_add_co_u32_e32 v4, vcc, v4, v2
	s_waitcnt vmcnt(0)
	v_addc_co_u32_e32 v5, vcc, v5, v3, vcc
	global_load_dwordx2 v[4:5], v[4:5], off
	s_waitcnt vmcnt(0)
	buffer_store_dword v4, off, s[36:39], 0 offset:508 ; 4-byte Folded Spill
	s_nop 0
	buffer_store_dword v5, off, s[36:39], 0 offset:512 ; 4-byte Folded Spill
	buffer_load_dword v4, off, s[36:39], 0 offset:232 ; 4-byte Folded Reload
	s_nop 0
	buffer_load_dword v5, off, s[36:39], 0 offset:236 ; 4-byte Folded Reload
	s_waitcnt vmcnt(1)
	v_add_co_u32_e32 v4, vcc, v4, v2
	s_waitcnt vmcnt(0)
	v_addc_co_u32_e32 v5, vcc, v5, v3, vcc
	global_load_dwordx2 v[4:5], v[4:5], off
	s_waitcnt vmcnt(0)
	buffer_store_dword v4, off, s[36:39], 0 offset:516 ; 4-byte Folded Spill
	s_nop 0
	buffer_store_dword v5, off, s[36:39], 0 offset:520 ; 4-byte Folded Spill
.LBB128_111:                            ;   in Loop: Header=BB128_86 Depth=1
	s_or_b64 exec, exec, s[0:1]
	v_add_co_u32_e32 v4, vcc, 0xffffff0b, v17
	v_addc_co_u32_e32 v5, vcc, -1, v18, vcc
	v_cmp_gt_i64_e32 vcc, s[12:13], v[4:5]
	v_mov_b32_e32 v4, 0
	v_mov_b32_e32 v5, 0
	buffer_store_dword v4, off, s[36:39], 0 offset:524 ; 4-byte Folded Spill
	s_nop 0
	buffer_store_dword v5, off, s[36:39], 0 offset:528 ; 4-byte Folded Spill
	s_and_saveexec_b64 s[0:1], vcc
	s_cbranch_execz .LBB128_113
; %bb.112:                              ;   in Loop: Header=BB128_86 Depth=1
	buffer_load_dword v4, off, s[36:39], 0 offset:208 ; 4-byte Folded Reload
	buffer_load_dword v5, off, s[36:39], 0 offset:212 ; 4-byte Folded Reload
	s_waitcnt vmcnt(1)
	v_add_co_u32_e32 v4, vcc, v4, v2
	s_waitcnt vmcnt(0)
	v_addc_co_u32_e32 v5, vcc, v5, v3, vcc
	global_load_dwordx2 v[4:5], v[4:5], off
	s_waitcnt vmcnt(0)
	buffer_store_dword v4, off, s[36:39], 0 offset:500 ; 4-byte Folded Spill
	s_nop 0
	buffer_store_dword v5, off, s[36:39], 0 offset:504 ; 4-byte Folded Spill
	buffer_load_dword v4, off, s[36:39], 0 offset:216 ; 4-byte Folded Reload
	s_nop 0
	buffer_load_dword v5, off, s[36:39], 0 offset:220 ; 4-byte Folded Reload
	s_waitcnt vmcnt(1)
	v_add_co_u32_e32 v4, vcc, v4, v2
	s_waitcnt vmcnt(0)
	v_addc_co_u32_e32 v5, vcc, v5, v3, vcc
	global_load_dwordx2 v[4:5], v[4:5], off
	s_waitcnt vmcnt(0)
	buffer_store_dword v4, off, s[36:39], 0 offset:524 ; 4-byte Folded Spill
	s_nop 0
	buffer_store_dword v5, off, s[36:39], 0 offset:528 ; 4-byte Folded Spill
.LBB128_113:                            ;   in Loop: Header=BB128_86 Depth=1
	s_or_b64 exec, exec, s[0:1]
	v_add_co_u32_e32 v4, vcc, 0xffffff0c, v17
	v_addc_co_u32_e32 v5, vcc, -1, v18, vcc
	v_cmp_gt_i64_e32 vcc, s[12:13], v[4:5]
	v_mov_b32_e32 v4, 0
	v_mov_b32_e32 v5, 0
	buffer_store_dword v4, off, s[36:39], 0 offset:532 ; 4-byte Folded Spill
	s_nop 0
	buffer_store_dword v5, off, s[36:39], 0 offset:536 ; 4-byte Folded Spill
	v_mov_b32_e32 v4, 0
	v_mov_b32_e32 v5, 0
	buffer_store_dword v4, off, s[36:39], 0 offset:540 ; 4-byte Folded Spill
	s_nop 0
	buffer_store_dword v5, off, s[36:39], 0 offset:544 ; 4-byte Folded Spill
	;; [unrolled: 5-line block ×3, first 2 shown]
	s_and_saveexec_b64 s[0:1], vcc
	s_cbranch_execz .LBB128_115
; %bb.114:                              ;   in Loop: Header=BB128_86 Depth=1
	buffer_load_dword v4, off, s[36:39], 0 offset:192 ; 4-byte Folded Reload
	buffer_load_dword v5, off, s[36:39], 0 offset:196 ; 4-byte Folded Reload
	s_waitcnt vmcnt(1)
	v_add_co_u32_e32 v4, vcc, v4, v2
	s_waitcnt vmcnt(0)
	v_addc_co_u32_e32 v5, vcc, v5, v3, vcc
	global_load_dwordx2 v[4:5], v[4:5], off
	s_waitcnt vmcnt(0)
	buffer_store_dword v4, off, s[36:39], 0 offset:540 ; 4-byte Folded Spill
	s_nop 0
	buffer_store_dword v5, off, s[36:39], 0 offset:544 ; 4-byte Folded Spill
	buffer_load_dword v4, off, s[36:39], 0 offset:200 ; 4-byte Folded Reload
	s_nop 0
	buffer_load_dword v5, off, s[36:39], 0 offset:204 ; 4-byte Folded Reload
	s_waitcnt vmcnt(1)
	v_add_co_u32_e32 v4, vcc, v4, v2
	s_waitcnt vmcnt(0)
	v_addc_co_u32_e32 v5, vcc, v5, v3, vcc
	global_load_dwordx2 v[4:5], v[4:5], off
	s_waitcnt vmcnt(0)
	buffer_store_dword v4, off, s[36:39], 0 offset:548 ; 4-byte Folded Spill
	s_nop 0
	buffer_store_dword v5, off, s[36:39], 0 offset:552 ; 4-byte Folded Spill
.LBB128_115:                            ;   in Loop: Header=BB128_86 Depth=1
	s_or_b64 exec, exec, s[0:1]
	v_add_co_u32_e32 v4, vcc, 0xffffff0d, v17
	v_addc_co_u32_e32 v5, vcc, -1, v18, vcc
	v_cmp_gt_i64_e32 vcc, s[12:13], v[4:5]
	v_mov_b32_e32 v4, 0
	v_mov_b32_e32 v5, 0
	s_and_saveexec_b64 s[0:1], vcc
	s_cbranch_execz .LBB128_117
; %bb.116:                              ;   in Loop: Header=BB128_86 Depth=1
	buffer_load_dword v4, off, s[36:39], 0 offset:176 ; 4-byte Folded Reload
	buffer_load_dword v5, off, s[36:39], 0 offset:180 ; 4-byte Folded Reload
	s_waitcnt vmcnt(1)
	v_add_co_u32_e32 v4, vcc, v4, v2
	s_waitcnt vmcnt(0)
	v_addc_co_u32_e32 v5, vcc, v5, v3, vcc
	global_load_dwordx2 v[4:5], v[4:5], off
	s_waitcnt vmcnt(0)
	buffer_store_dword v4, off, s[36:39], 0 offset:532 ; 4-byte Folded Spill
	s_nop 0
	buffer_store_dword v5, off, s[36:39], 0 offset:536 ; 4-byte Folded Spill
	buffer_load_dword v4, off, s[36:39], 0 offset:184 ; 4-byte Folded Reload
	s_nop 0
	buffer_load_dword v5, off, s[36:39], 0 offset:188 ; 4-byte Folded Reload
	s_waitcnt vmcnt(1)
	v_add_co_u32_e32 v4, vcc, v4, v2
	s_waitcnt vmcnt(0)
	v_addc_co_u32_e32 v5, vcc, v5, v3, vcc
	global_load_dwordx2 v[4:5], v[4:5], off
.LBB128_117:                            ;   in Loop: Header=BB128_86 Depth=1
	s_or_b64 exec, exec, s[0:1]
	v_add_co_u32_e32 v6, vcc, 0xffffff0e, v17
	v_addc_co_u32_e32 v7, vcc, -1, v18, vcc
	v_cmp_gt_i64_e32 vcc, s[12:13], v[6:7]
	v_mov_b32_e32 v6, 0
	v_mov_b32_e32 v8, 0
	;; [unrolled: 1-line block ×6, first 2 shown]
	buffer_store_dword v6, off, s[36:39], 0 offset:556 ; 4-byte Folded Spill
	s_nop 0
	buffer_store_dword v7, off, s[36:39], 0 offset:560 ; 4-byte Folded Spill
	s_and_saveexec_b64 s[0:1], vcc
	s_cbranch_execz .LBB128_119
; %bb.118:                              ;   in Loop: Header=BB128_86 Depth=1
	buffer_load_dword v8, off, s[36:39], 0 offset:160 ; 4-byte Folded Reload
	buffer_load_dword v9, off, s[36:39], 0 offset:164 ; 4-byte Folded Reload
	;; [unrolled: 1-line block ×4, first 2 shown]
	s_waitcnt vmcnt(3)
	v_add_co_u32_e32 v8, vcc, v8, v2
	s_waitcnt vmcnt(2)
	v_addc_co_u32_e32 v9, vcc, v9, v3, vcc
	s_waitcnt vmcnt(1)
	v_add_co_u32_e32 v10, vcc, v10, v2
	s_waitcnt vmcnt(0)
	v_addc_co_u32_e32 v11, vcc, v11, v3, vcc
	global_load_dwordx2 v[8:9], v[8:9], off
	s_nop 0
	global_load_dwordx2 v[10:11], v[10:11], off
.LBB128_119:                            ;   in Loop: Header=BB128_86 Depth=1
	s_or_b64 exec, exec, s[0:1]
	v_add_co_u32_e32 v12, vcc, 0xffffff0f, v17
	v_addc_co_u32_e32 v13, vcc, -1, v18, vcc
	v_cmp_gt_i64_e32 vcc, s[12:13], v[12:13]
	v_mov_b32_e32 v12, 0
	v_mov_b32_e32 v13, 0
	s_and_saveexec_b64 s[0:1], vcc
	s_cbranch_execz .LBB128_121
; %bb.120:                              ;   in Loop: Header=BB128_86 Depth=1
	buffer_load_dword v6, off, s[36:39], 0 offset:144 ; 4-byte Folded Reload
	buffer_load_dword v7, off, s[36:39], 0 offset:148 ; 4-byte Folded Reload
	s_waitcnt vmcnt(1)
	v_add_co_u32_e32 v6, vcc, v6, v2
	s_waitcnt vmcnt(0)
	v_addc_co_u32_e32 v7, vcc, v7, v3, vcc
	global_load_dwordx2 v[6:7], v[6:7], off
	s_waitcnt vmcnt(0)
	buffer_store_dword v6, off, s[36:39], 0 offset:556 ; 4-byte Folded Spill
	s_nop 0
	buffer_store_dword v7, off, s[36:39], 0 offset:560 ; 4-byte Folded Spill
	buffer_load_dword v12, off, s[36:39], 0 offset:152 ; 4-byte Folded Reload
	buffer_load_dword v13, off, s[36:39], 0 offset:156 ; 4-byte Folded Reload
	s_waitcnt vmcnt(1)
	v_add_co_u32_e32 v12, vcc, v12, v2
	s_waitcnt vmcnt(0)
	v_addc_co_u32_e32 v13, vcc, v13, v3, vcc
	global_load_dwordx2 v[12:13], v[12:13], off
.LBB128_121:                            ;   in Loop: Header=BB128_86 Depth=1
	s_or_b64 exec, exec, s[0:1]
	v_add_co_u32_e32 v14, vcc, 0xffffff10, v17
	v_addc_co_u32_e32 v15, vcc, -1, v18, vcc
	s_waitcnt vmcnt(2)
	v_mov_b32_e32 v7, v5
	v_cmp_gt_i64_e32 vcc, s[12:13], v[14:15]
	v_mov_b32_e32 v14, 0
	v_mov_b32_e32 v6, v4
	;; [unrolled: 1-line block ×3, first 2 shown]
	s_and_saveexec_b64 s[0:1], vcc
	s_cbranch_execz .LBB128_123
; %bb.122:                              ;   in Loop: Header=BB128_86 Depth=1
	v_mov_b32_e32 v4, v61
	v_mov_b32_e32 v5, v62
	;; [unrolled: 1-line block ×37, first 2 shown]
	buffer_load_dword v14, off, s[36:39], 0 offset:128 ; 4-byte Folded Reload
	buffer_load_dword v15, off, s[36:39], 0 offset:132 ; 4-byte Folded Reload
	v_mov_b32_e32 v26, v28
	v_mov_b32_e32 v28, v24
	;; [unrolled: 1-line block ×5, first 2 shown]
	buffer_load_dword v19, off, s[36:39], 0 offset:136 ; 4-byte Folded Reload
	buffer_load_dword v20, off, s[36:39], 0 offset:140 ; 4-byte Folded Reload
	s_waitcnt vmcnt(3)
	v_add_co_u32_e32 v14, vcc, v14, v2
	s_waitcnt vmcnt(2)
	v_addc_co_u32_e32 v15, vcc, v15, v3, vcc
	global_load_dwordx2 v[14:15], v[14:15], off
	s_waitcnt vmcnt(2)
	v_add_co_u32_e32 v19, vcc, v19, v2
	s_waitcnt vmcnt(1)
	v_addc_co_u32_e32 v20, vcc, v20, v3, vcc
	global_load_dwordx2 v[19:20], v[19:20], off
	s_waitcnt vmcnt(0)
	v_mul_f64 v[14:15], v[14:15], v[19:20]
	v_mov_b32_e32 v19, v23
	v_mov_b32_e32 v20, v24
	;; [unrolled: 1-line block ×42, first 2 shown]
.LBB128_123:                            ;   in Loop: Header=BB128_86 Depth=1
	s_or_b64 exec, exec, s[0:1]
	v_mul_f64 v[21:22], v[21:22], v[25:26]
	buffer_load_dword v25, off, s[36:39], 0 offset:120 ; 4-byte Folded Reload
	buffer_load_dword v26, off, s[36:39], 0 offset:124 ; 4-byte Folded Reload
	;; [unrolled: 1-line block ×4, first 2 shown]
	v_mul_f64 v[19:20], v[19:20], v[23:24]
	ds_bpermute_b32 v23, v16, v0
	ds_bpermute_b32 v24, v16, v1
	s_waitcnt vmcnt(4)
	v_mul_f64 v[8:9], v[8:9], v[10:11]
	ds_bpermute_b32 v10, v16, v0 offset:52
	ds_bpermute_b32 v11, v16, v1 offset:52
	s_mov_b64 s[0:1], 0
	s_waitcnt vmcnt(2) lgkmcnt(2)
	v_fma_f64 v[19:20], v[19:20], v[23:24], v[25:26]
	ds_bpermute_b32 v23, v16, v0 offset:4
	ds_bpermute_b32 v24, v16, v1 offset:4
	;; [unrolled: 1-line block ×4, first 2 shown]
	s_waitcnt lgkmcnt(2)
	v_fma_f64 v[19:20], v[21:22], v[23:24], v[19:20]
	s_waitcnt vmcnt(0)
	v_mul_f64 v[21:22], v[27:28], v[4:5]
	buffer_load_dword v4, off, s[36:39], 0 offset:412 ; 4-byte Folded Reload
	buffer_load_dword v5, off, s[36:39], 0 offset:416 ; 4-byte Folded Reload
	buffer_load_dword v23, off, s[36:39], 0 offset:420 ; 4-byte Folded Reload
	buffer_load_dword v24, off, s[36:39], 0 offset:424 ; 4-byte Folded Reload
	s_waitcnt lgkmcnt(0)
	v_fma_f64 v[19:20], v[21:22], v[25:26], v[19:20]
	ds_bpermute_b32 v21, v16, v0 offset:12
	ds_bpermute_b32 v22, v16, v1 offset:12
	s_waitcnt vmcnt(0)
	v_mul_f64 v[23:24], v[4:5], v[23:24]
	buffer_load_dword v4, off, s[36:39], 0 offset:404 ; 4-byte Folded Reload
	buffer_load_dword v5, off, s[36:39], 0 offset:408 ; 4-byte Folded Reload
	buffer_load_dword v25, off, s[36:39], 0 offset:428 ; 4-byte Folded Reload
	buffer_load_dword v26, off, s[36:39], 0 offset:432 ; 4-byte Folded Reload
	s_waitcnt lgkmcnt(0)
	v_fma_f64 v[19:20], v[23:24], v[21:22], v[19:20]
	ds_bpermute_b32 v21, v16, v0 offset:16
	ds_bpermute_b32 v22, v16, v1 offset:16
	;; [unrolled: 10-line block ×9, first 2 shown]
	s_waitcnt vmcnt(0)
	v_mul_f64 v[23:24], v[4:5], v[23:24]
	buffer_load_dword v4, off, s[36:39], 0 offset:532 ; 4-byte Folded Reload
	buffer_load_dword v5, off, s[36:39], 0 offset:536 ; 4-byte Folded Reload
	s_waitcnt lgkmcnt(0)
	v_fma_f64 v[19:20], v[23:24], v[21:22], v[19:20]
	ds_bpermute_b32 v21, v16, v0 offset:48
	ds_bpermute_b32 v22, v16, v1 offset:48
	s_waitcnt vmcnt(0)
	v_mul_f64 v[4:5], v[4:5], v[6:7]
	buffer_load_dword v6, off, s[36:39], 0 offset:556 ; 4-byte Folded Reload
	buffer_load_dword v7, off, s[36:39], 0 offset:560 ; 4-byte Folded Reload
	s_waitcnt lgkmcnt(0)
	v_fma_f64 v[4:5], v[4:5], v[21:22], v[19:20]
	v_fma_f64 v[4:5], v[8:9], v[10:11], v[4:5]
	ds_bpermute_b32 v8, v16, v0 offset:56
	ds_bpermute_b32 v9, v16, v1 offset:56
	ds_bpermute_b32 v0, v16, v0 offset:60
	ds_bpermute_b32 v1, v16, v1 offset:60
	s_waitcnt vmcnt(0)
	v_mul_f64 v[6:7], v[6:7], v[12:13]
	s_waitcnt lgkmcnt(2)
	v_fma_f64 v[4:5], v[6:7], v[8:9], v[4:5]
	s_waitcnt lgkmcnt(0)
	v_fma_f64 v[5:6], v[14:15], v[0:1], v[4:5]
.LBB128_124:                            ;   in Loop: Header=BB128_86 Depth=1
	s_and_b64 vcc, exec, s[0:1]
	s_cbranch_vccz .LBB128_130
; %bb.125:                              ;   in Loop: Header=BB128_86 Depth=1
	s_load_dword s0, s[2:3], 0x0
	buffer_load_dword v0, off, s[36:39], 0 offset:568 ; 4-byte Folded Reload
	buffer_load_dword v1, off, s[36:39], 0 offset:572 ; 4-byte Folded Reload
	s_waitcnt lgkmcnt(0)
	s_cmp_lt_u32 s6, s0
	s_cselect_b32 s0, 12, 18
	s_add_u32 s0, s2, s0
	s_addc_u32 s1, s3, 0
	s_waitcnt vmcnt(0)
	global_load_ushort v0, v1, s[0:1]
	s_nop 0
	buffer_load_dword v1, off, s[36:39], 0 offset:308 ; 4-byte Folded Reload
	s_waitcnt vmcnt(0)
	v_mad_u32_u24 v0, v1, v0, v63
	v_and_b32_e32 v4, 63, v0
	v_mov_b32_e32 v0, 0
	v_mov_b32_e32 v1, 0
	v_cmp_gt_u32_e32 vcc, 16, v4
	s_and_saveexec_b64 s[0:1], vcc
	s_cbranch_execz .LBB128_129
; %bb.126:                              ;   in Loop: Header=BB128_86 Depth=1
	v_add_co_u32_e32 v0, vcc, v17, v4
	v_addc_co_u32_e32 v1, vcc, 0, v18, vcc
	v_add_co_u32_e32 v4, vcc, 0xffffff01, v0
	v_addc_co_u32_e32 v5, vcc, -1, v1, vcc
	v_cmp_gt_i64_e32 vcc, s[12:13], v[4:5]
	v_mov_b32_e32 v0, 0
	v_mov_b32_e32 v1, 0
	s_and_saveexec_b64 s[16:17], vcc
	s_cbranch_execz .LBB128_128
; %bb.127:                              ;   in Loop: Header=BB128_86 Depth=1
	v_lshlrev_b64 v[0:1], 3, v[4:5]
	v_mov_b32_e32 v4, s11
	v_add_co_u32_e32 v0, vcc, s10, v0
	v_addc_co_u32_e32 v1, vcc, v4, v1, vcc
	global_load_dwordx2 v[0:1], v[0:1], off
.LBB128_128:                            ;   in Loop: Header=BB128_86 Depth=1
	s_or_b64 exec, exec, s[16:17]
.LBB128_129:                            ;   in Loop: Header=BB128_86 Depth=1
	s_or_b64 exec, exec, s[0:1]
	buffer_load_dword v4, off, s[36:39], 0  ; 4-byte Folded Reload
	buffer_load_dword v5, off, s[36:39], 0 offset:4 ; 4-byte Folded Reload
	buffer_load_dword v6, off, s[36:39], 0 offset:8 ; 4-byte Folded Reload
	;; [unrolled: 1-line block ×3, first 2 shown]
	s_waitcnt vmcnt(3)
	v_add_co_u32_e32 v4, vcc, v4, v2
	s_waitcnt vmcnt(2)
	v_addc_co_u32_e32 v5, vcc, v5, v3, vcc
	s_waitcnt vmcnt(1)
	v_add_co_u32_e32 v6, vcc, v6, v2
	s_waitcnt vmcnt(0)
	v_addc_co_u32_e32 v7, vcc, v7, v3, vcc
	global_load_dwordx2 v[4:5], v[4:5], off
	s_nop 0
	global_load_dwordx2 v[6:7], v[6:7], off
	s_nop 0
	buffer_load_dword v8, off, s[36:39], 0 offset:120 ; 4-byte Folded Reload
	buffer_load_dword v9, off, s[36:39], 0 offset:124 ; 4-byte Folded Reload
	s_waitcnt vmcnt(2)
	v_mul_f64 v[4:5], v[4:5], v[6:7]
	ds_bpermute_b32 v6, v16, v0
	ds_bpermute_b32 v7, v16, v1
	s_waitcnt vmcnt(0) lgkmcnt(0)
	v_fma_f64 v[4:5], v[4:5], v[6:7], v[8:9]
	buffer_load_dword v6, off, s[36:39], 0 offset:16 ; 4-byte Folded Reload
	buffer_load_dword v7, off, s[36:39], 0 offset:20 ; 4-byte Folded Reload
	buffer_load_dword v8, off, s[36:39], 0 offset:24 ; 4-byte Folded Reload
	buffer_load_dword v9, off, s[36:39], 0 offset:28 ; 4-byte Folded Reload
	s_waitcnt vmcnt(3)
	v_add_co_u32_e32 v6, vcc, v6, v2
	s_waitcnt vmcnt(2)
	v_addc_co_u32_e32 v7, vcc, v7, v3, vcc
	s_waitcnt vmcnt(1)
	v_add_co_u32_e32 v8, vcc, v8, v2
	s_waitcnt vmcnt(0)
	v_addc_co_u32_e32 v9, vcc, v9, v3, vcc
	global_load_dwordx2 v[6:7], v[6:7], off
	s_nop 0
	global_load_dwordx2 v[8:9], v[8:9], off
	s_waitcnt vmcnt(0)
	v_mul_f64 v[6:7], v[6:7], v[8:9]
	ds_bpermute_b32 v8, v16, v0 offset:4
	ds_bpermute_b32 v9, v16, v1 offset:4
	s_waitcnt lgkmcnt(0)
	v_fma_f64 v[4:5], v[6:7], v[8:9], v[4:5]
	buffer_load_dword v6, off, s[36:39], 0 offset:32 ; 4-byte Folded Reload
	buffer_load_dword v7, off, s[36:39], 0 offset:36 ; 4-byte Folded Reload
	buffer_load_dword v8, off, s[36:39], 0 offset:40 ; 4-byte Folded Reload
	buffer_load_dword v9, off, s[36:39], 0 offset:44 ; 4-byte Folded Reload
	s_waitcnt vmcnt(3)
	v_add_co_u32_e32 v6, vcc, v6, v2
	s_waitcnt vmcnt(2)
	v_addc_co_u32_e32 v7, vcc, v7, v3, vcc
	s_waitcnt vmcnt(1)
	v_add_co_u32_e32 v8, vcc, v8, v2
	s_waitcnt vmcnt(0)
	v_addc_co_u32_e32 v9, vcc, v9, v3, vcc
	global_load_dwordx2 v[6:7], v[6:7], off
	s_nop 0
	global_load_dwordx2 v[8:9], v[8:9], off
	s_waitcnt vmcnt(0)
	v_mul_f64 v[6:7], v[6:7], v[8:9]
	ds_bpermute_b32 v8, v16, v0 offset:8
	ds_bpermute_b32 v9, v16, v1 offset:8
	s_waitcnt lgkmcnt(0)
	;; [unrolled: 21-line block ×6, first 2 shown]
	v_fma_f64 v[4:5], v[6:7], v[8:9], v[4:5]
	buffer_load_dword v6, off, s[36:39], 0 offset:112 ; 4-byte Folded Reload
	buffer_load_dword v7, off, s[36:39], 0 offset:116 ; 4-byte Folded Reload
	s_waitcnt vmcnt(1)
	v_add_co_u32_e32 v6, vcc, v6, v2
	s_waitcnt vmcnt(0)
	v_addc_co_u32_e32 v7, vcc, v7, v3, vcc
	v_add_co_u32_e32 v8, vcc, v29, v2
	v_addc_co_u32_e32 v9, vcc, v30, v3, vcc
	global_load_dwordx2 v[6:7], v[6:7], off
	s_nop 0
	global_load_dwordx2 v[8:9], v[8:9], off
	s_waitcnt vmcnt(0)
	v_mul_f64 v[6:7], v[6:7], v[8:9]
	ds_bpermute_b32 v8, v16, v0 offset:28
	ds_bpermute_b32 v9, v16, v1 offset:28
	s_waitcnt lgkmcnt(0)
	v_fma_f64 v[4:5], v[6:7], v[8:9], v[4:5]
	v_add_co_u32_e32 v6, vcc, v31, v2
	v_addc_co_u32_e32 v7, vcc, v32, v3, vcc
	v_add_co_u32_e32 v8, vcc, v33, v2
	v_addc_co_u32_e32 v9, vcc, v34, v3, vcc
	global_load_dwordx2 v[6:7], v[6:7], off
	s_nop 0
	global_load_dwordx2 v[8:9], v[8:9], off
	s_waitcnt vmcnt(0)
	v_mul_f64 v[6:7], v[6:7], v[8:9]
	ds_bpermute_b32 v8, v16, v0 offset:32
	ds_bpermute_b32 v9, v16, v1 offset:32
	s_waitcnt lgkmcnt(0)
	v_fma_f64 v[4:5], v[6:7], v[8:9], v[4:5]
	v_add_co_u32_e32 v6, vcc, v35, v2
	;; [unrolled: 13-line block ×7, first 2 shown]
	v_addc_co_u32_e32 v7, vcc, v56, v3, vcc
	v_add_co_u32_e32 v8, vcc, v57, v2
	v_addc_co_u32_e32 v9, vcc, v58, v3, vcc
	global_load_dwordx2 v[6:7], v[6:7], off
	s_nop 0
	global_load_dwordx2 v[8:9], v[8:9], off
	s_waitcnt vmcnt(0)
	v_mul_f64 v[6:7], v[6:7], v[8:9]
	ds_bpermute_b32 v8, v16, v0 offset:56
	ds_bpermute_b32 v9, v16, v1 offset:56
	;; [unrolled: 1-line block ×4, first 2 shown]
	s_waitcnt lgkmcnt(2)
	v_fma_f64 v[4:5], v[6:7], v[8:9], v[4:5]
	v_add_co_u32_e32 v6, vcc, v59, v2
	v_addc_co_u32_e32 v7, vcc, v60, v3, vcc
	v_add_co_u32_e32 v8, vcc, v61, v2
	v_addc_co_u32_e32 v9, vcc, v62, v3, vcc
	global_load_dwordx2 v[6:7], v[6:7], off
	s_nop 0
	global_load_dwordx2 v[8:9], v[8:9], off
	s_waitcnt vmcnt(0)
	v_mul_f64 v[6:7], v[6:7], v[8:9]
	s_waitcnt lgkmcnt(0)
	v_fma_f64 v[5:6], v[6:7], v[0:1], v[4:5]
.LBB128_130:                            ;   in Loop: Header=BB128_86 Depth=1
	buffer_load_dword v0, off, s[36:39], 0  ; 4-byte Folded Reload
	buffer_load_dword v1, off, s[36:39], 0 offset:4 ; 4-byte Folded Reload
	s_add_u32 s20, s20, s7
	s_addc_u32 s21, s21, 0
	s_add_u32 s22, s22, s7
	s_addc_u32 s23, s23, 0
	s_waitcnt vmcnt(1)
	v_add_co_u32_e32 v0, vcc, s8, v0
	buffer_store_dword v0, off, s[36:39], 0 ; 4-byte Folded Spill
	v_mov_b32_e32 v0, s9
	s_waitcnt vmcnt(1)
	v_addc_co_u32_e32 v1, vcc, v1, v0, vcc
	buffer_store_dword v1, off, s[36:39], 0 offset:4 ; 4-byte Folded Spill
	buffer_load_dword v1, off, s[36:39], 0 offset:8 ; 4-byte Folded Reload
	s_waitcnt vmcnt(0)
	v_add_co_u32_e32 v1, vcc, s8, v1
	buffer_store_dword v1, off, s[36:39], 0 offset:8 ; 4-byte Folded Spill
	buffer_load_dword v1, off, s[36:39], 0 offset:12 ; 4-byte Folded Reload
	s_waitcnt vmcnt(0)
	v_addc_co_u32_e32 v1, vcc, v1, v0, vcc
	buffer_store_dword v1, off, s[36:39], 0 offset:12 ; 4-byte Folded Spill
	buffer_load_dword v7, off, s[36:39], 0 offset:16 ; 4-byte Folded Reload
	buffer_load_dword v8, off, s[36:39], 0 offset:20 ; 4-byte Folded Reload
	s_waitcnt vmcnt(1)
	v_add_co_u32_e32 v7, vcc, s8, v7
	s_waitcnt vmcnt(0)
	v_addc_co_u32_e32 v8, vcc, v8, v0, vcc
	buffer_store_dword v7, off, s[36:39], 0 offset:16 ; 4-byte Folded Spill
	s_nop 0
	buffer_store_dword v8, off, s[36:39], 0 offset:20 ; 4-byte Folded Spill
	buffer_load_dword v7, off, s[36:39], 0 offset:32 ; 4-byte Folded Reload
	s_nop 0
	buffer_load_dword v8, off, s[36:39], 0 offset:36 ; 4-byte Folded Reload
	s_waitcnt vmcnt(1)
	v_add_co_u32_e32 v7, vcc, s8, v7
	s_waitcnt vmcnt(0)
	v_addc_co_u32_e32 v8, vcc, v8, v0, vcc
	buffer_store_dword v7, off, s[36:39], 0 offset:32 ; 4-byte Folded Spill
	s_nop 0
	buffer_store_dword v8, off, s[36:39], 0 offset:36 ; 4-byte Folded Spill
	buffer_load_dword v7, off, s[36:39], 0 offset:48 ; 4-byte Folded Reload
	s_nop 0
	;; [unrolled: 10-line block ×7, first 2 shown]
	buffer_load_dword v8, off, s[36:39], 0 offset:28 ; 4-byte Folded Reload
	v_add_co_u32_e32 v31, vcc, s8, v31
	v_addc_co_u32_e32 v32, vcc, v32, v0, vcc
	v_add_co_u32_e32 v35, vcc, s8, v35
	v_addc_co_u32_e32 v36, vcc, v36, v0, vcc
	;; [unrolled: 2-line block ×8, first 2 shown]
	s_waitcnt vmcnt(1)
	v_add_co_u32_e32 v7, vcc, s8, v7
	s_waitcnt vmcnt(0)
	v_addc_co_u32_e32 v8, vcc, v8, v0, vcc
	buffer_store_dword v7, off, s[36:39], 0 offset:24 ; 4-byte Folded Spill
	s_nop 0
	buffer_store_dword v8, off, s[36:39], 0 offset:28 ; 4-byte Folded Spill
	buffer_load_dword v7, off, s[36:39], 0 offset:40 ; 4-byte Folded Reload
	s_nop 0
	buffer_load_dword v8, off, s[36:39], 0 offset:44 ; 4-byte Folded Reload
	s_waitcnt vmcnt(1)
	v_add_co_u32_e32 v7, vcc, s8, v7
	s_waitcnt vmcnt(0)
	v_addc_co_u32_e32 v8, vcc, v8, v0, vcc
	buffer_store_dword v7, off, s[36:39], 0 offset:40 ; 4-byte Folded Spill
	s_nop 0
	buffer_store_dword v8, off, s[36:39], 0 offset:44 ; 4-byte Folded Spill
	buffer_load_dword v7, off, s[36:39], 0 offset:56 ; 4-byte Folded Reload
	s_nop 0
	buffer_load_dword v8, off, s[36:39], 0 offset:60 ; 4-byte Folded Reload
	;; [unrolled: 10-line block ×5, first 2 shown]
	s_waitcnt vmcnt(1)
	v_add_co_u32_e32 v7, vcc, s8, v7
	s_waitcnt vmcnt(0)
	v_addc_co_u32_e32 v8, vcc, v8, v0, vcc
	buffer_store_dword v7, off, s[36:39], 0 offset:104 ; 4-byte Folded Spill
	s_nop 0
	buffer_store_dword v8, off, s[36:39], 0 offset:108 ; 4-byte Folded Spill
	buffer_load_dword v1, off, s[36:39], 0 offset:128 ; 4-byte Folded Reload
	v_add_co_u32_e32 v29, vcc, s8, v29
	v_addc_co_u32_e32 v30, vcc, v30, v0, vcc
	v_add_co_u32_e32 v33, vcc, s8, v33
	v_addc_co_u32_e32 v34, vcc, v34, v0, vcc
	;; [unrolled: 2-line block ×9, first 2 shown]
	s_waitcnt vmcnt(0)
	v_add_co_u32_e32 v1, vcc, s8, v1
	buffer_store_dword v1, off, s[36:39], 0 offset:128 ; 4-byte Folded Spill
	buffer_load_dword v1, off, s[36:39], 0 offset:132 ; 4-byte Folded Reload
	s_waitcnt vmcnt(0)
	v_addc_co_u32_e32 v1, vcc, v1, v0, vcc
	buffer_store_dword v1, off, s[36:39], 0 offset:132 ; 4-byte Folded Spill
	buffer_load_dword v1, off, s[36:39], 0 offset:136 ; 4-byte Folded Reload
	s_waitcnt vmcnt(0)
	v_add_co_u32_e32 v1, vcc, s8, v1
	buffer_store_dword v1, off, s[36:39], 0 offset:136 ; 4-byte Folded Spill
	buffer_load_dword v1, off, s[36:39], 0 offset:140 ; 4-byte Folded Reload
	s_waitcnt vmcnt(0)
	v_addc_co_u32_e32 v1, vcc, v1, v0, vcc
	buffer_store_dword v1, off, s[36:39], 0 offset:140 ; 4-byte Folded Spill
	buffer_load_dword v1, off, s[36:39], 0 offset:144 ; 4-byte Folded Reload
	;; [unrolled: 8-line block ×29, first 2 shown]
	s_waitcnt vmcnt(0)
	v_add_co_u32_e32 v1, vcc, s8, v1
	buffer_store_dword v1, off, s[36:39], 0 offset:388 ; 4-byte Folded Spill
	buffer_load_dword v1, off, s[36:39], 0 offset:392 ; 4-byte Folded Reload
	s_waitcnt vmcnt(0)
	v_addc_co_u32_e32 v1, vcc, v1, v0, vcc
	buffer_store_dword v1, off, s[36:39], 0 offset:392 ; 4-byte Folded Spill
	v_mov_b32_e32 v0, s12
	v_mov_b32_e32 v1, s13
	v_cmp_ge_i64_e32 vcc, s[20:21], v[0:1]
	s_cbranch_vccnz .LBB128_132
; %bb.131:                              ;   in Loop: Header=BB128_86 Depth=1
	buffer_store_dword v5, off, s[36:39], 0 offset:120 ; 4-byte Folded Spill
	s_nop 0
	buffer_store_dword v6, off, s[36:39], 0 offset:124 ; 4-byte Folded Spill
	s_branch .LBB128_86
.LBB128_132:
	v_mov_b32_e32 v15, v63
.LBB128_133:
	buffer_load_dword v3, off, s[36:39], 0 offset:308 ; 4-byte Folded Reload
	s_movk_i32 s0, 0x41
	s_waitcnt vmcnt(0)
	v_mad_u32_u24 v0, v3, s0, v15
	v_lshl_add_u32 v2, v0, 3, 0
	v_mov_b32_e32 v0, 0
	v_mov_b32_e32 v1, v0
	ds_write_b64 v2, v[0:1] offset:8320
	v_lshrrev_b32_e32 v0, 6, v15
	v_add_u32_e32 v4, v0, v3
	v_cmp_gt_u32_e32 vcc, 64, v4
	ds_write_b64 v2, v[5:6]
	s_waitcnt lgkmcnt(0)
	s_barrier
	s_and_saveexec_b64 s[0:1], vcc
	s_cbranch_execz .LBB128_153
; %bb.134:
	s_load_dwordx2 s[4:5], s[4:5], 0x30
	v_and_b32_e32 v0, 63, v15
	v_cmp_gt_u32_e32 vcc, 16, v0
	v_mul_u32_u24_e32 v5, 0x41, v0
                                        ; implicit-def: $vgpr0_vgpr1
	s_and_saveexec_b64 s[0:1], vcc
; %bb.135:
	v_lshlrev_b32_e32 v0, 3, v4
	v_lshlrev_b32_e32 v1, 3, v5
	v_add3_u32 v0, 0, v0, v1
	ds_read_b64 v[0:1], v0
; %bb.136:
	s_or_b64 exec, exec, s[0:1]
	v_mbcnt_lo_u32_b32 v2, -1, 0
	v_mbcnt_hi_u32_b32 v9, -1, v2
	v_and_b32_e32 v2, 64, v9
	v_add_u32_e32 v10, 64, v2
	v_xor_b32_e32 v2, 8, v9
	v_cmp_lt_i32_e64 s[0:1], v2, v10
	v_cndmask_b32_e64 v2, v9, v2, s[0:1]
	v_lshlrev_b32_e32 v6, 2, v2
	s_waitcnt lgkmcnt(0)
	ds_bpermute_b32 v2, v6, v0
	ds_bpermute_b32 v3, v6, v1
	s_mov_b32 s7, 0
	s_lshl_b64 s[6:7], s[6:7], 6
	s_cmp_eq_u64 s[4:5], 0
	s_cselect_b64 s[8:9], -1, 0
	s_waitcnt lgkmcnt(0)
	v_add_f64 v[0:1], v[0:1], v[2:3]
	v_xor_b32_e32 v2, 4, v9
	v_cmp_lt_i32_e64 s[0:1], v2, v10
	v_cndmask_b32_e64 v2, v9, v2, s[0:1]
	v_lshlrev_b32_e32 v7, 2, v2
	ds_bpermute_b32 v2, v7, v0
	ds_bpermute_b32 v3, v7, v1
	s_waitcnt lgkmcnt(0)
	v_add_f64 v[0:1], v[0:1], v[2:3]
	v_xor_b32_e32 v2, 2, v9
	v_cmp_lt_i32_e64 s[0:1], v2, v10
	v_cndmask_b32_e64 v2, v9, v2, s[0:1]
	v_lshlrev_b32_e32 v8, 2, v2
	ds_bpermute_b32 v2, v8, v0
	ds_bpermute_b32 v3, v8, v1
	s_waitcnt lgkmcnt(0)
	v_add_f64 v[0:1], v[0:1], v[2:3]
	v_xor_b32_e32 v2, 1, v9
	v_cmp_lt_i32_e64 s[0:1], v2, v10
	v_cndmask_b32_e64 v2, v9, v2, s[0:1]
	v_lshlrev_b32_e32 v9, 2, v2
	v_cmp_ne_u32_e64 s[0:1], 0, v15
	ds_bpermute_b32 v2, v9, v0
	ds_bpermute_b32 v3, v9, v1
	s_waitcnt lgkmcnt(0)
	v_add_f64 v[0:1], v[0:1], v[2:3]
	v_or_b32_e32 v2, s6, v4
	v_mov_b32_e32 v3, s7
	v_cmp_le_i64_e64 s[2:3], s[14:15], v[2:3]
	s_or_b64 s[2:3], s[0:1], s[2:3]
	s_nor_b64 s[2:3], s[8:9], s[2:3]
	s_and_saveexec_b64 s[10:11], s[2:3]
	s_cbranch_execz .LBB128_138
; %bb.137:
	v_lshlrev_b64 v[2:3], 3, v[2:3]
	v_mov_b32_e32 v10, s5
	v_add_co_u32_e64 v2, s[2:3], s4, v2
	v_addc_co_u32_e64 v3, s[2:3], v10, v3, s[2:3]
	global_store_dwordx2 v[2:3], v[0:1], off
.LBB128_138:
	s_or_b64 exec, exec, s[10:11]
	v_cmp_gt_u32_e64 s[2:3], 48, v4
	s_and_b64 exec, exec, s[2:3]
	s_cbranch_execz .LBB128_153
; %bb.139:
	s_and_saveexec_b64 s[2:3], vcc
; %bb.140:
	v_lshlrev_b32_e32 v0, 3, v4
	v_lshlrev_b32_e32 v1, 3, v5
	v_add3_u32 v0, 0, v0, v1
	ds_read_b64 v[0:1], v0 offset:128
; %bb.141:
	s_or_b64 exec, exec, s[2:3]
	s_waitcnt lgkmcnt(0)
	ds_bpermute_b32 v2, v6, v0
	ds_bpermute_b32 v3, v6, v1
	v_add_u32_e32 v10, 16, v4
	v_mov_b32_e32 v11, s7
	s_waitcnt lgkmcnt(0)
	v_add_f64 v[0:1], v[0:1], v[2:3]
	ds_bpermute_b32 v2, v7, v0
	ds_bpermute_b32 v3, v7, v1
	s_waitcnt lgkmcnt(0)
	v_add_f64 v[0:1], v[0:1], v[2:3]
	ds_bpermute_b32 v2, v8, v0
	ds_bpermute_b32 v3, v8, v1
	;; [unrolled: 4-line block ×3, first 2 shown]
	s_waitcnt lgkmcnt(0)
	v_add_f64 v[0:1], v[0:1], v[2:3]
	v_add_co_u32_e64 v2, s[2:3], s6, v10
	v_addc_co_u32_e64 v3, s[2:3], 0, v11, s[2:3]
	v_cmp_le_i64_e64 s[2:3], s[14:15], v[2:3]
	s_or_b64 s[2:3], s[0:1], s[2:3]
	s_nor_b64 s[2:3], s[8:9], s[2:3]
	s_and_saveexec_b64 s[10:11], s[2:3]
	s_cbranch_execz .LBB128_143
; %bb.142:
	v_mov_b32_e32 v3, s7
	v_add_co_u32_e64 v2, s[2:3], s6, v4
	v_addc_co_u32_e64 v3, s[2:3], 0, v3, s[2:3]
	v_lshlrev_b64 v[2:3], 3, v[2:3]
	v_mov_b32_e32 v10, s5
	v_add_co_u32_e64 v2, s[2:3], s4, v2
	v_addc_co_u32_e64 v3, s[2:3], v10, v3, s[2:3]
	global_store_dwordx2 v[2:3], v[0:1], off offset:128
.LBB128_143:
	s_or_b64 exec, exec, s[10:11]
	v_cmp_gt_u32_e64 s[2:3], 32, v4
	s_and_b64 exec, exec, s[2:3]
	s_cbranch_execz .LBB128_153
; %bb.144:
	s_and_saveexec_b64 s[2:3], vcc
; %bb.145:
	v_lshlrev_b32_e32 v0, 3, v4
	v_lshlrev_b32_e32 v1, 3, v5
	v_add3_u32 v0, 0, v0, v1
	ds_read_b64 v[0:1], v0 offset:256
; %bb.146:
	s_or_b64 exec, exec, s[2:3]
	s_waitcnt lgkmcnt(0)
	ds_bpermute_b32 v2, v6, v0
	ds_bpermute_b32 v3, v6, v1
	s_waitcnt lgkmcnt(0)
	v_add_f64 v[0:1], v[0:1], v[2:3]
	ds_bpermute_b32 v2, v7, v0
	ds_bpermute_b32 v3, v7, v1
	s_waitcnt lgkmcnt(0)
	v_add_f64 v[0:1], v[0:1], v[2:3]
	;; [unrolled: 4-line block ×4, first 2 shown]
	v_add_u32_e32 v2, 32, v4
	v_or_b32_e32 v2, s6, v2
	v_mov_b32_e32 v3, s7
	v_cmp_le_i64_e64 s[2:3], s[14:15], v[2:3]
	s_or_b64 s[2:3], s[0:1], s[2:3]
	s_nor_b64 s[2:3], s[8:9], s[2:3]
	s_and_saveexec_b64 s[10:11], s[2:3]
	s_cbranch_execz .LBB128_148
; %bb.147:
	v_mov_b32_e32 v3, s7
	v_add_co_u32_e64 v2, s[2:3], s6, v4
	v_addc_co_u32_e64 v3, s[2:3], 0, v3, s[2:3]
	v_lshlrev_b64 v[2:3], 3, v[2:3]
	v_mov_b32_e32 v10, s5
	v_add_co_u32_e64 v2, s[2:3], s4, v2
	v_addc_co_u32_e64 v3, s[2:3], v10, v3, s[2:3]
	global_store_dwordx2 v[2:3], v[0:1], off offset:256
.LBB128_148:
	s_or_b64 exec, exec, s[10:11]
	v_cmp_gt_u32_e64 s[2:3], 16, v4
	s_and_b64 exec, exec, s[2:3]
	s_cbranch_execz .LBB128_153
; %bb.149:
	s_and_saveexec_b64 s[2:3], vcc
; %bb.150:
	v_lshlrev_b32_e32 v0, 3, v4
	v_lshlrev_b32_e32 v1, 3, v5
	v_add3_u32 v0, 0, v0, v1
	ds_read_b64 v[0:1], v0 offset:384
; %bb.151:
	s_or_b64 exec, exec, s[2:3]
	s_waitcnt lgkmcnt(0)
	ds_bpermute_b32 v2, v6, v0
	ds_bpermute_b32 v3, v6, v1
	v_mov_b32_e32 v6, s7
	s_waitcnt lgkmcnt(0)
	v_add_f64 v[0:1], v[0:1], v[2:3]
	ds_bpermute_b32 v2, v7, v0
	ds_bpermute_b32 v3, v7, v1
	s_waitcnt lgkmcnt(0)
	v_add_f64 v[0:1], v[0:1], v[2:3]
	ds_bpermute_b32 v2, v8, v0
	ds_bpermute_b32 v3, v8, v1
	s_waitcnt lgkmcnt(0)
	v_add_f64 v[0:1], v[0:1], v[2:3]
	v_add_u32_e32 v2, 48, v4
	v_or_b32_e32 v5, s6, v2
	v_cmp_le_i64_e32 vcc, s[14:15], v[5:6]
	s_or_b64 s[0:1], s[0:1], vcc
	s_nor_b64 s[0:1], s[8:9], s[0:1]
	ds_bpermute_b32 v2, v9, v0
	ds_bpermute_b32 v3, v9, v1
	s_and_saveexec_b64 s[2:3], s[0:1]
	s_xor_b64 s[2:3], exec, s[2:3]
	s_cbranch_execz .LBB128_153
; %bb.152:
	s_waitcnt lgkmcnt(0)
	v_add_f64 v[0:1], v[0:1], v[2:3]
	v_mov_b32_e32 v3, s7
	v_add_co_u32_e32 v2, vcc, s6, v4
	v_addc_co_u32_e32 v3, vcc, 0, v3, vcc
	v_lshlrev_b64 v[2:3], 3, v[2:3]
	v_mov_b32_e32 v4, s5
	v_add_co_u32_e32 v2, vcc, s4, v2
	v_addc_co_u32_e32 v3, vcc, v4, v3, vcc
	global_store_dwordx2 v[2:3], v[0:1], off offset:384
.LBB128_153:
	s_endpgm
	.section	.rodata,"a",@progbits
	.p2align	6, 0x0
	.amdhsa_kernel _ZN2at6native12_GLOBAL__N_135GammaBetaBackwardCUDAKernelTemplateIddLj64ELj16ELj256ELb0ELb0ELb1EEEvllPKT_S5_PKT0_S8_PS3_S9_
		.amdhsa_group_segment_fixed_size 0
		.amdhsa_private_segment_fixed_size 580
		.amdhsa_kernarg_size 320
		.amdhsa_user_sgpr_count 6
		.amdhsa_user_sgpr_private_segment_buffer 1
		.amdhsa_user_sgpr_dispatch_ptr 0
		.amdhsa_user_sgpr_queue_ptr 0
		.amdhsa_user_sgpr_kernarg_segment_ptr 1
		.amdhsa_user_sgpr_dispatch_id 0
		.amdhsa_user_sgpr_flat_scratch_init 0
		.amdhsa_user_sgpr_private_segment_size 0
		.amdhsa_uses_dynamic_stack 0
		.amdhsa_system_sgpr_private_segment_wavefront_offset 1
		.amdhsa_system_sgpr_workgroup_id_x 1
		.amdhsa_system_sgpr_workgroup_id_y 1
		.amdhsa_system_sgpr_workgroup_id_z 0
		.amdhsa_system_sgpr_workgroup_info 0
		.amdhsa_system_vgpr_workitem_id 1
		.amdhsa_next_free_vgpr 64
		.amdhsa_next_free_sgpr 40
		.amdhsa_reserve_vcc 1
		.amdhsa_reserve_flat_scratch 0
		.amdhsa_float_round_mode_32 0
		.amdhsa_float_round_mode_16_64 0
		.amdhsa_float_denorm_mode_32 3
		.amdhsa_float_denorm_mode_16_64 3
		.amdhsa_dx10_clamp 1
		.amdhsa_ieee_mode 1
		.amdhsa_fp16_overflow 0
		.amdhsa_exception_fp_ieee_invalid_op 0
		.amdhsa_exception_fp_denorm_src 0
		.amdhsa_exception_fp_ieee_div_zero 0
		.amdhsa_exception_fp_ieee_overflow 0
		.amdhsa_exception_fp_ieee_underflow 0
		.amdhsa_exception_fp_ieee_inexact 0
		.amdhsa_exception_int_div_zero 0
	.end_amdhsa_kernel
	.section	.text._ZN2at6native12_GLOBAL__N_135GammaBetaBackwardCUDAKernelTemplateIddLj64ELj16ELj256ELb0ELb0ELb1EEEvllPKT_S5_PKT0_S8_PS3_S9_,"axG",@progbits,_ZN2at6native12_GLOBAL__N_135GammaBetaBackwardCUDAKernelTemplateIddLj64ELj16ELj256ELb0ELb0ELb1EEEvllPKT_S5_PKT0_S8_PS3_S9_,comdat
.Lfunc_end128:
	.size	_ZN2at6native12_GLOBAL__N_135GammaBetaBackwardCUDAKernelTemplateIddLj64ELj16ELj256ELb0ELb0ELb1EEEvllPKT_S5_PKT0_S8_PS3_S9_, .Lfunc_end128-_ZN2at6native12_GLOBAL__N_135GammaBetaBackwardCUDAKernelTemplateIddLj64ELj16ELj256ELb0ELb0ELb1EEEvllPKT_S5_PKT0_S8_PS3_S9_
                                        ; -- End function
	.set _ZN2at6native12_GLOBAL__N_135GammaBetaBackwardCUDAKernelTemplateIddLj64ELj16ELj256ELb0ELb0ELb1EEEvllPKT_S5_PKT0_S8_PS3_S9_.num_vgpr, 64
	.set _ZN2at6native12_GLOBAL__N_135GammaBetaBackwardCUDAKernelTemplateIddLj64ELj16ELj256ELb0ELb0ELb1EEEvllPKT_S5_PKT0_S8_PS3_S9_.num_agpr, 0
	.set _ZN2at6native12_GLOBAL__N_135GammaBetaBackwardCUDAKernelTemplateIddLj64ELj16ELj256ELb0ELb0ELb1EEEvllPKT_S5_PKT0_S8_PS3_S9_.numbered_sgpr, 40
	.set _ZN2at6native12_GLOBAL__N_135GammaBetaBackwardCUDAKernelTemplateIddLj64ELj16ELj256ELb0ELb0ELb1EEEvllPKT_S5_PKT0_S8_PS3_S9_.num_named_barrier, 0
	.set _ZN2at6native12_GLOBAL__N_135GammaBetaBackwardCUDAKernelTemplateIddLj64ELj16ELj256ELb0ELb0ELb1EEEvllPKT_S5_PKT0_S8_PS3_S9_.private_seg_size, 580
	.set _ZN2at6native12_GLOBAL__N_135GammaBetaBackwardCUDAKernelTemplateIddLj64ELj16ELj256ELb0ELb0ELb1EEEvllPKT_S5_PKT0_S8_PS3_S9_.uses_vcc, 1
	.set _ZN2at6native12_GLOBAL__N_135GammaBetaBackwardCUDAKernelTemplateIddLj64ELj16ELj256ELb0ELb0ELb1EEEvllPKT_S5_PKT0_S8_PS3_S9_.uses_flat_scratch, 0
	.set _ZN2at6native12_GLOBAL__N_135GammaBetaBackwardCUDAKernelTemplateIddLj64ELj16ELj256ELb0ELb0ELb1EEEvllPKT_S5_PKT0_S8_PS3_S9_.has_dyn_sized_stack, 0
	.set _ZN2at6native12_GLOBAL__N_135GammaBetaBackwardCUDAKernelTemplateIddLj64ELj16ELj256ELb0ELb0ELb1EEEvllPKT_S5_PKT0_S8_PS3_S9_.has_recursion, 0
	.set _ZN2at6native12_GLOBAL__N_135GammaBetaBackwardCUDAKernelTemplateIddLj64ELj16ELj256ELb0ELb0ELb1EEEvllPKT_S5_PKT0_S8_PS3_S9_.has_indirect_call, 0
	.section	.AMDGPU.csdata,"",@progbits
; Kernel info:
; codeLenInByte = 22380
; TotalNumSgprs: 44
; NumVgprs: 64
; ScratchSize: 580
; MemoryBound: 1
; FloatMode: 240
; IeeeMode: 1
; LDSByteSize: 0 bytes/workgroup (compile time only)
; SGPRBlocks: 5
; VGPRBlocks: 15
; NumSGPRsForWavesPerEU: 44
; NumVGPRsForWavesPerEU: 64
; Occupancy: 4
; WaveLimiterHint : 0
; COMPUTE_PGM_RSRC2:SCRATCH_EN: 1
; COMPUTE_PGM_RSRC2:USER_SGPR: 6
; COMPUTE_PGM_RSRC2:TRAP_HANDLER: 0
; COMPUTE_PGM_RSRC2:TGID_X_EN: 1
; COMPUTE_PGM_RSRC2:TGID_Y_EN: 1
; COMPUTE_PGM_RSRC2:TGID_Z_EN: 0
; COMPUTE_PGM_RSRC2:TIDIG_COMP_CNT: 1
	.section	.text._ZN2at6native12_GLOBAL__N_135GammaBetaBackwardCUDAKernelTemplateIddLj32ELj1ELj32ELb1ELb1ELb1EEEvllPKT_S5_PKT0_S8_PS3_S9_,"axG",@progbits,_ZN2at6native12_GLOBAL__N_135GammaBetaBackwardCUDAKernelTemplateIddLj32ELj1ELj32ELb1ELb1ELb1EEEvllPKT_S5_PKT0_S8_PS3_S9_,comdat
	.globl	_ZN2at6native12_GLOBAL__N_135GammaBetaBackwardCUDAKernelTemplateIddLj32ELj1ELj32ELb1ELb1ELb1EEEvllPKT_S5_PKT0_S8_PS3_S9_ ; -- Begin function _ZN2at6native12_GLOBAL__N_135GammaBetaBackwardCUDAKernelTemplateIddLj32ELj1ELj32ELb1ELb1ELb1EEEvllPKT_S5_PKT0_S8_PS3_S9_
	.p2align	8
	.type	_ZN2at6native12_GLOBAL__N_135GammaBetaBackwardCUDAKernelTemplateIddLj32ELj1ELj32ELb1ELb1ELb1EEEvllPKT_S5_PKT0_S8_PS3_S9_,@function
_ZN2at6native12_GLOBAL__N_135GammaBetaBackwardCUDAKernelTemplateIddLj32ELj1ELj32ELb1ELb1ELb1EEEvllPKT_S5_PKT0_S8_PS3_S9_: ; @_ZN2at6native12_GLOBAL__N_135GammaBetaBackwardCUDAKernelTemplateIddLj32ELj1ELj32ELb1ELb1ELb1EEEvllPKT_S5_PKT0_S8_PS3_S9_
; %bb.0:
	s_load_dwordx4 s[8:11], s[4:5], 0x0
	s_load_dwordx2 s[16:17], s[4:5], 0x30
	s_lshl_b32 s18, s7, 5
	s_mov_b32 s19, 0
	v_mov_b32_e32 v2, s18
	v_mov_b32_e32 v3, s19
	s_waitcnt lgkmcnt(0)
	v_cmp_le_i64_e32 vcc, s[8:9], v[2:3]
	v_mov_b32_e32 v8, 0
	v_mov_b32_e32 v9, 0
	s_cbranch_vccnz .LBB129_7
; %bb.1:
	s_load_dword s0, s[4:5], 0x4c
	s_load_dword s22, s[4:5], 0x44
	s_load_dwordx4 s[12:15], s[4:5], 0x10
	s_load_dwordx2 s[2:3], s[4:5], 0x28
	v_lshlrev_b32_e32 v2, 5, v1
	s_waitcnt lgkmcnt(0)
	s_and_b32 s0, s0, 0xffff
	v_mad_u32_u24 v3, v1, s0, v0
	v_and_b32_e32 v3, 63, v3
	v_mbcnt_lo_u32_b32 v4, -1, 0
	v_add_co_u32_e32 v8, vcc, s18, v2
	v_mbcnt_hi_u32_b32 v4, -1, v4
	v_addc_co_u32_e64 v9, s[20:21], 0, 0, vcc
	v_add_co_u32_e32 v2, vcc, v8, v3
	v_cmp_gt_u32_e64 s[0:1], 32, v3
	v_lshlrev_b32_e32 v4, 2, v4
	v_addc_co_u32_e32 v3, vcc, 0, v9, vcc
	v_and_b32_e32 v10, 0x100, v4
	v_lshlrev_b64 v[4:5], 3, v[2:3]
	v_mov_b32_e32 v14, s3
	v_add_co_u32_e32 v4, vcc, s2, v4
	v_mul_lo_u32 v17, s11, v8
	v_mul_lo_u32 v18, s10, v9
	v_mad_u64_u32 v[8:9], s[2:3], s10, v8, 0
	v_mov_b32_e32 v7, 0
	v_lshl_or_b32 v6, s6, 5, v0
	v_add3_u32 v9, v9, v18, v17
	v_lshlrev_b64 v[8:9], 3, v[8:9]
	v_lshlrev_b64 v[6:7], 3, v[6:7]
	v_addc_co_u32_e32 v5, vcc, v14, v5, vcc
	s_lshl_b32 s20, s22, 5
	v_add_co_u32_e32 v18, vcc, v8, v6
	s_mul_i32 s2, s11, s20
	s_mul_hi_u32 s3, s10, s20
	v_addc_co_u32_e32 v19, vcc, v9, v7, vcc
	s_mov_b32 s21, s19
	s_add_i32 s3, s3, s2
	s_mul_i32 s2, s10, s20
	v_mov_b32_e32 v8, 0
	v_or_b32_e32 v11, 4, v10
	v_or_b32_e32 v12, 8, v10
	;; [unrolled: 1-line block ×10, first 2 shown]
	s_lshl_b64 s[22:23], s[20:21], 3
	s_lshl_b64 s[24:25], s[2:3], 3
	;; [unrolled: 1-line block ×3, first 2 shown]
	v_or_b32_e32 v23, 44, v10
	v_or_b32_e32 v24, 48, v10
	;; [unrolled: 1-line block ×20, first 2 shown]
	v_mov_b32_e32 v9, 0
	v_or_b32_e32 v43, 0x7c, v10
	s_branch .LBB129_4
.LBB129_2:                              ;   in Loop: Header=BB129_4 Depth=1
	s_or_b64 exec, exec, s[28:29]
.LBB129_3:                              ;   in Loop: Header=BB129_4 Depth=1
	s_or_b64 exec, exec, s[2:3]
	v_mov_b32_e32 v44, s13
	v_add_co_u32_e32 v45, vcc, s12, v18
	v_addc_co_u32_e32 v46, vcc, v44, v19, vcc
	v_mov_b32_e32 v44, s15
	v_add_co_u32_e32 v47, vcc, s14, v18
	v_addc_co_u32_e32 v48, vcc, v44, v19, vcc
	global_load_dwordx2 v[49:50], v[45:46], off
	global_load_dwordx2 v[51:52], v[47:48], off
	v_mov_b32_e32 v44, s27
	v_add_co_u32_e32 v45, vcc, s26, v45
	v_addc_co_u32_e32 v46, vcc, v46, v44, vcc
	v_add_co_u32_e32 v47, vcc, s26, v47
	v_addc_co_u32_e32 v48, vcc, v48, v44, vcc
	global_load_dwordx2 v[53:54], v[45:46], off
	global_load_dwordx2 v[55:56], v[47:48], off
	v_add_co_u32_e32 v45, vcc, s26, v45
	v_addc_co_u32_e32 v46, vcc, v46, v44, vcc
	v_add_co_u32_e32 v47, vcc, s26, v47
	v_addc_co_u32_e32 v48, vcc, v48, v44, vcc
	global_load_dwordx2 v[57:58], v[45:46], off
	global_load_dwordx2 v[59:60], v[47:48], off
	v_add_co_u32_e32 v45, vcc, s26, v45
	v_addc_co_u32_e32 v46, vcc, v46, v44, vcc
	v_add_co_u32_e32 v47, vcc, s26, v47
	v_addc_co_u32_e32 v48, vcc, v48, v44, vcc
	s_add_u32 s18, s18, s20
	s_addc_u32 s19, s19, 0
	v_add_co_u32_e64 v4, s[2:3], s22, v4
	s_waitcnt vmcnt(4)
	v_mul_f64 v[49:50], v[49:50], v[51:52]
	ds_bpermute_b32 v51, v10, v6
	ds_bpermute_b32 v52, v10, v7
	s_waitcnt lgkmcnt(0)
	v_fma_f64 v[8:9], v[49:50], v[51:52], v[8:9]
	global_load_dwordx2 v[49:50], v[45:46], off
	global_load_dwordx2 v[51:52], v[47:48], off
	s_waitcnt vmcnt(4)
	v_mul_f64 v[53:54], v[53:54], v[55:56]
	ds_bpermute_b32 v55, v11, v6
	ds_bpermute_b32 v56, v11, v7
	v_add_co_u32_e32 v45, vcc, s26, v45
	v_addc_co_u32_e32 v46, vcc, v46, v44, vcc
	v_add_co_u32_e32 v47, vcc, s26, v47
	v_addc_co_u32_e32 v48, vcc, v48, v44, vcc
	s_waitcnt lgkmcnt(0)
	v_fma_f64 v[8:9], v[53:54], v[55:56], v[8:9]
	global_load_dwordx2 v[53:54], v[45:46], off
	global_load_dwordx2 v[55:56], v[47:48], off
	s_waitcnt vmcnt(4)
	v_mul_f64 v[57:58], v[57:58], v[59:60]
	ds_bpermute_b32 v59, v12, v6
	ds_bpermute_b32 v60, v12, v7
	v_add_co_u32_e32 v45, vcc, s26, v45
	v_addc_co_u32_e32 v46, vcc, v46, v44, vcc
	v_add_co_u32_e32 v47, vcc, s26, v47
	v_addc_co_u32_e32 v48, vcc, v48, v44, vcc
	s_waitcnt lgkmcnt(0)
	v_fma_f64 v[8:9], v[57:58], v[59:60], v[8:9]
	global_load_dwordx2 v[57:58], v[45:46], off
	global_load_dwordx2 v[59:60], v[47:48], off
	v_add_co_u32_e32 v45, vcc, s26, v45
	v_addc_co_u32_e32 v46, vcc, v46, v44, vcc
	v_add_co_u32_e32 v47, vcc, s26, v47
	v_addc_co_u32_e32 v48, vcc, v48, v44, vcc
	s_waitcnt vmcnt(4)
	v_mul_f64 v[49:50], v[49:50], v[51:52]
	ds_bpermute_b32 v51, v13, v6
	ds_bpermute_b32 v52, v13, v7
	s_waitcnt lgkmcnt(0)
	v_fma_f64 v[8:9], v[49:50], v[51:52], v[8:9]
	global_load_dwordx2 v[49:50], v[45:46], off
	global_load_dwordx2 v[51:52], v[47:48], off
	v_add_co_u32_e32 v45, vcc, s26, v45
	v_addc_co_u32_e32 v46, vcc, v46, v44, vcc
	s_waitcnt vmcnt(4)
	v_mul_f64 v[53:54], v[53:54], v[55:56]
	ds_bpermute_b32 v55, v14, v6
	ds_bpermute_b32 v56, v14, v7
	v_add_co_u32_e32 v47, vcc, s26, v47
	v_addc_co_u32_e32 v48, vcc, v48, v44, vcc
	s_waitcnt lgkmcnt(0)
	v_fma_f64 v[8:9], v[53:54], v[55:56], v[8:9]
	ds_bpermute_b32 v53, v15, v6
	ds_bpermute_b32 v54, v15, v7
	;; [unrolled: 1-line block ×4, first 2 shown]
	s_waitcnt vmcnt(2)
	v_mul_f64 v[57:58], v[57:58], v[59:60]
	global_load_dwordx2 v[59:60], v[45:46], off
	v_add_co_u32_e32 v45, vcc, s26, v45
	v_addc_co_u32_e32 v46, vcc, v46, v44, vcc
	s_waitcnt lgkmcnt(2)
	v_fma_f64 v[8:9], v[57:58], v[53:54], v[8:9]
	global_load_dwordx2 v[53:54], v[47:48], off
	v_add_co_u32_e32 v47, vcc, s26, v47
	v_addc_co_u32_e32 v48, vcc, v48, v44, vcc
	v_add_co_u32_e32 v57, vcc, s26, v45
	v_addc_co_u32_e32 v58, vcc, v46, v44, vcc
	global_load_dwordx2 v[45:46], v[45:46], off
	s_waitcnt vmcnt(3)
	v_mul_f64 v[49:50], v[49:50], v[51:52]
	v_add_co_u32_e32 v51, vcc, s26, v47
	v_addc_co_u32_e32 v52, vcc, v48, v44, vcc
	global_load_dwordx2 v[47:48], v[47:48], off
	s_waitcnt lgkmcnt(0)
	v_fma_f64 v[8:9], v[49:50], v[55:56], v[8:9]
	global_load_dwordx2 v[49:50], v[57:58], off
	global_load_dwordx2 v[55:56], v[51:52], off
	v_add_co_u32_e32 v57, vcc, s26, v57
	v_addc_co_u32_e32 v58, vcc, v58, v44, vcc
	s_waitcnt vmcnt(4)
	v_mul_f64 v[53:54], v[59:60], v[53:54]
	ds_bpermute_b32 v59, v17, v6
	ds_bpermute_b32 v60, v17, v7
	s_waitcnt lgkmcnt(0)
	v_fma_f64 v[8:9], v[53:54], v[59:60], v[8:9]
	ds_bpermute_b32 v53, v20, v6
	ds_bpermute_b32 v54, v20, v7
	;; [unrolled: 1-line block ×4, first 2 shown]
	s_waitcnt vmcnt(2)
	v_mul_f64 v[45:46], v[45:46], v[47:48]
	v_add_co_u32_e32 v47, vcc, s26, v51
	v_addc_co_u32_e32 v48, vcc, v52, v44, vcc
	global_load_dwordx2 v[51:52], v[57:58], off
	s_waitcnt vmcnt(1)
	v_mul_f64 v[49:50], v[49:50], v[55:56]
	global_load_dwordx2 v[55:56], v[47:48], off
	s_waitcnt lgkmcnt(2)
	v_fma_f64 v[8:9], v[45:46], v[53:54], v[8:9]
	v_add_co_u32_e32 v45, vcc, s26, v57
	v_addc_co_u32_e32 v46, vcc, v58, v44, vcc
	v_add_co_u32_e32 v47, vcc, s26, v47
	v_addc_co_u32_e32 v48, vcc, v48, v44, vcc
	global_load_dwordx2 v[53:54], v[45:46], off
	global_load_dwordx2 v[57:58], v[47:48], off
	v_add_co_u32_e32 v45, vcc, s26, v45
	v_addc_co_u32_e32 v46, vcc, v46, v44, vcc
	v_add_co_u32_e32 v47, vcc, s26, v47
	s_waitcnt lgkmcnt(0)
	v_fma_f64 v[8:9], v[49:50], v[59:60], v[8:9]
	v_addc_co_u32_e32 v48, vcc, v48, v44, vcc
	global_load_dwordx2 v[49:50], v[45:46], off
	global_load_dwordx2 v[59:60], v[47:48], off
	v_add_co_u32_e32 v45, vcc, s26, v45
	v_addc_co_u32_e32 v46, vcc, v46, v44, vcc
	v_add_co_u32_e32 v47, vcc, s26, v47
	v_addc_co_u32_e32 v48, vcc, v48, v44, vcc
	s_waitcnt vmcnt(4)
	v_mul_f64 v[51:52], v[51:52], v[55:56]
	ds_bpermute_b32 v55, v22, v6
	ds_bpermute_b32 v56, v22, v7
	s_waitcnt lgkmcnt(0)
	v_fma_f64 v[8:9], v[51:52], v[55:56], v[8:9]
	s_waitcnt vmcnt(2)
	v_mul_f64 v[51:52], v[53:54], v[57:58]
	ds_bpermute_b32 v53, v23, v6
	ds_bpermute_b32 v54, v23, v7
	s_waitcnt lgkmcnt(0)
	v_fma_f64 v[8:9], v[51:52], v[53:54], v[8:9]
	ds_bpermute_b32 v51, v24, v6
	s_waitcnt vmcnt(0)
	v_mul_f64 v[49:50], v[49:50], v[59:60]
	ds_bpermute_b32 v52, v24, v7
	s_waitcnt lgkmcnt(0)
	v_fma_f64 v[8:9], v[49:50], v[51:52], v[8:9]
	global_load_dwordx2 v[49:50], v[45:46], off
	global_load_dwordx2 v[51:52], v[47:48], off
	v_add_co_u32_e32 v45, vcc, s26, v45
	v_addc_co_u32_e32 v46, vcc, v46, v44, vcc
	v_add_co_u32_e32 v47, vcc, s26, v47
	v_addc_co_u32_e32 v48, vcc, v48, v44, vcc
	global_load_dwordx2 v[53:54], v[45:46], off
	global_load_dwordx2 v[55:56], v[47:48], off
	v_add_co_u32_e32 v45, vcc, s26, v45
	v_addc_co_u32_e32 v46, vcc, v46, v44, vcc
	v_add_co_u32_e32 v47, vcc, s26, v47
	v_addc_co_u32_e32 v48, vcc, v48, v44, vcc
	global_load_dwordx2 v[57:58], v[45:46], off
	global_load_dwordx2 v[59:60], v[47:48], off
	v_add_co_u32_e32 v45, vcc, s26, v45
	v_addc_co_u32_e32 v46, vcc, v46, v44, vcc
	v_add_co_u32_e32 v47, vcc, s26, v47
	v_addc_co_u32_e32 v48, vcc, v48, v44, vcc
	s_waitcnt vmcnt(4)
	v_mul_f64 v[49:50], v[49:50], v[51:52]
	ds_bpermute_b32 v51, v25, v6
	ds_bpermute_b32 v52, v25, v7
	s_waitcnt lgkmcnt(0)
	v_fma_f64 v[8:9], v[49:50], v[51:52], v[8:9]
	s_waitcnt vmcnt(2)
	v_mul_f64 v[49:50], v[53:54], v[55:56]
	ds_bpermute_b32 v51, v26, v6
	ds_bpermute_b32 v52, v26, v7
	s_waitcnt lgkmcnt(0)
	v_fma_f64 v[8:9], v[49:50], v[51:52], v[8:9]
	s_waitcnt vmcnt(0)
	v_mul_f64 v[49:50], v[57:58], v[59:60]
	ds_bpermute_b32 v51, v27, v6
	ds_bpermute_b32 v52, v27, v7
	s_waitcnt lgkmcnt(0)
	v_fma_f64 v[8:9], v[49:50], v[51:52], v[8:9]
	global_load_dwordx2 v[49:50], v[45:46], off
	global_load_dwordx2 v[51:52], v[47:48], off
	v_add_co_u32_e32 v45, vcc, s26, v45
	v_addc_co_u32_e32 v46, vcc, v46, v44, vcc
	v_add_co_u32_e32 v47, vcc, s26, v47
	v_addc_co_u32_e32 v48, vcc, v48, v44, vcc
	global_load_dwordx2 v[53:54], v[45:46], off
	global_load_dwordx2 v[55:56], v[47:48], off
	v_add_co_u32_e32 v45, vcc, s26, v45
	v_addc_co_u32_e32 v46, vcc, v46, v44, vcc
	v_add_co_u32_e32 v47, vcc, s26, v47
	v_addc_co_u32_e32 v48, vcc, v48, v44, vcc
	global_load_dwordx2 v[57:58], v[45:46], off
	global_load_dwordx2 v[59:60], v[47:48], off
	v_add_co_u32_e32 v45, vcc, s26, v45
	v_addc_co_u32_e32 v46, vcc, v46, v44, vcc
	v_add_co_u32_e32 v47, vcc, s26, v47
	v_addc_co_u32_e32 v48, vcc, v48, v44, vcc
	s_waitcnt vmcnt(4)
	v_mul_f64 v[49:50], v[49:50], v[51:52]
	ds_bpermute_b32 v51, v28, v6
	ds_bpermute_b32 v52, v28, v7
	s_waitcnt lgkmcnt(0)
	v_fma_f64 v[8:9], v[49:50], v[51:52], v[8:9]
	s_waitcnt vmcnt(2)
	v_mul_f64 v[49:50], v[53:54], v[55:56]
	ds_bpermute_b32 v51, v29, v6
	ds_bpermute_b32 v52, v29, v7
	s_waitcnt lgkmcnt(0)
	v_fma_f64 v[8:9], v[49:50], v[51:52], v[8:9]
	s_waitcnt vmcnt(0)
	v_mul_f64 v[49:50], v[57:58], v[59:60]
	ds_bpermute_b32 v51, v30, v6
	;; [unrolled: 36-line block ×5, first 2 shown]
	ds_bpermute_b32 v52, v39, v7
	s_waitcnt lgkmcnt(0)
	v_fma_f64 v[8:9], v[49:50], v[51:52], v[8:9]
	global_load_dwordx2 v[49:50], v[45:46], off
	global_load_dwordx2 v[51:52], v[47:48], off
	v_add_co_u32_e32 v45, vcc, s26, v45
	v_addc_co_u32_e32 v46, vcc, v46, v44, vcc
	v_add_co_u32_e32 v47, vcc, s26, v47
	v_addc_co_u32_e32 v48, vcc, v48, v44, vcc
	global_load_dwordx2 v[53:54], v[45:46], off
	global_load_dwordx2 v[55:56], v[47:48], off
	v_add_co_u32_e32 v45, vcc, s26, v45
	v_addc_co_u32_e32 v46, vcc, v46, v44, vcc
	v_add_co_u32_e32 v47, vcc, s26, v47
	v_addc_co_u32_e32 v48, vcc, v48, v44, vcc
	global_load_dwordx2 v[57:58], v[45:46], off
	v_add_co_u32_e32 v45, vcc, s26, v45
	v_addc_co_u32_e32 v46, vcc, v46, v44, vcc
	v_add_co_u32_e32 v59, vcc, s26, v47
	v_addc_co_u32_e32 v60, vcc, v48, v44, vcc
	global_load_dwordx2 v[61:62], v[47:48], off
	global_load_dwordx2 v[63:64], v[45:46], off
                                        ; kill: killed $vgpr47 killed $vgpr48
                                        ; kill: killed $vgpr45 killed $vgpr46
	s_nop 0
	global_load_dwordx2 v[44:45], v[59:60], off
	ds_bpermute_b32 v48, v40, v6
	s_waitcnt vmcnt(6)
	v_mul_f64 v[46:47], v[49:50], v[51:52]
	ds_bpermute_b32 v49, v40, v7
	s_waitcnt lgkmcnt(0)
	v_fma_f64 v[8:9], v[46:47], v[48:49], v[8:9]
	s_waitcnt vmcnt(4)
	v_mul_f64 v[46:47], v[53:54], v[55:56]
	ds_bpermute_b32 v48, v41, v6
	ds_bpermute_b32 v49, v41, v7
	s_waitcnt lgkmcnt(0)
	v_fma_f64 v[8:9], v[46:47], v[48:49], v[8:9]
	ds_bpermute_b32 v48, v42, v6
	ds_bpermute_b32 v49, v42, v7
	;; [unrolled: 1-line block ×4, first 2 shown]
	s_waitcnt vmcnt(2)
	v_mul_f64 v[46:47], v[57:58], v[61:62]
	s_waitcnt vmcnt(0)
	v_mul_f64 v[44:45], v[63:64], v[44:45]
	s_waitcnt lgkmcnt(2)
	v_fma_f64 v[8:9], v[46:47], v[48:49], v[8:9]
	s_waitcnt lgkmcnt(0)
	v_fma_f64 v[8:9], v[44:45], v[6:7], v[8:9]
	v_mov_b32_e32 v6, s8
	v_mov_b32_e32 v7, s9
	v_cmp_lt_i64_e32 vcc, s[18:19], v[6:7]
	v_mov_b32_e32 v6, s23
	v_addc_co_u32_e64 v5, s[2:3], v5, v6, s[2:3]
	v_mov_b32_e32 v6, s25
	v_add_co_u32_e64 v18, s[2:3], s24, v18
	v_addc_co_u32_e64 v19, s[2:3], v19, v6, s[2:3]
	v_add_co_u32_e64 v2, s[2:3], s20, v2
	v_addc_co_u32_e64 v3, s[2:3], 0, v3, s[2:3]
	s_cbranch_vccz .LBB129_7
.LBB129_4:                              ; =>This Inner Loop Header: Depth=1
	v_mov_b32_e32 v6, 0
	v_mov_b32_e32 v7, 0
	s_and_saveexec_b64 s[2:3], s[0:1]
	s_cbranch_execz .LBB129_3
; %bb.5:                                ;   in Loop: Header=BB129_4 Depth=1
	v_cmp_gt_i64_e32 vcc, s[8:9], v[2:3]
	v_mov_b32_e32 v6, 0
	v_mov_b32_e32 v7, 0
	s_and_saveexec_b64 s[28:29], vcc
	s_cbranch_execz .LBB129_2
; %bb.6:                                ;   in Loop: Header=BB129_4 Depth=1
	global_load_dwordx2 v[6:7], v[4:5], off
	s_branch .LBB129_2
.LBB129_7:
	s_cmp_eq_u64 s[16:17], 0
	s_cbranch_scc1 .LBB129_9
; %bb.8:
	s_load_dword s0, s[4:5], 0x4c
	v_mov_b32_e32 v2, 0
	v_mov_b32_e32 v3, s7
	s_mov_b32 s7, 0
	v_mov_b32_e32 v5, s17
	s_waitcnt lgkmcnt(0)
	s_lshr_b32 s0, s0, 16
	v_mad_u64_u32 v[1:2], s[0:1], s0, v3, v[1:2]
	v_lshlrev_b32_e32 v0, 3, v0
	v_mul_lo_u32 v3, v2, s10
	v_mul_lo_u32 v4, v1, s11
	v_mad_u64_u32 v[1:2], s[0:1], v1, s10, 0
	s_lshl_b64 s[0:1], s[6:7], 8
	v_add3_u32 v2, v2, v4, v3
	v_lshlrev_b64 v[1:2], 3, v[1:2]
	v_mov_b32_e32 v3, s1
	v_add_co_u32_e32 v1, vcc, s16, v1
	v_addc_co_u32_e32 v2, vcc, v5, v2, vcc
	v_add_co_u32_e32 v1, vcc, s0, v1
	v_addc_co_u32_e32 v2, vcc, v2, v3, vcc
	;; [unrolled: 2-line block ×3, first 2 shown]
	global_store_dwordx2 v[0:1], v[8:9], off
.LBB129_9:
	s_endpgm
	.section	.rodata,"a",@progbits
	.p2align	6, 0x0
	.amdhsa_kernel _ZN2at6native12_GLOBAL__N_135GammaBetaBackwardCUDAKernelTemplateIddLj32ELj1ELj32ELb1ELb1ELb1EEEvllPKT_S5_PKT0_S8_PS3_S9_
		.amdhsa_group_segment_fixed_size 0
		.amdhsa_private_segment_fixed_size 0
		.amdhsa_kernarg_size 320
		.amdhsa_user_sgpr_count 6
		.amdhsa_user_sgpr_private_segment_buffer 1
		.amdhsa_user_sgpr_dispatch_ptr 0
		.amdhsa_user_sgpr_queue_ptr 0
		.amdhsa_user_sgpr_kernarg_segment_ptr 1
		.amdhsa_user_sgpr_dispatch_id 0
		.amdhsa_user_sgpr_flat_scratch_init 0
		.amdhsa_user_sgpr_private_segment_size 0
		.amdhsa_uses_dynamic_stack 0
		.amdhsa_system_sgpr_private_segment_wavefront_offset 0
		.amdhsa_system_sgpr_workgroup_id_x 1
		.amdhsa_system_sgpr_workgroup_id_y 1
		.amdhsa_system_sgpr_workgroup_id_z 0
		.amdhsa_system_sgpr_workgroup_info 0
		.amdhsa_system_vgpr_workitem_id 1
		.amdhsa_next_free_vgpr 65
		.amdhsa_next_free_sgpr 30
		.amdhsa_reserve_vcc 1
		.amdhsa_reserve_flat_scratch 0
		.amdhsa_float_round_mode_32 0
		.amdhsa_float_round_mode_16_64 0
		.amdhsa_float_denorm_mode_32 3
		.amdhsa_float_denorm_mode_16_64 3
		.amdhsa_dx10_clamp 1
		.amdhsa_ieee_mode 1
		.amdhsa_fp16_overflow 0
		.amdhsa_exception_fp_ieee_invalid_op 0
		.amdhsa_exception_fp_denorm_src 0
		.amdhsa_exception_fp_ieee_div_zero 0
		.amdhsa_exception_fp_ieee_overflow 0
		.amdhsa_exception_fp_ieee_underflow 0
		.amdhsa_exception_fp_ieee_inexact 0
		.amdhsa_exception_int_div_zero 0
	.end_amdhsa_kernel
	.section	.text._ZN2at6native12_GLOBAL__N_135GammaBetaBackwardCUDAKernelTemplateIddLj32ELj1ELj32ELb1ELb1ELb1EEEvllPKT_S5_PKT0_S8_PS3_S9_,"axG",@progbits,_ZN2at6native12_GLOBAL__N_135GammaBetaBackwardCUDAKernelTemplateIddLj32ELj1ELj32ELb1ELb1ELb1EEEvllPKT_S5_PKT0_S8_PS3_S9_,comdat
.Lfunc_end129:
	.size	_ZN2at6native12_GLOBAL__N_135GammaBetaBackwardCUDAKernelTemplateIddLj32ELj1ELj32ELb1ELb1ELb1EEEvllPKT_S5_PKT0_S8_PS3_S9_, .Lfunc_end129-_ZN2at6native12_GLOBAL__N_135GammaBetaBackwardCUDAKernelTemplateIddLj32ELj1ELj32ELb1ELb1ELb1EEEvllPKT_S5_PKT0_S8_PS3_S9_
                                        ; -- End function
	.set _ZN2at6native12_GLOBAL__N_135GammaBetaBackwardCUDAKernelTemplateIddLj32ELj1ELj32ELb1ELb1ELb1EEEvllPKT_S5_PKT0_S8_PS3_S9_.num_vgpr, 65
	.set _ZN2at6native12_GLOBAL__N_135GammaBetaBackwardCUDAKernelTemplateIddLj32ELj1ELj32ELb1ELb1ELb1EEEvllPKT_S5_PKT0_S8_PS3_S9_.num_agpr, 0
	.set _ZN2at6native12_GLOBAL__N_135GammaBetaBackwardCUDAKernelTemplateIddLj32ELj1ELj32ELb1ELb1ELb1EEEvllPKT_S5_PKT0_S8_PS3_S9_.numbered_sgpr, 30
	.set _ZN2at6native12_GLOBAL__N_135GammaBetaBackwardCUDAKernelTemplateIddLj32ELj1ELj32ELb1ELb1ELb1EEEvllPKT_S5_PKT0_S8_PS3_S9_.num_named_barrier, 0
	.set _ZN2at6native12_GLOBAL__N_135GammaBetaBackwardCUDAKernelTemplateIddLj32ELj1ELj32ELb1ELb1ELb1EEEvllPKT_S5_PKT0_S8_PS3_S9_.private_seg_size, 0
	.set _ZN2at6native12_GLOBAL__N_135GammaBetaBackwardCUDAKernelTemplateIddLj32ELj1ELj32ELb1ELb1ELb1EEEvllPKT_S5_PKT0_S8_PS3_S9_.uses_vcc, 1
	.set _ZN2at6native12_GLOBAL__N_135GammaBetaBackwardCUDAKernelTemplateIddLj32ELj1ELj32ELb1ELb1ELb1EEEvllPKT_S5_PKT0_S8_PS3_S9_.uses_flat_scratch, 0
	.set _ZN2at6native12_GLOBAL__N_135GammaBetaBackwardCUDAKernelTemplateIddLj32ELj1ELj32ELb1ELb1ELb1EEEvllPKT_S5_PKT0_S8_PS3_S9_.has_dyn_sized_stack, 0
	.set _ZN2at6native12_GLOBAL__N_135GammaBetaBackwardCUDAKernelTemplateIddLj32ELj1ELj32ELb1ELb1ELb1EEEvllPKT_S5_PKT0_S8_PS3_S9_.has_recursion, 0
	.set _ZN2at6native12_GLOBAL__N_135GammaBetaBackwardCUDAKernelTemplateIddLj32ELj1ELj32ELb1ELb1ELb1EEEvllPKT_S5_PKT0_S8_PS3_S9_.has_indirect_call, 0
	.section	.AMDGPU.csdata,"",@progbits
; Kernel info:
; codeLenInByte = 3080
; TotalNumSgprs: 34
; NumVgprs: 65
; ScratchSize: 0
; MemoryBound: 0
; FloatMode: 240
; IeeeMode: 1
; LDSByteSize: 0 bytes/workgroup (compile time only)
; SGPRBlocks: 4
; VGPRBlocks: 16
; NumSGPRsForWavesPerEU: 34
; NumVGPRsForWavesPerEU: 65
; Occupancy: 3
; WaveLimiterHint : 0
; COMPUTE_PGM_RSRC2:SCRATCH_EN: 0
; COMPUTE_PGM_RSRC2:USER_SGPR: 6
; COMPUTE_PGM_RSRC2:TRAP_HANDLER: 0
; COMPUTE_PGM_RSRC2:TGID_X_EN: 1
; COMPUTE_PGM_RSRC2:TGID_Y_EN: 1
; COMPUTE_PGM_RSRC2:TGID_Z_EN: 0
; COMPUTE_PGM_RSRC2:TIDIG_COMP_CNT: 1
	.section	.text._ZN2at6native12_GLOBAL__N_135GammaBetaBackwardCUDAKernelTemplateIddLj32ELj1ELj32ELb1ELb0ELb1EEEvllPKT_S5_PKT0_S8_PS3_S9_,"axG",@progbits,_ZN2at6native12_GLOBAL__N_135GammaBetaBackwardCUDAKernelTemplateIddLj32ELj1ELj32ELb1ELb0ELb1EEEvllPKT_S5_PKT0_S8_PS3_S9_,comdat
	.globl	_ZN2at6native12_GLOBAL__N_135GammaBetaBackwardCUDAKernelTemplateIddLj32ELj1ELj32ELb1ELb0ELb1EEEvllPKT_S5_PKT0_S8_PS3_S9_ ; -- Begin function _ZN2at6native12_GLOBAL__N_135GammaBetaBackwardCUDAKernelTemplateIddLj32ELj1ELj32ELb1ELb0ELb1EEEvllPKT_S5_PKT0_S8_PS3_S9_
	.p2align	8
	.type	_ZN2at6native12_GLOBAL__N_135GammaBetaBackwardCUDAKernelTemplateIddLj32ELj1ELj32ELb1ELb0ELb1EEEvllPKT_S5_PKT0_S8_PS3_S9_,@function
_ZN2at6native12_GLOBAL__N_135GammaBetaBackwardCUDAKernelTemplateIddLj32ELj1ELj32ELb1ELb0ELb1EEEvllPKT_S5_PKT0_S8_PS3_S9_: ; @_ZN2at6native12_GLOBAL__N_135GammaBetaBackwardCUDAKernelTemplateIddLj32ELj1ELj32ELb1ELb0ELb1EEEvllPKT_S5_PKT0_S8_PS3_S9_
; %bb.0:
	s_mov_b64 s[38:39], s[2:3]
	s_mov_b64 s[36:37], s[0:1]
	s_add_u32 s36, s36, s8
	s_addc_u32 s37, s37, 0
	buffer_store_dword v1, off, s[36:39], 0 offset:548 ; 4-byte Folded Spill
	s_nop 0
	buffer_store_dword v2, off, s[36:39], 0 offset:552 ; 4-byte Folded Spill
	buffer_store_dword v0, off, s[36:39], 0 offset:32 ; 4-byte Folded Spill
	s_load_dwordx8 s[12:19], s[4:5], 0x0
	s_load_dwordx2 s[20:21], s[4:5], 0x28
	s_mov_b32 s8, s7
	s_lshl_b32 s7, s6, 5
	s_or_b32 s0, s7, 31
	v_mov_b32_e32 v0, s0
	v_mov_b32_e32 v1, 0
	s_lshl_b32 s22, s8, 5
	s_mov_b32 s23, 0
	s_waitcnt lgkmcnt(0)
	v_cmp_le_i64_e32 vcc, s[14:15], v[0:1]
	v_mov_b32_e32 v0, s22
	v_mov_b32_e32 v1, s23
	v_cmp_gt_i64_e64 s[0:1], s[12:13], v[0:1]
	v_cndmask_b32_e64 v0, 0, 1, s[0:1]
	v_cmp_ne_u32_e64 s[0:1], 1, v0
	s_cbranch_vccz .LBB130_144
; %bb.1:
	v_mov_b32_e32 v96, 0
	v_mov_b32_e32 v97, 0
	s_and_b64 vcc, exec, s[0:1]
	s_cbranch_vccnz .LBB130_146
; %bb.2:
	buffer_load_dword v0, off, s[36:39], 0 offset:32 ; 4-byte Folded Reload
	v_mov_b32_e32 v9, 0
	v_mov_b32_e32 v4, v9
	;; [unrolled: 1-line block ×3, first 2 shown]
	s_add_u32 s24, s4, 64
	s_addc_u32 s25, s5, 0
	s_mov_b64 s[28:29], 31
	s_mov_b64 s[30:31], s[22:23]
	s_waitcnt vmcnt(0)
	v_add_u32_e32 v8, s7, v0
	buffer_load_dword v0, off, s[36:39], 0 offset:548 ; 4-byte Folded Reload
	buffer_load_dword v1, off, s[36:39], 0 offset:552 ; 4-byte Folded Reload
	s_load_dword s9, s[4:5], 0x44
	s_waitcnt lgkmcnt(0)
	s_lshl_b32 s9, s9, 5
	s_mul_i32 s10, s15, s9
	s_mul_hi_u32 s11, s14, s9
	s_add_i32 s11, s11, s10
	s_mul_i32 s10, s14, s9
	s_lshl_b64 s[26:27], s[10:11], 3
	s_waitcnt vmcnt(1)
	v_lshlrev_b32_e32 v138, 5, v0
	v_add_co_u32_e32 v0, vcc, s22, v138
	s_waitcnt vmcnt(0)
	v_addc_co_u32_e64 v1, s[2:3], 0, 0, vcc
	v_mul_lo_u32 v3, s14, v1
	buffer_store_dword v3, off, s[36:39], 0 offset:76 ; 4-byte Folded Spill
	s_nop 0
	buffer_store_dword v4, off, s[36:39], 0 offset:80 ; 4-byte Folded Spill
	v_mul_lo_u32 v2, s15, v0
	v_mad_u64_u32 v[6:7], s[2:3], s14, v0, 0
	v_cmp_gt_i64_e64 s[2:3], s[14:15], v[8:9]
	v_lshlrev_b64 v[4:5], 3, v[8:9]
	v_add3_u32 v7, v7, v3, v2
	v_lshlrev_b64 v[8:9], 3, v[6:7]
	v_mov_b32_e32 v3, s17
	v_add_co_u32_e32 v2, vcc, s16, v8
	buffer_store_dword v2, off, s[36:39], 0 ; 4-byte Folded Spill
	v_addc_co_u32_e32 v2, vcc, v3, v9, vcc
	v_add_co_u32_e32 v10, vcc, 31, v0
	v_addc_co_u32_e32 v11, vcc, 0, v1, vcc
	v_mul_lo_u32 v12, s15, v10
	v_mul_lo_u32 v13, s14, v11
	v_mad_u64_u32 v[10:11], s[10:11], s14, v10, 0
	v_mov_b32_e32 v3, s19
	v_add_co_u32_e32 v8, vcc, s18, v8
	v_add3_u32 v11, v11, v13, v12
	buffer_store_dword v8, off, s[36:39], 0 offset:4 ; 4-byte Folded Spill
	v_addc_co_u32_e32 v142, vcc, v3, v9, vcc
	v_lshlrev_b64 v[8:9], 3, v[10:11]
	v_mov_b32_e32 v3, s17
	v_add_co_u32_e32 v143, vcc, s16, v8
	v_addc_co_u32_e32 v144, vcc, v3, v9, vcc
	v_add_co_u32_e32 v10, vcc, 30, v0
	v_addc_co_u32_e32 v11, vcc, 0, v1, vcc
	v_mul_lo_u32 v12, s15, v10
	v_mul_lo_u32 v13, s14, v11
	v_mad_u64_u32 v[10:11], s[10:11], s14, v10, 0
	v_mov_b32_e32 v3, s19
	v_add_co_u32_e32 v145, vcc, s18, v8
	v_add3_u32 v11, v11, v13, v12
	v_addc_co_u32_e32 v146, vcc, v3, v9, vcc
	v_lshlrev_b64 v[8:9], 3, v[10:11]
	v_mov_b32_e32 v3, s17
	v_add_co_u32_e32 v147, vcc, s16, v8
	v_addc_co_u32_e32 v148, vcc, v3, v9, vcc
	v_add_co_u32_e32 v10, vcc, 29, v0
	v_addc_co_u32_e32 v11, vcc, 0, v1, vcc
	v_mul_lo_u32 v12, s15, v10
	v_mul_lo_u32 v13, s14, v11
	v_mad_u64_u32 v[10:11], s[10:11], s14, v10, 0
	v_mov_b32_e32 v3, s19
	v_add_co_u32_e32 v149, vcc, s18, v8
	v_add3_u32 v11, v11, v13, v12
	;; [unrolled: 13-line block ×29, first 2 shown]
	v_lshlrev_b64 v[0:1], 3, v[0:1]
	v_addc_co_u32_e32 v97, vcc, v10, v9, vcc
	v_mov_b32_e32 v8, s17
	v_add_co_u32_e32 v10, vcc, s16, v0
	v_addc_co_u32_e32 v11, vcc, v8, v1, vcc
	v_mov_b32_e32 v8, s19
	v_add_co_u32_e32 v12, vcc, s18, v0
	;; [unrolled: 3-line block ×3, first 2 shown]
	v_addc_co_u32_e32 v1, vcc, v7, v1, vcc
	v_lshlrev_b64 v[0:1], 3, v[0:1]
	v_mov_b32_e32 v6, s17
	v_add_co_u32_e32 v14, vcc, s16, v0
	v_addc_co_u32_e32 v15, vcc, v6, v1, vcc
	v_mov_b32_e32 v6, s19
	v_add_co_u32_e32 v16, vcc, s18, v0
	v_addc_co_u32_e32 v17, vcc, v6, v1, vcc
	v_mov_b32_e32 v0, 0
	v_mov_b32_e32 v1, 0
	buffer_store_dword v0, off, s[36:39], 0 offset:8 ; 4-byte Folded Spill
	s_nop 0
	buffer_store_dword v1, off, s[36:39], 0 offset:12 ; 4-byte Folded Spill
	v_mbcnt_lo_u32_b32 v0, -1, 0
	v_mbcnt_hi_u32_b32 v0, -1, v0
	v_lshlrev_b32_e32 v0, 2, v0
	v_and_b32_e32 v18, 0x100, v0
	s_branch .LBB130_5
.LBB130_3:                              ;   in Loop: Header=BB130_5 Depth=1
	s_or_b64 exec, exec, s[10:11]
	v_mul_f64 v[134:135], v[19:20], v[6:7]
	v_mul_f64 v[19:20], v[136:137], v[21:22]
	buffer_load_dword v136, off, s[36:39], 0 offset:8 ; 4-byte Folded Reload
	buffer_load_dword v137, off, s[36:39], 0 offset:12 ; 4-byte Folded Reload
	ds_bpermute_b32 v6, v18, v8
	ds_bpermute_b32 v7, v18, v9
	v_mul_f64 v[21:22], v[27:28], v[29:30]
	s_waitcnt vmcnt(2)
	v_mul_f64 v[0:1], v[128:129], v[0:1]
	s_waitcnt vmcnt(0) lgkmcnt(0)
	v_fma_f64 v[6:7], v[134:135], v[6:7], v[136:137]
	ds_bpermute_b32 v134, v18, v8 offset:4
	ds_bpermute_b32 v135, v18, v9 offset:4
	v_mul_f64 v[136:137], v[23:24], v[25:26]
	v_mul_f64 v[23:24], v[140:141], v[31:32]
	s_waitcnt lgkmcnt(0)
	v_fma_f64 v[6:7], v[19:20], v[134:135], v[6:7]
	ds_bpermute_b32 v19, v18, v8 offset:8
	ds_bpermute_b32 v20, v18, v9 offset:8
	s_waitcnt lgkmcnt(0)
	v_fma_f64 v[6:7], v[136:137], v[19:20], v[6:7]
	ds_bpermute_b32 v19, v18, v8 offset:12
	ds_bpermute_b32 v20, v18, v9 offset:12
	s_waitcnt lgkmcnt(0)
	v_fma_f64 v[6:7], v[21:22], v[19:20], v[6:7]
	buffer_load_dword v21, off, s[36:39], 0 offset:16 ; 4-byte Folded Reload
	buffer_load_dword v22, off, s[36:39], 0 offset:20 ; 4-byte Folded Reload
	;; [unrolled: 1-line block ×4, first 2 shown]
	ds_bpermute_b32 v19, v18, v8 offset:16
	ds_bpermute_b32 v20, v18, v9 offset:16
	s_waitcnt lgkmcnt(0)
	v_fma_f64 v[6:7], v[23:24], v[19:20], v[6:7]
	buffer_load_dword v23, off, s[36:39], 0 offset:36 ; 4-byte Folded Reload
	buffer_load_dword v24, off, s[36:39], 0 offset:40 ; 4-byte Folded Reload
	ds_bpermute_b32 v19, v18, v8 offset:20
	ds_bpermute_b32 v20, v18, v9 offset:20
	s_waitcnt vmcnt(2)
	v_mul_f64 v[21:22], v[21:22], v[25:26]
	s_waitcnt vmcnt(0)
	v_mul_f64 v[23:24], v[33:34], v[23:24]
	s_waitcnt lgkmcnt(0)
	v_fma_f64 v[6:7], v[21:22], v[19:20], v[6:7]
	ds_bpermute_b32 v19, v18, v8 offset:24
	ds_bpermute_b32 v20, v18, v9 offset:24
	v_mul_f64 v[21:22], v[38:39], v[40:41]
	s_waitcnt lgkmcnt(0)
	v_fma_f64 v[6:7], v[23:24], v[19:20], v[6:7]
	ds_bpermute_b32 v19, v18, v8 offset:28
	ds_bpermute_b32 v20, v18, v9 offset:28
	v_mul_f64 v[23:24], v[36:37], v[42:43]
	s_waitcnt lgkmcnt(0)
	v_fma_f64 v[6:7], v[21:22], v[19:20], v[6:7]
	ds_bpermute_b32 v19, v18, v8 offset:32
	ds_bpermute_b32 v20, v18, v9 offset:32
	v_mul_f64 v[21:22], v[46:47], v[48:49]
	s_waitcnt lgkmcnt(0)
	v_fma_f64 v[6:7], v[23:24], v[19:20], v[6:7]
	ds_bpermute_b32 v19, v18, v8 offset:36
	ds_bpermute_b32 v20, v18, v9 offset:36
	v_mul_f64 v[23:24], v[44:45], v[50:51]
	s_waitcnt lgkmcnt(0)
	v_fma_f64 v[6:7], v[21:22], v[19:20], v[6:7]
	ds_bpermute_b32 v19, v18, v8 offset:40
	ds_bpermute_b32 v20, v18, v9 offset:40
	v_mul_f64 v[21:22], v[54:55], v[56:57]
	s_waitcnt lgkmcnt(0)
	v_fma_f64 v[6:7], v[23:24], v[19:20], v[6:7]
	ds_bpermute_b32 v19, v18, v8 offset:44
	ds_bpermute_b32 v20, v18, v9 offset:44
	v_mul_f64 v[23:24], v[52:53], v[58:59]
	s_waitcnt lgkmcnt(0)
	v_fma_f64 v[6:7], v[21:22], v[19:20], v[6:7]
	ds_bpermute_b32 v19, v18, v8 offset:48
	ds_bpermute_b32 v20, v18, v9 offset:48
	v_mul_f64 v[21:22], v[62:63], v[64:65]
	s_waitcnt lgkmcnt(0)
	v_fma_f64 v[6:7], v[23:24], v[19:20], v[6:7]
	ds_bpermute_b32 v19, v18, v8 offset:52
	ds_bpermute_b32 v20, v18, v9 offset:52
	v_mul_f64 v[23:24], v[60:61], v[66:67]
	s_waitcnt lgkmcnt(0)
	v_fma_f64 v[6:7], v[21:22], v[19:20], v[6:7]
	ds_bpermute_b32 v19, v18, v8 offset:56
	ds_bpermute_b32 v20, v18, v9 offset:56
	v_mul_f64 v[21:22], v[70:71], v[72:73]
	s_waitcnt lgkmcnt(0)
	v_fma_f64 v[6:7], v[23:24], v[19:20], v[6:7]
	ds_bpermute_b32 v19, v18, v8 offset:60
	ds_bpermute_b32 v20, v18, v9 offset:60
	v_mul_f64 v[23:24], v[68:69], v[74:75]
	s_waitcnt lgkmcnt(0)
	v_fma_f64 v[6:7], v[21:22], v[19:20], v[6:7]
	ds_bpermute_b32 v19, v18, v8 offset:64
	ds_bpermute_b32 v20, v18, v9 offset:64
	v_mul_f64 v[21:22], v[78:79], v[82:83]
	s_waitcnt lgkmcnt(0)
	v_fma_f64 v[6:7], v[23:24], v[19:20], v[6:7]
	ds_bpermute_b32 v19, v18, v8 offset:68
	ds_bpermute_b32 v20, v18, v9 offset:68
	v_mul_f64 v[23:24], v[76:77], v[84:85]
	s_waitcnt lgkmcnt(0)
	v_fma_f64 v[6:7], v[21:22], v[19:20], v[6:7]
	ds_bpermute_b32 v19, v18, v8 offset:72
	ds_bpermute_b32 v20, v18, v9 offset:72
	v_mul_f64 v[21:22], v[88:89], v[90:91]
	s_waitcnt lgkmcnt(0)
	v_fma_f64 v[6:7], v[23:24], v[19:20], v[6:7]
	ds_bpermute_b32 v19, v18, v8 offset:76
	ds_bpermute_b32 v20, v18, v9 offset:76
	v_mul_f64 v[23:24], v[86:87], v[92:93]
	s_waitcnt lgkmcnt(0)
	v_fma_f64 v[6:7], v[21:22], v[19:20], v[6:7]
	ds_bpermute_b32 v19, v18, v8 offset:80
	ds_bpermute_b32 v20, v18, v9 offset:80
	v_mul_f64 v[21:22], v[98:99], v[100:101]
	s_waitcnt lgkmcnt(0)
	v_fma_f64 v[6:7], v[23:24], v[19:20], v[6:7]
	ds_bpermute_b32 v19, v18, v8 offset:84
	ds_bpermute_b32 v20, v18, v9 offset:84
	v_mul_f64 v[23:24], v[94:95], v[102:103]
	s_waitcnt lgkmcnt(0)
	v_fma_f64 v[6:7], v[21:22], v[19:20], v[6:7]
	ds_bpermute_b32 v19, v18, v8 offset:88
	ds_bpermute_b32 v20, v18, v9 offset:88
	v_mul_f64 v[21:22], v[106:107], v[108:109]
	s_waitcnt lgkmcnt(0)
	v_fma_f64 v[6:7], v[23:24], v[19:20], v[6:7]
	ds_bpermute_b32 v19, v18, v8 offset:92
	ds_bpermute_b32 v20, v18, v9 offset:92
	v_mul_f64 v[23:24], v[104:105], v[110:111]
	s_waitcnt lgkmcnt(0)
	v_fma_f64 v[6:7], v[21:22], v[19:20], v[6:7]
	ds_bpermute_b32 v19, v18, v8 offset:96
	ds_bpermute_b32 v20, v18, v9 offset:96
	v_mul_f64 v[21:22], v[114:115], v[116:117]
	s_waitcnt lgkmcnt(0)
	v_fma_f64 v[6:7], v[23:24], v[19:20], v[6:7]
	ds_bpermute_b32 v19, v18, v8 offset:100
	ds_bpermute_b32 v20, v18, v9 offset:100
	v_mul_f64 v[23:24], v[112:113], v[118:119]
	s_waitcnt lgkmcnt(0)
	v_fma_f64 v[6:7], v[21:22], v[19:20], v[6:7]
	ds_bpermute_b32 v19, v18, v8 offset:104
	ds_bpermute_b32 v20, v18, v9 offset:104
	v_mul_f64 v[21:22], v[122:123], v[124:125]
	s_waitcnt lgkmcnt(0)
	v_fma_f64 v[6:7], v[23:24], v[19:20], v[6:7]
	ds_bpermute_b32 v19, v18, v8 offset:108
	ds_bpermute_b32 v20, v18, v9 offset:108
	v_mul_f64 v[23:24], v[120:121], v[126:127]
	s_waitcnt lgkmcnt(0)
	v_fma_f64 v[6:7], v[21:22], v[19:20], v[6:7]
	ds_bpermute_b32 v19, v18, v8 offset:112
	ds_bpermute_b32 v20, v18, v9 offset:112
	v_mul_f64 v[21:22], v[130:131], v[132:133]
	s_waitcnt lgkmcnt(0)
	v_fma_f64 v[6:7], v[23:24], v[19:20], v[6:7]
	ds_bpermute_b32 v19, v18, v8 offset:116
	ds_bpermute_b32 v20, v18, v9 offset:116
	s_waitcnt lgkmcnt(0)
	v_fma_f64 v[6:7], v[21:22], v[19:20], v[6:7]
	ds_bpermute_b32 v19, v18, v8 offset:120
	ds_bpermute_b32 v20, v18, v9 offset:120
	;; [unrolled: 1-line block ×4, first 2 shown]
	s_waitcnt lgkmcnt(2)
	v_fma_f64 v[0:1], v[0:1], v[19:20], v[6:7]
.LBB130_4:                              ;   in Loop: Header=BB130_5 Depth=1
	s_waitcnt lgkmcnt(0)
	v_fma_f64 v[0:1], v[80:81], v[8:9], v[0:1]
	s_add_u32 s30, s30, s9
	s_addc_u32 s31, s31, 0
	s_add_u32 s28, s28, s9
	s_addc_u32 s29, 0, s29
	buffer_store_dword v0, off, s[36:39], 0 offset:8 ; 4-byte Folded Spill
	s_nop 0
	buffer_store_dword v1, off, s[36:39], 0 offset:12 ; 4-byte Folded Spill
	buffer_load_dword v1, off, s[36:39], 0  ; 4-byte Folded Reload
	v_mov_b32_e32 v0, s27
	s_waitcnt vmcnt(0)
	v_add_co_u32_e32 v1, vcc, s26, v1
	buffer_store_dword v1, off, s[36:39], 0 ; 4-byte Folded Spill
	buffer_load_dword v1, off, s[36:39], 0 offset:4 ; 4-byte Folded Reload
	v_addc_co_u32_e32 v2, vcc, v2, v0, vcc
	s_waitcnt vmcnt(0)
	v_add_co_u32_e32 v1, vcc, s26, v1
	v_addc_co_u32_e32 v142, vcc, v142, v0, vcc
	v_add_co_u32_e32 v143, vcc, s26, v143
	v_addc_co_u32_e32 v144, vcc, v144, v0, vcc
	;; [unrolled: 2-line block ×63, first 2 shown]
	buffer_store_dword v1, off, s[36:39], 0 offset:4 ; 4-byte Folded Spill
	v_add_co_u32_e32 v138, vcc, s9, v138
	v_mov_b32_e32 v0, s12
	v_addc_co_u32_e32 v139, vcc, 0, v139, vcc
	v_mov_b32_e32 v1, s13
	v_cmp_lt_i64_e32 vcc, s[30:31], v[0:1]
	s_cbranch_vccz .LBB130_145
.LBB130_5:                              ; =>This Inner Loop Header: Depth=1
	s_add_u32 s10, s22, s28
	v_mov_b32_e32 v0, s12
	s_addc_u32 s11, 0, s29
	v_mov_b32_e32 v1, s13
	v_cmp_ge_i64_e32 vcc, s[10:11], v[0:1]
	v_add_co_u32_e64 v6, s[10:11], s22, v138
	v_addc_co_u32_e64 v7, s[10:11], 0, v139, s[10:11]
	s_mov_b64 s[10:11], -1
                                        ; implicit-def: $vgpr0_vgpr1
                                        ; implicit-def: $vgpr80_vgpr81
                                        ; implicit-def: $vgpr8
	s_cbranch_vccz .LBB130_75
; %bb.6:                                ;   in Loop: Header=BB130_5 Depth=1
	s_load_dword s10, s[24:25], 0xc
	buffer_load_dword v0, off, s[36:39], 0 offset:548 ; 4-byte Folded Reload
	buffer_load_dword v1, off, s[36:39], 0 offset:552 ; 4-byte Folded Reload
	;; [unrolled: 1-line block ×3, first 2 shown]
	v_mov_b32_e32 v24, 0
	v_mov_b32_e32 v8, 0
	s_waitcnt lgkmcnt(0)
	s_and_b32 s10, s10, 0xffff
	v_mov_b32_e32 v25, 0
	v_mov_b32_e32 v9, 0
	s_waitcnt vmcnt(0)
	v_mad_u32_u24 v0, v0, s10, v1
	v_and_b32_e32 v0, 63, v0
	v_cmp_gt_u32_e32 vcc, 32, v0
	s_and_saveexec_b64 s[10:11], vcc
	s_cbranch_execz .LBB130_10
; %bb.7:                                ;   in Loop: Header=BB130_5 Depth=1
	v_add_co_u32_e32 v0, vcc, v6, v0
	v_addc_co_u32_e32 v1, vcc, 0, v7, vcc
	v_cmp_gt_i64_e32 vcc, s[12:13], v[0:1]
	v_mov_b32_e32 v8, 0
	v_mov_b32_e32 v9, 0
	s_and_saveexec_b64 s[34:35], vcc
	s_cbranch_execz .LBB130_9
; %bb.8:                                ;   in Loop: Header=BB130_5 Depth=1
	v_lshlrev_b64 v[0:1], 3, v[0:1]
	v_mov_b32_e32 v8, s21
	v_add_co_u32_e32 v0, vcc, s20, v0
	v_addc_co_u32_e32 v1, vcc, v8, v1, vcc
	global_load_dwordx2 v[8:9], v[0:1], off
.LBB130_9:                              ;   in Loop: Header=BB130_5 Depth=1
	s_or_b64 exec, exec, s[34:35]
.LBB130_10:                             ;   in Loop: Header=BB130_5 Depth=1
	s_or_b64 exec, exec, s[10:11]
	v_cmp_gt_i64_e32 vcc, s[12:13], v[6:7]
	v_mov_b32_e32 v0, 0
	v_mov_b32_e32 v1, 0
	s_and_b64 s[34:35], s[2:3], vcc
	buffer_store_dword v0, off, s[36:39], 0 offset:16 ; 4-byte Folded Spill
	s_nop 0
	buffer_store_dword v1, off, s[36:39], 0 offset:20 ; 4-byte Folded Spill
	s_and_saveexec_b64 s[10:11], s[34:35]
	s_cbranch_execz .LBB130_12
; %bb.11:                               ;   in Loop: Header=BB130_5 Depth=1
	buffer_load_dword v0, off, s[36:39], 0  ; 4-byte Folded Reload
	s_waitcnt vmcnt(0)
	v_add_co_u32_e32 v0, vcc, v0, v4
	v_addc_co_u32_e32 v1, vcc, v2, v5, vcc
	global_load_dwordx2 v[24:25], v[0:1], off
	s_nop 0
	buffer_load_dword v0, off, s[36:39], 0 offset:4 ; 4-byte Folded Reload
	s_waitcnt vmcnt(0)
	v_add_co_u32_e32 v0, vcc, v0, v4
	v_addc_co_u32_e32 v1, vcc, v142, v5, vcc
	global_load_dwordx2 v[0:1], v[0:1], off
	s_waitcnt vmcnt(0)
	buffer_store_dword v0, off, s[36:39], 0 offset:16 ; 4-byte Folded Spill
	s_nop 0
	buffer_store_dword v1, off, s[36:39], 0 offset:20 ; 4-byte Folded Spill
.LBB130_12:                             ;   in Loop: Header=BB130_5 Depth=1
	s_or_b64 exec, exec, s[10:11]
	v_add_co_u32_e32 v0, vcc, 1, v6
	v_addc_co_u32_e32 v1, vcc, 0, v7, vcc
	v_cmp_gt_i64_e32 vcc, s[12:13], v[0:1]
	v_mov_b32_e32 v0, 0
	v_mov_b32_e32 v1, 0
	buffer_store_dword v0, off, s[36:39], 0 offset:24 ; 4-byte Folded Spill
	s_nop 0
	buffer_store_dword v1, off, s[36:39], 0 offset:28 ; 4-byte Folded Spill
	v_mov_b32_e32 v0, 0
	v_mov_b32_e32 v1, 0
	buffer_store_dword v0, off, s[36:39], 0 offset:36 ; 4-byte Folded Spill
	s_nop 0
	buffer_store_dword v1, off, s[36:39], 0 offset:40 ; 4-byte Folded Spill
	v_mov_b32_e32 v0, 0
	v_mov_b32_e32 v1, 0
	s_and_b64 s[34:35], s[2:3], vcc
	buffer_store_dword v0, off, s[36:39], 0 offset:44 ; 4-byte Folded Spill
	s_nop 0
	buffer_store_dword v1, off, s[36:39], 0 offset:48 ; 4-byte Folded Spill
	s_and_saveexec_b64 s[10:11], s[34:35]
	s_cbranch_execz .LBB130_14
; %bb.13:                               ;   in Loop: Header=BB130_5 Depth=1
	v_add_co_u32_e32 v0, vcc, v14, v4
	v_addc_co_u32_e32 v1, vcc, v15, v5, vcc
	global_load_dwordx2 v[0:1], v[0:1], off
	s_waitcnt vmcnt(0)
	buffer_store_dword v0, off, s[36:39], 0 offset:36 ; 4-byte Folded Spill
	s_nop 0
	buffer_store_dword v1, off, s[36:39], 0 offset:40 ; 4-byte Folded Spill
	v_add_co_u32_e32 v0, vcc, v16, v4
	v_addc_co_u32_e32 v1, vcc, v17, v5, vcc
	global_load_dwordx2 v[0:1], v[0:1], off
	s_waitcnt vmcnt(0)
	buffer_store_dword v0, off, s[36:39], 0 offset:44 ; 4-byte Folded Spill
	s_nop 0
	buffer_store_dword v1, off, s[36:39], 0 offset:48 ; 4-byte Folded Spill
.LBB130_14:                             ;   in Loop: Header=BB130_5 Depth=1
	s_or_b64 exec, exec, s[10:11]
	v_add_co_u32_e32 v19, vcc, 2, v6
	v_addc_co_u32_e32 v20, vcc, 0, v7, vcc
	v_cmp_gt_i64_e32 vcc, s[12:13], v[19:20]
	v_mov_b32_e32 v19, 0
	v_mov_b32_e32 v20, 0
	s_and_b64 s[34:35], s[2:3], vcc
	s_and_saveexec_b64 s[10:11], s[34:35]
	s_cbranch_execz .LBB130_16
; %bb.15:                               ;   in Loop: Header=BB130_5 Depth=1
	v_add_co_u32_e32 v19, vcc, v10, v4
	v_addc_co_u32_e32 v20, vcc, v11, v5, vcc
	global_load_dwordx2 v[0:1], v[19:20], off
	v_add_co_u32_e32 v19, vcc, v12, v4
	v_addc_co_u32_e32 v20, vcc, v13, v5, vcc
	s_waitcnt vmcnt(0)
	buffer_store_dword v0, off, s[36:39], 0 offset:24 ; 4-byte Folded Spill
	s_nop 0
	buffer_store_dword v1, off, s[36:39], 0 offset:28 ; 4-byte Folded Spill
	global_load_dwordx2 v[19:20], v[19:20], off
.LBB130_16:                             ;   in Loop: Header=BB130_5 Depth=1
	s_or_b64 exec, exec, s[10:11]
	v_add_co_u32_e32 v22, vcc, 3, v6
	v_mov_b32_e32 v0, 0
	v_addc_co_u32_e32 v23, vcc, 0, v7, vcc
	v_mov_b32_e32 v1, 0
	v_cmp_gt_i64_e32 vcc, s[12:13], v[22:23]
	buffer_store_dword v0, off, s[36:39], 0 offset:52 ; 4-byte Folded Spill
	s_nop 0
	buffer_store_dword v1, off, s[36:39], 0 offset:56 ; 4-byte Folded Spill
	v_mov_b32_e32 v21, 0
	v_mov_b32_e32 v0, 0
	;; [unrolled: 1-line block ×4, first 2 shown]
	s_and_b64 s[34:35], s[2:3], vcc
	s_and_saveexec_b64 s[10:11], s[34:35]
	s_cbranch_execz .LBB130_18
; %bb.17:                               ;   in Loop: Header=BB130_5 Depth=1
	v_mov_b32_e32 v0, v24
	v_mov_b32_e32 v1, v25
	v_add_co_u32_e32 v24, vcc, v255, v4
	v_addc_co_u32_e32 v25, vcc, v3, v5, vcc
	global_load_dwordx2 v[23:24], v[24:25], off
	v_add_co_u32_e32 v26, vcc, v96, v4
	v_addc_co_u32_e32 v27, vcc, v97, v5, vcc
	s_waitcnt vmcnt(0)
	buffer_store_dword v23, off, s[36:39], 0 offset:52 ; 4-byte Folded Spill
	s_nop 0
	buffer_store_dword v24, off, s[36:39], 0 offset:56 ; 4-byte Folded Spill
	v_mov_b32_e32 v25, v1
	v_mov_b32_e32 v24, v0
	global_load_dwordx2 v[0:1], v[26:27], off
.LBB130_18:                             ;   in Loop: Header=BB130_5 Depth=1
	s_or_b64 exec, exec, s[10:11]
	v_add_co_u32_e32 v28, vcc, 4, v6
	v_addc_co_u32_e32 v29, vcc, 0, v7, vcc
	v_cmp_gt_i64_e32 vcc, s[12:13], v[28:29]
	v_mov_b32_e32 v26, 0
	v_mov_b32_e32 v27, 0
	s_and_b64 s[34:35], s[2:3], vcc
	buffer_store_dword v26, off, s[36:39], 0 offset:60 ; 4-byte Folded Spill
	s_nop 0
	buffer_store_dword v27, off, s[36:39], 0 offset:64 ; 4-byte Folded Spill
	s_and_saveexec_b64 s[10:11], s[34:35]
	s_cbranch_execz .LBB130_20
; %bb.19:                               ;   in Loop: Header=BB130_5 Depth=1
	v_add_co_u32_e32 v22, vcc, v251, v4
	v_addc_co_u32_e32 v23, vcc, v252, v5, vcc
	v_add_co_u32_e32 v28, vcc, v253, v4
	v_addc_co_u32_e32 v29, vcc, v254, v5, vcc
	global_load_dwordx2 v[21:22], v[22:23], off
	s_nop 0
	global_load_dwordx2 v[26:27], v[28:29], off
	s_waitcnt vmcnt(0)
	buffer_store_dword v26, off, s[36:39], 0 offset:60 ; 4-byte Folded Spill
	s_nop 0
	buffer_store_dword v27, off, s[36:39], 0 offset:64 ; 4-byte Folded Spill
.LBB130_20:                             ;   in Loop: Header=BB130_5 Depth=1
	s_or_b64 exec, exec, s[10:11]
	v_add_co_u32_e32 v30, vcc, 5, v6
	v_addc_co_u32_e32 v31, vcc, 0, v7, vcc
	v_cmp_gt_i64_e32 vcc, s[12:13], v[30:31]
	v_mov_b32_e32 v26, 0
	v_mov_b32_e32 v32, 0
	;; [unrolled: 1-line block ×6, first 2 shown]
	s_and_b64 s[34:35], s[2:3], vcc
	buffer_store_dword v26, off, s[36:39], 0 offset:68 ; 4-byte Folded Spill
	s_nop 0
	buffer_store_dword v27, off, s[36:39], 0 offset:72 ; 4-byte Folded Spill
	s_and_saveexec_b64 s[10:11], s[34:35]
	s_cbranch_execz .LBB130_22
; %bb.21:                               ;   in Loop: Header=BB130_5 Depth=1
	v_add_co_u32_e32 v32, vcc, v247, v4
	v_addc_co_u32_e32 v33, vcc, v248, v5, vcc
	v_add_co_u32_e32 v34, vcc, v249, v4
	v_addc_co_u32_e32 v35, vcc, v250, v5, vcc
	global_load_dwordx2 v[32:33], v[32:33], off
	s_nop 0
	global_load_dwordx2 v[34:35], v[34:35], off
.LBB130_22:                             ;   in Loop: Header=BB130_5 Depth=1
	s_or_b64 exec, exec, s[10:11]
	v_add_co_u32_e32 v36, vcc, 6, v6
	v_addc_co_u32_e32 v37, vcc, 0, v7, vcc
	v_cmp_gt_i64_e32 vcc, s[12:13], v[36:37]
	v_mov_b32_e32 v36, 0
	v_mov_b32_e32 v37, 0
	s_and_b64 s[34:35], s[2:3], vcc
	s_and_saveexec_b64 s[10:11], s[34:35]
	s_cbranch_execz .LBB130_24
; %bb.23:                               ;   in Loop: Header=BB130_5 Depth=1
	v_add_co_u32_e32 v30, vcc, v243, v4
	v_addc_co_u32_e32 v31, vcc, v244, v5, vcc
	global_load_dwordx2 v[26:27], v[30:31], off
	v_add_co_u32_e32 v36, vcc, v245, v4
	v_addc_co_u32_e32 v37, vcc, v246, v5, vcc
	s_waitcnt vmcnt(0)
	buffer_store_dword v26, off, s[36:39], 0 offset:68 ; 4-byte Folded Spill
	s_nop 0
	buffer_store_dword v27, off, s[36:39], 0 offset:72 ; 4-byte Folded Spill
	global_load_dwordx2 v[36:37], v[36:37], off
.LBB130_24:                             ;   in Loop: Header=BB130_5 Depth=1
	s_or_b64 exec, exec, s[10:11]
	v_add_co_u32_e32 v38, vcc, 7, v6
	v_addc_co_u32_e32 v39, vcc, 0, v7, vcc
	v_cmp_gt_i64_e32 vcc, s[12:13], v[38:39]
	v_mov_b32_e32 v38, 0
	v_mov_b32_e32 v40, 0
	v_mov_b32_e32 v42, 0
	v_mov_b32_e32 v39, 0
	v_mov_b32_e32 v41, 0
	v_mov_b32_e32 v43, 0
	s_and_b64 s[34:35], s[2:3], vcc
	s_and_saveexec_b64 s[10:11], s[34:35]
	s_cbranch_execz .LBB130_26
; %bb.25:                               ;   in Loop: Header=BB130_5 Depth=1
	v_add_co_u32_e32 v40, vcc, v239, v4
	v_addc_co_u32_e32 v41, vcc, v240, v5, vcc
	v_add_co_u32_e32 v42, vcc, v241, v4
	v_addc_co_u32_e32 v43, vcc, v242, v5, vcc
	global_load_dwordx2 v[40:41], v[40:41], off
	s_nop 0
	global_load_dwordx2 v[42:43], v[42:43], off
.LBB130_26:                             ;   in Loop: Header=BB130_5 Depth=1
	s_or_b64 exec, exec, s[10:11]
	v_add_co_u32_e32 v44, vcc, 8, v6
	v_addc_co_u32_e32 v45, vcc, 0, v7, vcc
	v_cmp_gt_i64_e32 vcc, s[12:13], v[44:45]
	v_mov_b32_e32 v44, 0
	v_mov_b32_e32 v45, 0
	s_and_b64 s[34:35], s[2:3], vcc
	s_and_saveexec_b64 s[10:11], s[34:35]
	s_cbranch_execz .LBB130_28
; %bb.27:                               ;   in Loop: Header=BB130_5 Depth=1
	v_add_co_u32_e32 v38, vcc, v235, v4
	v_addc_co_u32_e32 v39, vcc, v236, v5, vcc
	v_add_co_u32_e32 v44, vcc, v237, v4
	v_addc_co_u32_e32 v45, vcc, v238, v5, vcc
	global_load_dwordx2 v[38:39], v[38:39], off
	s_nop 0
	global_load_dwordx2 v[44:45], v[44:45], off
.LBB130_28:                             ;   in Loop: Header=BB130_5 Depth=1
	s_or_b64 exec, exec, s[10:11]
	v_add_co_u32_e32 v46, vcc, 9, v6
	v_addc_co_u32_e32 v47, vcc, 0, v7, vcc
	v_cmp_gt_i64_e32 vcc, s[12:13], v[46:47]
	v_mov_b32_e32 v46, 0
	v_mov_b32_e32 v48, 0
	v_mov_b32_e32 v50, 0
	v_mov_b32_e32 v47, 0
	v_mov_b32_e32 v49, 0
	v_mov_b32_e32 v51, 0
	s_and_b64 s[34:35], s[2:3], vcc
	s_and_saveexec_b64 s[10:11], s[34:35]
	s_cbranch_execz .LBB130_30
; %bb.29:                               ;   in Loop: Header=BB130_5 Depth=1
	v_add_co_u32_e32 v48, vcc, v231, v4
	v_addc_co_u32_e32 v49, vcc, v232, v5, vcc
	v_add_co_u32_e32 v50, vcc, v233, v4
	v_addc_co_u32_e32 v51, vcc, v234, v5, vcc
	global_load_dwordx2 v[48:49], v[48:49], off
	s_nop 0
	global_load_dwordx2 v[50:51], v[50:51], off
.LBB130_30:                             ;   in Loop: Header=BB130_5 Depth=1
	s_or_b64 exec, exec, s[10:11]
	v_add_co_u32_e32 v52, vcc, 10, v6
	v_addc_co_u32_e32 v53, vcc, 0, v7, vcc
	v_cmp_gt_i64_e32 vcc, s[12:13], v[52:53]
	v_mov_b32_e32 v52, 0
	v_mov_b32_e32 v53, 0
	s_and_b64 s[34:35], s[2:3], vcc
	s_and_saveexec_b64 s[10:11], s[34:35]
	s_cbranch_execz .LBB130_32
; %bb.31:                               ;   in Loop: Header=BB130_5 Depth=1
	v_add_co_u32_e32 v46, vcc, v227, v4
	v_addc_co_u32_e32 v47, vcc, v228, v5, vcc
	v_add_co_u32_e32 v52, vcc, v229, v4
	v_addc_co_u32_e32 v53, vcc, v230, v5, vcc
	global_load_dwordx2 v[46:47], v[46:47], off
	s_nop 0
	global_load_dwordx2 v[52:53], v[52:53], off
.LBB130_32:                             ;   in Loop: Header=BB130_5 Depth=1
	;; [unrolled: 40-line block ×5, first 2 shown]
	s_or_b64 exec, exec, s[10:11]
	v_add_co_u32_e32 v78, vcc, 17, v6
	v_addc_co_u32_e32 v79, vcc, 0, v7, vcc
	v_cmp_gt_i64_e32 vcc, s[12:13], v[78:79]
	v_mov_b32_e32 v78, 0
	v_mov_b32_e32 v82, 0
	;; [unrolled: 1-line block ×6, first 2 shown]
	s_and_b64 s[34:35], s[2:3], vcc
	s_and_saveexec_b64 s[10:11], s[34:35]
	s_cbranch_execz .LBB130_46
; %bb.45:                               ;   in Loop: Header=BB130_5 Depth=1
	v_add_co_u32_e32 v80, vcc, v199, v4
	v_addc_co_u32_e32 v81, vcc, v200, v5, vcc
	global_load_dwordx2 v[82:83], v[80:81], off
	v_add_co_u32_e32 v80, vcc, v201, v4
	v_addc_co_u32_e32 v81, vcc, v202, v5, vcc
	global_load_dwordx2 v[84:85], v[80:81], off
.LBB130_46:                             ;   in Loop: Header=BB130_5 Depth=1
	s_or_b64 exec, exec, s[10:11]
	v_add_co_u32_e32 v80, vcc, 18, v6
	v_addc_co_u32_e32 v81, vcc, 0, v7, vcc
	v_cmp_gt_i64_e32 vcc, s[12:13], v[80:81]
	v_mov_b32_e32 v86, 0
	v_mov_b32_e32 v87, 0
	s_and_b64 s[34:35], s[2:3], vcc
	s_and_saveexec_b64 s[10:11], s[34:35]
	s_cbranch_execz .LBB130_48
; %bb.47:                               ;   in Loop: Header=BB130_5 Depth=1
	v_add_co_u32_e32 v78, vcc, v195, v4
	v_addc_co_u32_e32 v79, vcc, v196, v5, vcc
	v_add_co_u32_e32 v80, vcc, v197, v4
	v_addc_co_u32_e32 v81, vcc, v198, v5, vcc
	global_load_dwordx2 v[78:79], v[78:79], off
	s_nop 0
	global_load_dwordx2 v[86:87], v[80:81], off
.LBB130_48:                             ;   in Loop: Header=BB130_5 Depth=1
	s_or_b64 exec, exec, s[10:11]
	v_add_co_u32_e32 v80, vcc, 19, v6
	v_addc_co_u32_e32 v81, vcc, 0, v7, vcc
	v_cmp_gt_i64_e32 vcc, s[12:13], v[80:81]
	v_mov_b32_e32 v88, 0
	v_mov_b32_e32 v90, 0
	v_mov_b32_e32 v92, 0
	v_mov_b32_e32 v89, 0
	v_mov_b32_e32 v91, 0
	v_mov_b32_e32 v93, 0
	s_and_b64 s[34:35], s[2:3], vcc
	s_and_saveexec_b64 s[10:11], s[34:35]
	s_cbranch_execz .LBB130_50
; %bb.49:                               ;   in Loop: Header=BB130_5 Depth=1
	v_add_co_u32_e32 v80, vcc, v191, v4
	v_addc_co_u32_e32 v81, vcc, v192, v5, vcc
	global_load_dwordx2 v[90:91], v[80:81], off
	v_add_co_u32_e32 v80, vcc, v193, v4
	v_addc_co_u32_e32 v81, vcc, v194, v5, vcc
	global_load_dwordx2 v[92:93], v[80:81], off
.LBB130_50:                             ;   in Loop: Header=BB130_5 Depth=1
	s_or_b64 exec, exec, s[10:11]
	v_add_co_u32_e32 v80, vcc, 20, v6
	v_addc_co_u32_e32 v81, vcc, 0, v7, vcc
	v_cmp_gt_i64_e32 vcc, s[12:13], v[80:81]
	v_mov_b32_e32 v94, 0
	v_mov_b32_e32 v95, 0
	s_and_b64 s[34:35], s[2:3], vcc
	s_and_saveexec_b64 s[10:11], s[34:35]
	s_cbranch_execz .LBB130_52
; %bb.51:                               ;   in Loop: Header=BB130_5 Depth=1
	v_add_co_u32_e32 v80, vcc, v187, v4
	v_addc_co_u32_e32 v81, vcc, v188, v5, vcc
	global_load_dwordx2 v[88:89], v[80:81], off
	v_add_co_u32_e32 v80, vcc, v189, v4
	v_addc_co_u32_e32 v81, vcc, v190, v5, vcc
	global_load_dwordx2 v[94:95], v[80:81], off
.LBB130_52:                             ;   in Loop: Header=BB130_5 Depth=1
	s_or_b64 exec, exec, s[10:11]
	v_add_co_u32_e32 v80, vcc, 21, v6
	v_addc_co_u32_e32 v81, vcc, 0, v7, vcc
	v_cmp_gt_i64_e32 vcc, s[12:13], v[80:81]
	v_mov_b32_e32 v98, 0
	v_mov_b32_e32 v100, 0
	v_mov_b32_e32 v102, 0
	v_mov_b32_e32 v99, 0
	v_mov_b32_e32 v101, 0
	v_mov_b32_e32 v103, 0
	s_and_b64 s[34:35], s[2:3], vcc
	s_and_saveexec_b64 s[10:11], s[34:35]
	s_cbranch_execz .LBB130_54
; %bb.53:                               ;   in Loop: Header=BB130_5 Depth=1
	v_add_co_u32_e32 v80, vcc, v183, v4
	v_addc_co_u32_e32 v81, vcc, v184, v5, vcc
	global_load_dwordx2 v[100:101], v[80:81], off
	v_add_co_u32_e32 v80, vcc, v185, v4
	v_addc_co_u32_e32 v81, vcc, v186, v5, vcc
	global_load_dwordx2 v[102:103], v[80:81], off
.LBB130_54:                             ;   in Loop: Header=BB130_5 Depth=1
	s_or_b64 exec, exec, s[10:11]
	v_add_co_u32_e32 v80, vcc, 22, v6
	v_addc_co_u32_e32 v81, vcc, 0, v7, vcc
	v_cmp_gt_i64_e32 vcc, s[12:13], v[80:81]
	v_mov_b32_e32 v104, 0
	v_mov_b32_e32 v105, 0
	s_and_b64 s[34:35], s[2:3], vcc
	s_and_saveexec_b64 s[10:11], s[34:35]
	s_cbranch_execz .LBB130_56
; %bb.55:                               ;   in Loop: Header=BB130_5 Depth=1
	v_add_co_u32_e32 v80, vcc, v179, v4
	v_addc_co_u32_e32 v81, vcc, v180, v5, vcc
	global_load_dwordx2 v[98:99], v[80:81], off
	v_add_co_u32_e32 v80, vcc, v181, v4
	v_addc_co_u32_e32 v81, vcc, v182, v5, vcc
	global_load_dwordx2 v[104:105], v[80:81], off
.LBB130_56:                             ;   in Loop: Header=BB130_5 Depth=1
	;; [unrolled: 38-line block ×6, first 2 shown]
	s_or_b64 exec, exec, s[10:11]
	v_add_co_u32_e32 v80, vcc, 31, v6
	v_addc_co_u32_e32 v81, vcc, 0, v7, vcc
	v_cmp_gt_i64_e32 vcc, s[12:13], v[80:81]
	s_waitcnt vmcnt(4)
	v_mov_b32_e32 v31, v1
	v_mov_b32_e32 v29, v22
	;; [unrolled: 1-line block ×8, first 2 shown]
	s_and_b64 s[34:35], s[2:3], vcc
	s_and_saveexec_b64 s[10:11], s[34:35]
	s_cbranch_execz .LBB130_74
; %bb.73:                               ;   in Loop: Header=BB130_5 Depth=1
	v_add_co_u32_e32 v80, vcc, v143, v4
	v_addc_co_u32_e32 v81, vcc, v144, v5, vcc
	v_add_co_u32_e32 v0, vcc, v145, v4
	v_addc_co_u32_e32 v1, vcc, v146, v5, vcc
	global_load_dwordx2 v[80:81], v[80:81], off
	s_nop 0
	global_load_dwordx2 v[0:1], v[0:1], off
	s_waitcnt vmcnt(0)
	v_mul_f64 v[80:81], v[80:81], v[0:1]
.LBB130_74:                             ;   in Loop: Header=BB130_5 Depth=1
	s_or_b64 exec, exec, s[10:11]
	buffer_load_dword v0, off, s[36:39], 0 offset:16 ; 4-byte Folded Reload
	buffer_load_dword v1, off, s[36:39], 0 offset:20 ; 4-byte Folded Reload
	ds_bpermute_b32 v19, v18, v8
	ds_bpermute_b32 v20, v18, v9
	s_mov_b64 s[10:11], 0
	s_waitcnt vmcnt(0)
	v_mul_f64 v[0:1], v[24:25], v[0:1]
	buffer_load_dword v21, off, s[36:39], 0 offset:36 ; 4-byte Folded Reload
	buffer_load_dword v22, off, s[36:39], 0 offset:40 ; 4-byte Folded Reload
	;; [unrolled: 1-line block ×4, first 2 shown]
	s_waitcnt vmcnt(0)
	v_mul_f64 v[21:22], v[21:22], v[23:24]
	buffer_load_dword v23, off, s[36:39], 0 offset:8 ; 4-byte Folded Reload
	buffer_load_dword v24, off, s[36:39], 0 offset:12 ; 4-byte Folded Reload
	s_waitcnt vmcnt(0) lgkmcnt(0)
	v_fma_f64 v[0:1], v[0:1], v[19:20], v[23:24]
	buffer_load_dword v23, off, s[36:39], 0 offset:24 ; 4-byte Folded Reload
	buffer_load_dword v24, off, s[36:39], 0 offset:28 ; 4-byte Folded Reload
	ds_bpermute_b32 v19, v18, v8 offset:4
	ds_bpermute_b32 v20, v18, v9 offset:4
	s_waitcnt lgkmcnt(0)
	v_fma_f64 v[0:1], v[21:22], v[19:20], v[0:1]
	buffer_load_dword v21, off, s[36:39], 0 offset:52 ; 4-byte Folded Reload
	buffer_load_dword v22, off, s[36:39], 0 offset:56 ; 4-byte Folded Reload
	ds_bpermute_b32 v19, v18, v8 offset:8
	ds_bpermute_b32 v20, v18, v9 offset:8
	s_waitcnt vmcnt(2)
	v_mul_f64 v[23:24], v[23:24], v[26:27]
	s_waitcnt lgkmcnt(0)
	v_fma_f64 v[0:1], v[23:24], v[19:20], v[0:1]
	buffer_load_dword v23, off, s[36:39], 0 offset:60 ; 4-byte Folded Reload
	buffer_load_dword v24, off, s[36:39], 0 offset:64 ; 4-byte Folded Reload
	s_waitcnt vmcnt(2)
	v_mul_f64 v[21:22], v[21:22], v[30:31]
	ds_bpermute_b32 v19, v18, v8 offset:12
	ds_bpermute_b32 v20, v18, v9 offset:12
	s_waitcnt lgkmcnt(0)
	v_fma_f64 v[0:1], v[21:22], v[19:20], v[0:1]
	ds_bpermute_b32 v19, v18, v8 offset:16
	ds_bpermute_b32 v20, v18, v9 offset:16
	v_mul_f64 v[21:22], v[32:33], v[34:35]
	s_waitcnt vmcnt(0)
	v_mul_f64 v[23:24], v[28:29], v[23:24]
	s_waitcnt lgkmcnt(0)
	v_fma_f64 v[0:1], v[23:24], v[19:20], v[0:1]
	buffer_load_dword v23, off, s[36:39], 0 offset:68 ; 4-byte Folded Reload
	buffer_load_dword v24, off, s[36:39], 0 offset:72 ; 4-byte Folded Reload
	ds_bpermute_b32 v19, v18, v8 offset:20
	ds_bpermute_b32 v20, v18, v9 offset:20
	s_waitcnt lgkmcnt(0)
	v_fma_f64 v[0:1], v[21:22], v[19:20], v[0:1]
	ds_bpermute_b32 v19, v18, v8 offset:24
	ds_bpermute_b32 v20, v18, v9 offset:24
	v_mul_f64 v[21:22], v[40:41], v[42:43]
	s_waitcnt vmcnt(0)
	v_mul_f64 v[23:24], v[23:24], v[36:37]
	s_waitcnt lgkmcnt(0)
	v_fma_f64 v[0:1], v[23:24], v[19:20], v[0:1]
	ds_bpermute_b32 v19, v18, v8 offset:28
	ds_bpermute_b32 v20, v18, v9 offset:28
	v_mul_f64 v[23:24], v[38:39], v[44:45]
	s_waitcnt lgkmcnt(0)
	v_fma_f64 v[0:1], v[21:22], v[19:20], v[0:1]
	ds_bpermute_b32 v19, v18, v8 offset:32
	ds_bpermute_b32 v20, v18, v9 offset:32
	;; [unrolled: 5-line block ×23, first 2 shown]
	s_waitcnt lgkmcnt(0)
	v_fma_f64 v[0:1], v[21:22], v[19:20], v[0:1]
	v_mul_f64 v[19:20], v[130:131], v[136:137]
	ds_bpermute_b32 v21, v18, v8 offset:120
	ds_bpermute_b32 v22, v18, v9 offset:120
	;; [unrolled: 1-line block ×4, first 2 shown]
	s_waitcnt lgkmcnt(2)
	v_fma_f64 v[0:1], v[19:20], v[21:22], v[0:1]
.LBB130_75:                             ;   in Loop: Header=BB130_5 Depth=1
	s_and_b64 vcc, exec, s[10:11]
	s_cbranch_vccz .LBB130_4
; %bb.76:                               ;   in Loop: Header=BB130_5 Depth=1
	s_load_dword s10, s[24:25], 0x0
	buffer_load_dword v0, off, s[36:39], 0 offset:76 ; 4-byte Folded Reload
	buffer_load_dword v1, off, s[36:39], 0 offset:80 ; 4-byte Folded Reload
	v_mov_b32_e32 v19, 0
	v_mov_b32_e32 v20, 0
	s_waitcnt lgkmcnt(0)
	s_cmp_lt_u32 s6, s10
	s_cselect_b32 s10, 12, 18
	s_add_u32 s10, s24, s10
	s_addc_u32 s11, s25, 0
	s_waitcnt vmcnt(0)
	global_load_ushort v0, v1, s[10:11]
	buffer_load_dword v8, off, s[36:39], 0 offset:548 ; 4-byte Folded Reload
	buffer_load_dword v9, off, s[36:39], 0 offset:552 ; 4-byte Folded Reload
	s_nop 0
	buffer_load_dword v1, off, s[36:39], 0 offset:32 ; 4-byte Folded Reload
	s_waitcnt vmcnt(0)
	v_mad_u32_u24 v0, v8, v0, v1
	v_and_b32_e32 v0, 63, v0
	v_mov_b32_e32 v8, 0
	v_mov_b32_e32 v9, 0
	v_cmp_gt_u32_e32 vcc, 32, v0
	s_and_saveexec_b64 s[10:11], vcc
	s_cbranch_execz .LBB130_80
; %bb.77:                               ;   in Loop: Header=BB130_5 Depth=1
	v_add_co_u32_e32 v0, vcc, v6, v0
	v_addc_co_u32_e32 v1, vcc, 0, v7, vcc
	v_cmp_gt_i64_e32 vcc, s[12:13], v[0:1]
	v_mov_b32_e32 v8, 0
	v_mov_b32_e32 v9, 0
	s_and_saveexec_b64 s[34:35], vcc
	s_cbranch_execz .LBB130_79
; %bb.78:                               ;   in Loop: Header=BB130_5 Depth=1
	v_lshlrev_b64 v[0:1], 3, v[0:1]
	v_mov_b32_e32 v6, s21
	v_add_co_u32_e32 v0, vcc, s20, v0
	v_addc_co_u32_e32 v1, vcc, v6, v1, vcc
	global_load_dwordx2 v[8:9], v[0:1], off
.LBB130_79:                             ;   in Loop: Header=BB130_5 Depth=1
	s_or_b64 exec, exec, s[34:35]
.LBB130_80:                             ;   in Loop: Header=BB130_5 Depth=1
	s_or_b64 exec, exec, s[10:11]
	v_mov_b32_e32 v6, 0
	v_mov_b32_e32 v7, 0
	s_and_saveexec_b64 s[10:11], s[2:3]
	s_cbranch_execz .LBB130_82
; %bb.81:                               ;   in Loop: Header=BB130_5 Depth=1
	buffer_load_dword v0, off, s[36:39], 0  ; 4-byte Folded Reload
	s_waitcnt vmcnt(0)
	v_add_co_u32_e32 v0, vcc, v0, v4
	v_addc_co_u32_e32 v1, vcc, v2, v5, vcc
	global_load_dwordx2 v[19:20], v[0:1], off
	s_nop 0
	buffer_load_dword v0, off, s[36:39], 0 offset:4 ; 4-byte Folded Reload
	s_waitcnt vmcnt(0)
	v_add_co_u32_e32 v0, vcc, v0, v4
	v_addc_co_u32_e32 v1, vcc, v142, v5, vcc
	global_load_dwordx2 v[6:7], v[0:1], off
.LBB130_82:                             ;   in Loop: Header=BB130_5 Depth=1
	s_or_b64 exec, exec, s[10:11]
	v_mov_b32_e32 v80, 0
	v_mov_b32_e32 v136, 0
	;; [unrolled: 1-line block ×6, first 2 shown]
	s_and_saveexec_b64 s[10:11], s[2:3]
	s_cbranch_execz .LBB130_84
; %bb.83:                               ;   in Loop: Header=BB130_5 Depth=1
	v_add_co_u32_e32 v0, vcc, v14, v4
	v_addc_co_u32_e32 v1, vcc, v15, v5, vcc
	global_load_dwordx2 v[136:137], v[0:1], off
	v_add_co_u32_e32 v0, vcc, v16, v4
	v_addc_co_u32_e32 v1, vcc, v17, v5, vcc
	global_load_dwordx2 v[21:22], v[0:1], off
.LBB130_84:                             ;   in Loop: Header=BB130_5 Depth=1
	s_or_b64 exec, exec, s[10:11]
	v_mov_b32_e32 v23, 0
	v_mov_b32_e32 v24, 0
	s_and_saveexec_b64 s[10:11], s[2:3]
	s_cbranch_execz .LBB130_86
; %bb.85:                               ;   in Loop: Header=BB130_5 Depth=1
	v_add_co_u32_e32 v0, vcc, v10, v4
	v_addc_co_u32_e32 v1, vcc, v11, v5, vcc
	global_load_dwordx2 v[80:81], v[0:1], off
	v_add_co_u32_e32 v0, vcc, v12, v4
	v_addc_co_u32_e32 v1, vcc, v13, v5, vcc
	global_load_dwordx2 v[23:24], v[0:1], off
.LBB130_86:                             ;   in Loop: Header=BB130_5 Depth=1
	s_or_b64 exec, exec, s[10:11]
	v_mov_b32_e32 v140, 0
	v_mov_b32_e32 v27, 0
	;; [unrolled: 1-line block ×6, first 2 shown]
	s_and_saveexec_b64 s[10:11], s[2:3]
	s_cbranch_execz .LBB130_88
; %bb.87:                               ;   in Loop: Header=BB130_5 Depth=1
	v_add_co_u32_e32 v0, vcc, v255, v4
	v_addc_co_u32_e32 v1, vcc, v3, v5, vcc
	global_load_dwordx2 v[27:28], v[0:1], off
	v_add_co_u32_e32 v0, vcc, v96, v4
	v_addc_co_u32_e32 v1, vcc, v97, v5, vcc
	global_load_dwordx2 v[29:30], v[0:1], off
.LBB130_88:                             ;   in Loop: Header=BB130_5 Depth=1
	s_or_b64 exec, exec, s[10:11]
	v_mov_b32_e32 v31, 0
	v_mov_b32_e32 v32, 0
	s_and_saveexec_b64 s[10:11], s[2:3]
	s_cbranch_execz .LBB130_90
; %bb.89:                               ;   in Loop: Header=BB130_5 Depth=1
	v_add_co_u32_e32 v0, vcc, v251, v4
	v_addc_co_u32_e32 v1, vcc, v252, v5, vcc
	global_load_dwordx2 v[140:141], v[0:1], off
	v_add_co_u32_e32 v0, vcc, v253, v4
	v_addc_co_u32_e32 v1, vcc, v254, v5, vcc
	global_load_dwordx2 v[31:32], v[0:1], off
.LBB130_90:                             ;   in Loop: Header=BB130_5 Depth=1
	s_or_b64 exec, exec, s[10:11]
	v_mov_b32_e32 v0, 0
	v_mov_b32_e32 v1, 0
	buffer_store_dword v0, off, s[36:39], 0 offset:16 ; 4-byte Folded Spill
	s_nop 0
	buffer_store_dword v1, off, s[36:39], 0 offset:20 ; 4-byte Folded Spill
	v_mov_b32_e32 v33, 0
	v_mov_b32_e32 v0, 0
	;; [unrolled: 1-line block ×4, first 2 shown]
	buffer_store_dword v0, off, s[36:39], 0 offset:24 ; 4-byte Folded Spill
	s_nop 0
	buffer_store_dword v1, off, s[36:39], 0 offset:28 ; 4-byte Folded Spill
	s_and_saveexec_b64 s[10:11], s[2:3]
	s_cbranch_execz .LBB130_92
; %bb.91:                               ;   in Loop: Header=BB130_5 Depth=1
	v_add_co_u32_e32 v0, vcc, v247, v4
	v_addc_co_u32_e32 v1, vcc, v248, v5, vcc
	global_load_dwordx2 v[0:1], v[0:1], off
	s_waitcnt vmcnt(0)
	buffer_store_dword v0, off, s[36:39], 0 offset:16 ; 4-byte Folded Spill
	s_nop 0
	buffer_store_dword v1, off, s[36:39], 0 offset:20 ; 4-byte Folded Spill
	v_add_co_u32_e32 v0, vcc, v249, v4
	v_addc_co_u32_e32 v1, vcc, v250, v5, vcc
	global_load_dwordx2 v[0:1], v[0:1], off
	s_waitcnt vmcnt(0)
	buffer_store_dword v0, off, s[36:39], 0 offset:24 ; 4-byte Folded Spill
	s_nop 0
	buffer_store_dword v1, off, s[36:39], 0 offset:28 ; 4-byte Folded Spill
.LBB130_92:                             ;   in Loop: Header=BB130_5 Depth=1
	s_or_b64 exec, exec, s[10:11]
	v_mov_b32_e32 v0, 0
	v_mov_b32_e32 v1, 0
	buffer_store_dword v0, off, s[36:39], 0 offset:36 ; 4-byte Folded Spill
	s_nop 0
	buffer_store_dword v1, off, s[36:39], 0 offset:40 ; 4-byte Folded Spill
	s_and_saveexec_b64 s[10:11], s[2:3]
	s_cbranch_execz .LBB130_94
; %bb.93:                               ;   in Loop: Header=BB130_5 Depth=1
	v_add_co_u32_e32 v0, vcc, v243, v4
	v_addc_co_u32_e32 v1, vcc, v244, v5, vcc
	global_load_dwordx2 v[33:34], v[0:1], off
	v_add_co_u32_e32 v0, vcc, v245, v4
	v_addc_co_u32_e32 v1, vcc, v246, v5, vcc
	global_load_dwordx2 v[0:1], v[0:1], off
	s_waitcnt vmcnt(0)
	buffer_store_dword v0, off, s[36:39], 0 offset:36 ; 4-byte Folded Spill
	s_nop 0
	buffer_store_dword v1, off, s[36:39], 0 offset:40 ; 4-byte Folded Spill
.LBB130_94:                             ;   in Loop: Header=BB130_5 Depth=1
	s_or_b64 exec, exec, s[10:11]
	v_mov_b32_e32 v36, 0
	v_mov_b32_e32 v38, 0
	;; [unrolled: 1-line block ×6, first 2 shown]
	s_and_saveexec_b64 s[10:11], s[2:3]
	s_cbranch_execz .LBB130_96
; %bb.95:                               ;   in Loop: Header=BB130_5 Depth=1
	v_add_co_u32_e32 v0, vcc, v239, v4
	v_addc_co_u32_e32 v1, vcc, v240, v5, vcc
	global_load_dwordx2 v[38:39], v[0:1], off
	v_add_co_u32_e32 v0, vcc, v241, v4
	v_addc_co_u32_e32 v1, vcc, v242, v5, vcc
	global_load_dwordx2 v[40:41], v[0:1], off
.LBB130_96:                             ;   in Loop: Header=BB130_5 Depth=1
	s_or_b64 exec, exec, s[10:11]
	v_mov_b32_e32 v42, 0
	v_mov_b32_e32 v43, 0
	s_and_saveexec_b64 s[10:11], s[2:3]
	s_cbranch_execz .LBB130_98
; %bb.97:                               ;   in Loop: Header=BB130_5 Depth=1
	v_add_co_u32_e32 v0, vcc, v235, v4
	v_addc_co_u32_e32 v1, vcc, v236, v5, vcc
	global_load_dwordx2 v[36:37], v[0:1], off
	v_add_co_u32_e32 v0, vcc, v237, v4
	v_addc_co_u32_e32 v1, vcc, v238, v5, vcc
	global_load_dwordx2 v[42:43], v[0:1], off
.LBB130_98:                             ;   in Loop: Header=BB130_5 Depth=1
	s_or_b64 exec, exec, s[10:11]
	v_mov_b32_e32 v44, 0
	v_mov_b32_e32 v46, 0
	;; [unrolled: 1-line block ×6, first 2 shown]
	s_and_saveexec_b64 s[10:11], s[2:3]
	s_cbranch_execz .LBB130_100
; %bb.99:                               ;   in Loop: Header=BB130_5 Depth=1
	v_add_co_u32_e32 v0, vcc, v231, v4
	v_addc_co_u32_e32 v1, vcc, v232, v5, vcc
	global_load_dwordx2 v[46:47], v[0:1], off
	v_add_co_u32_e32 v0, vcc, v233, v4
	v_addc_co_u32_e32 v1, vcc, v234, v5, vcc
	global_load_dwordx2 v[48:49], v[0:1], off
.LBB130_100:                            ;   in Loop: Header=BB130_5 Depth=1
	s_or_b64 exec, exec, s[10:11]
	v_mov_b32_e32 v50, 0
	v_mov_b32_e32 v51, 0
	s_and_saveexec_b64 s[10:11], s[2:3]
	s_cbranch_execz .LBB130_102
; %bb.101:                              ;   in Loop: Header=BB130_5 Depth=1
	v_add_co_u32_e32 v0, vcc, v227, v4
	v_addc_co_u32_e32 v1, vcc, v228, v5, vcc
	global_load_dwordx2 v[44:45], v[0:1], off
	v_add_co_u32_e32 v0, vcc, v229, v4
	v_addc_co_u32_e32 v1, vcc, v230, v5, vcc
	global_load_dwordx2 v[50:51], v[0:1], off
.LBB130_102:                            ;   in Loop: Header=BB130_5 Depth=1
	s_or_b64 exec, exec, s[10:11]
	v_mov_b32_e32 v52, 0
	v_mov_b32_e32 v54, 0
	v_mov_b32_e32 v56, 0
	v_mov_b32_e32 v53, 0
	v_mov_b32_e32 v55, 0
	v_mov_b32_e32 v57, 0
	s_and_saveexec_b64 s[10:11], s[2:3]
	s_cbranch_execz .LBB130_104
; %bb.103:                              ;   in Loop: Header=BB130_5 Depth=1
	v_add_co_u32_e32 v0, vcc, v223, v4
	v_addc_co_u32_e32 v1, vcc, v224, v5, vcc
	global_load_dwordx2 v[54:55], v[0:1], off
	v_add_co_u32_e32 v0, vcc, v225, v4
	v_addc_co_u32_e32 v1, vcc, v226, v5, vcc
	global_load_dwordx2 v[56:57], v[0:1], off
.LBB130_104:                            ;   in Loop: Header=BB130_5 Depth=1
	s_or_b64 exec, exec, s[10:11]
	v_mov_b32_e32 v58, 0
	v_mov_b32_e32 v59, 0
	s_and_saveexec_b64 s[10:11], s[2:3]
	s_cbranch_execz .LBB130_106
; %bb.105:                              ;   in Loop: Header=BB130_5 Depth=1
	v_add_co_u32_e32 v0, vcc, v219, v4
	v_addc_co_u32_e32 v1, vcc, v220, v5, vcc
	global_load_dwordx2 v[52:53], v[0:1], off
	v_add_co_u32_e32 v0, vcc, v221, v4
	v_addc_co_u32_e32 v1, vcc, v222, v5, vcc
	global_load_dwordx2 v[58:59], v[0:1], off
.LBB130_106:                            ;   in Loop: Header=BB130_5 Depth=1
	s_or_b64 exec, exec, s[10:11]
	v_mov_b32_e32 v60, 0
	v_mov_b32_e32 v62, 0
	v_mov_b32_e32 v64, 0
	v_mov_b32_e32 v61, 0
	v_mov_b32_e32 v63, 0
	v_mov_b32_e32 v65, 0
	s_and_saveexec_b64 s[10:11], s[2:3]
	s_cbranch_execz .LBB130_108
; %bb.107:                              ;   in Loop: Header=BB130_5 Depth=1
	v_add_co_u32_e32 v0, vcc, v215, v4
	v_addc_co_u32_e32 v1, vcc, v216, v5, vcc
	global_load_dwordx2 v[62:63], v[0:1], off
	v_add_co_u32_e32 v0, vcc, v217, v4
	v_addc_co_u32_e32 v1, vcc, v218, v5, vcc
	global_load_dwordx2 v[64:65], v[0:1], off
.LBB130_108:                            ;   in Loop: Header=BB130_5 Depth=1
	;; [unrolled: 30-line block ×10, first 2 shown]
	s_or_b64 exec, exec, s[10:11]
	v_mov_b32_e32 v0, 0
	v_mov_b32_e32 v1, 0
	s_and_saveexec_b64 s[10:11], s[2:3]
	s_cbranch_execz .LBB130_142
; %bb.141:                              ;   in Loop: Header=BB130_5 Depth=1
	v_add_co_u32_e32 v0, vcc, v147, v4
	v_addc_co_u32_e32 v1, vcc, v148, v5, vcc
	global_load_dwordx2 v[128:129], v[0:1], off
	v_add_co_u32_e32 v0, vcc, v149, v4
	v_addc_co_u32_e32 v1, vcc, v150, v5, vcc
	global_load_dwordx2 v[0:1], v[0:1], off
.LBB130_142:                            ;   in Loop: Header=BB130_5 Depth=1
	s_or_b64 exec, exec, s[10:11]
	s_waitcnt vmcnt(6)
	v_mov_b32_e32 v26, v24
	v_mov_b32_e32 v25, v23
	;; [unrolled: 1-line block ×6, first 2 shown]
	s_and_saveexec_b64 s[10:11], s[2:3]
	s_cbranch_execz .LBB130_3
; %bb.143:                              ;   in Loop: Header=BB130_5 Depth=1
	v_add_co_u32_e32 v80, vcc, v143, v4
	v_addc_co_u32_e32 v81, vcc, v144, v5, vcc
	v_add_co_u32_e32 v134, vcc, v145, v4
	v_addc_co_u32_e32 v135, vcc, v146, v5, vcc
	global_load_dwordx2 v[80:81], v[80:81], off
	s_nop 0
	global_load_dwordx2 v[134:135], v[134:135], off
	s_waitcnt vmcnt(0)
	v_mul_f64 v[80:81], v[80:81], v[134:135]
	s_branch .LBB130_3
.LBB130_144:
                                        ; implicit-def: $vgpr96_vgpr97
	s_load_dwordx2 s[2:3], s[4:5], 0x30
	s_branch .LBB130_147
.LBB130_145:
	buffer_load_dword v96, off, s[36:39], 0 offset:8 ; 4-byte Folded Reload
	buffer_load_dword v97, off, s[36:39], 0 offset:12 ; 4-byte Folded Reload
.LBB130_146:
	s_load_dwordx2 s[2:3], s[4:5], 0x30
	s_cbranch_execnz .LBB130_227
.LBB130_147:
	s_waitcnt vmcnt(0)
	v_mov_b32_e32 v96, 0
	v_mov_b32_e32 v97, 0
	s_and_b64 vcc, exec, s[0:1]
	s_cbranch_vccnz .LBB130_227
; %bb.148:
	buffer_load_dword v0, off, s[36:39], 0 offset:548 ; 4-byte Folded Reload
	buffer_load_dword v1, off, s[36:39], 0 offset:552 ; 4-byte Folded Reload
	v_mov_b32_e32 v4, s17
	s_add_u32 s10, s4, 64
	s_addc_u32 s11, s5, 0
	v_mov_b32_e32 v127, s17
	v_mov_b32_e32 v129, s19
	;; [unrolled: 1-line block ×6, first 2 shown]
	s_mov_b64 s[24:25], s[22:23]
	v_mov_b32_e32 v141, 0
	s_waitcnt vmcnt(1)
	v_mov_b32_e32 v5, v0
	v_lshlrev_b32_e32 v0, 5, v5
	buffer_store_dword v0, off, s[36:39], 0 ; 4-byte Folded Spill
	v_add_co_u32_e32 v0, vcc, s22, v0
	s_waitcnt vmcnt(1)
	v_addc_co_u32_e64 v1, s[0:1], 0, 0, vcc
	v_mul_lo_u32 v2, s15, v0
	v_mul_lo_u32 v3, s14, v1
	v_mad_u64_u32 v[8:9], s[0:1], s14, v0, 0
	s_lshl_b64 s[0:1], s[22:23], 3
	v_add3_u32 v9, v9, v3, v2
	v_lshlrev_b64 v[2:3], 3, v[8:9]
	v_add_co_u32_e32 v6, vcc, s16, v2
	v_addc_co_u32_e32 v4, vcc, v4, v3, vcc
	buffer_store_dword v4, off, s[36:39], 0 offset:8 ; 4-byte Folded Spill
	v_mov_b32_e32 v4, s19
	v_add_co_u32_e32 v2, vcc, s18, v2
	buffer_store_dword v2, off, s[36:39], 0 offset:16 ; 4-byte Folded Spill
	v_addc_co_u32_e32 v2, vcc, v4, v3, vcc
	buffer_store_dword v2, off, s[36:39], 0 offset:24 ; 4-byte Folded Spill
	v_lshlrev_b32_e32 v2, 8, v5
	v_mov_b32_e32 v3, s1
	v_add_co_u32_e32 v124, vcc, s0, v2
	v_addc_co_u32_e32 v125, vcc, 0, v3, vcc
	v_add_co_u32_e32 v4, vcc, 8, v124
	v_addc_co_u32_e32 v5, vcc, 0, v125, vcc
	v_mad_u64_u32 v[2:3], s[0:1], s14, v4, v[126:127]
	v_mul_lo_u32 v11, s14, v5
	v_mul_lo_u32 v12, s15, v4
	v_mad_u64_u32 v[4:5], s[0:1], s14, v4, v[128:129]
	v_add_co_u32_e32 v13, vcc, 16, v124
	buffer_store_dword v6, off, s[36:39], 0 offset:4 ; 4-byte Folded Spill
	v_addc_co_u32_e32 v6, vcc, 0, v125, vcc
	v_add_co_u32_e32 v96, vcc, s14, v8
	v_addc_co_u32_e32 v97, vcc, v9, v10, vcc
	v_add3_u32 v3, v12, v3, v11
	v_add3_u32 v5, v12, v5, v11
	v_add_co_u32_e32 v12, vcc, 24, v124
	v_mul_lo_u32 v16, s14, v6
	v_mul_lo_u32 v17, s15, v13
	v_mad_u64_u32 v[6:7], s[0:1], s14, v13, v[126:127]
	v_mad_u64_u32 v[8:9], s[0:1], s14, v13, v[128:129]
	v_addc_co_u32_e32 v10, vcc, 0, v125, vcc
	v_mul_lo_u32 v18, s14, v10
	v_mul_lo_u32 v19, s15, v12
	v_mad_u64_u32 v[10:11], s[0:1], s14, v12, v[126:127]
	v_mad_u64_u32 v[12:13], s[0:1], s14, v12, v[128:129]
	v_add_co_u32_e32 v20, vcc, 32, v124
	v_addc_co_u32_e32 v14, vcc, 0, v125, vcc
	v_add3_u32 v7, v17, v7, v16
	v_mul_lo_u32 v24, s14, v14
	v_mul_lo_u32 v25, s15, v20
	v_mad_u64_u32 v[14:15], s[0:1], s14, v20, v[126:127]
	v_add3_u32 v9, v17, v9, v16
	v_mad_u64_u32 v[16:17], s[0:1], s14, v20, v[128:129]
	v_add_co_u32_e32 v20, vcc, 40, v124
	v_add3_u32 v11, v19, v11, v18
	v_add3_u32 v13, v19, v13, v18
	v_addc_co_u32_e32 v18, vcc, 0, v125, vcc
	v_mul_lo_u32 v26, s14, v18
	v_mul_lo_u32 v27, s15, v20
	v_mad_u64_u32 v[18:19], s[0:1], s14, v20, v[126:127]
	v_mad_u64_u32 v[20:21], s[0:1], s14, v20, v[128:129]
	v_add_co_u32_e32 v28, vcc, 48, v124
	v_addc_co_u32_e32 v22, vcc, 0, v125, vcc
	v_add3_u32 v15, v25, v15, v24
	v_mul_lo_u32 v32, s14, v22
	v_mul_lo_u32 v33, s15, v28
	v_mad_u64_u32 v[22:23], s[0:1], s14, v28, v[126:127]
	v_add3_u32 v17, v25, v17, v24
	v_mad_u64_u32 v[24:25], s[0:1], s14, v28, v[128:129]
	v_add_co_u32_e32 v28, vcc, 56, v124
	v_add3_u32 v19, v27, v19, v26
	v_add3_u32 v21, v27, v21, v26
	v_addc_co_u32_e32 v26, vcc, 0, v125, vcc
	v_add_co_u32_e32 v36, vcc, 64, v124
	v_mul_lo_u32 v34, s14, v26
	v_mul_lo_u32 v35, s15, v28
	v_mad_u64_u32 v[26:27], s[0:1], s14, v28, v[126:127]
	v_mad_u64_u32 v[28:29], s[0:1], s14, v28, v[128:129]
	v_addc_co_u32_e32 v30, vcc, 0, v125, vcc
	v_add3_u32 v23, v33, v23, v32
	v_mul_lo_u32 v40, s14, v30
	v_mad_u64_u32 v[30:31], s[0:1], s14, v36, v[126:127]
	v_add3_u32 v25, v33, v25, v32
	v_mad_u64_u32 v[32:33], s[0:1], s14, v36, v[128:129]
	s_movk_i32 s0, 0x48
	v_mul_lo_u32 v41, s15, v36
	v_add_co_u32_e32 v36, vcc, s0, v124
	v_add3_u32 v27, v35, v27, v34
	v_add3_u32 v29, v35, v29, v34
	v_addc_co_u32_e32 v34, vcc, 0, v125, vcc
	v_mul_lo_u32 v42, s14, v34
	v_mul_lo_u32 v43, s15, v36
	v_mad_u64_u32 v[34:35], s[0:1], s14, v36, v[126:127]
	v_mad_u64_u32 v[36:37], s[0:1], s14, v36, v[128:129]
	s_movk_i32 s0, 0x50
	v_add_co_u32_e32 v44, vcc, s0, v124
	v_addc_co_u32_e32 v38, vcc, 0, v125, vcc
	v_add3_u32 v31, v41, v31, v40
	v_mul_lo_u32 v48, s14, v38
	v_mad_u64_u32 v[38:39], s[0:1], s14, v44, v[126:127]
	v_add3_u32 v33, v41, v33, v40
	v_mad_u64_u32 v[40:41], s[0:1], s14, v44, v[128:129]
	s_movk_i32 s0, 0x58
	v_mul_lo_u32 v49, s15, v44
	v_add_co_u32_e32 v44, vcc, s0, v124
	v_add3_u32 v35, v43, v35, v42
	v_add3_u32 v37, v43, v37, v42
	v_addc_co_u32_e32 v42, vcc, 0, v125, vcc
	v_mul_lo_u32 v50, s14, v42
	v_mul_lo_u32 v51, s15, v44
	v_mad_u64_u32 v[42:43], s[0:1], s14, v44, v[126:127]
	v_mad_u64_u32 v[44:45], s[0:1], s14, v44, v[128:129]
	s_movk_i32 s0, 0x60
	v_add_co_u32_e32 v52, vcc, s0, v124
	;; [unrolled: 18-line block ×11, first 2 shown]
	v_addc_co_u32_e32 v120, vcc, 0, v125, vcc
	v_add3_u32 v113, v123, v113, v122
	v_mul_lo_u32 v133, s14, v120
	v_mad_u64_u32 v[120:121], s[0:1], s14, v132, v[126:127]
	v_add3_u32 v115, v123, v115, v122
	v_mad_u64_u32 v[122:123], s[0:1], s14, v132, v[128:129]
	s_movk_i32 s0, 0xf8
	v_add3_u32 v117, v131, v117, v130
	v_add3_u32 v119, v131, v119, v130
	v_add_co_u32_e32 v130, vcc, s0, v124
	v_addc_co_u32_e32 v131, vcc, 0, v125, vcc
	v_mad_u64_u32 v[124:125], s[0:1], s14, v130, v[126:127]
	v_mad_u64_u32 v[126:127], s[0:1], s14, v130, v[128:129]
	v_add_co_u32_e32 v128, vcc, 31, v0
	v_addc_co_u32_e32 v129, vcc, 0, v1, vcc
	v_mul_lo_u32 v134, s15, v132
	v_mul_lo_u32 v132, s14, v129
	;; [unrolled: 1-line block ×3, first 2 shown]
	v_mad_u64_u32 v[128:129], s[0:1], s14, v128, 0
	v_mul_lo_u32 v131, s14, v131
	v_mul_lo_u32 v130, s15, v130
	v_add3_u32 v129, v129, v132, v135
	v_lshlrev_b64 v[128:129], 3, v[128:129]
	v_add3_u32 v121, v134, v121, v133
	v_add3_u32 v125, v130, v125, v131
	v_add3_u32 v127, v130, v127, v131
	v_mov_b32_e32 v130, s17
	v_add_co_u32_e32 v131, vcc, s16, v128
	v_addc_co_u32_e32 v130, vcc, v130, v129, vcc
	buffer_store_dword v130, off, s[36:39], 0 offset:44 ; 4-byte Folded Spill
	v_add_co_u32_e32 v130, vcc, 30, v0
	buffer_store_dword v131, off, s[36:39], 0 offset:36 ; 4-byte Folded Spill
	v_addc_co_u32_e32 v131, vcc, 0, v1, vcc
	v_add3_u32 v123, v134, v123, v133
	v_mul_lo_u32 v133, s14, v131
	v_mul_lo_u32 v134, s15, v130
	v_mad_u64_u32 v[130:131], s[0:1], s14, v130, 0
	v_mov_b32_e32 v132, s19
	v_add_co_u32_e32 v128, vcc, s18, v128
	buffer_store_dword v128, off, s[36:39], 0 offset:52 ; 4-byte Folded Spill
	v_addc_co_u32_e32 v128, vcc, v132, v129, vcc
	v_add3_u32 v131, v131, v133, v134
	buffer_store_dword v128, off, s[36:39], 0 offset:60 ; 4-byte Folded Spill
	v_lshlrev_b64 v[128:129], 3, v[130:131]
	v_mov_b32_e32 v130, s17
	v_add_co_u32_e32 v131, vcc, s16, v128
	v_addc_co_u32_e32 v130, vcc, v130, v129, vcc
	buffer_store_dword v130, off, s[36:39], 0 offset:76 ; 4-byte Folded Spill
	v_add_co_u32_e32 v130, vcc, 29, v0
	buffer_store_dword v131, off, s[36:39], 0 offset:68 ; 4-byte Folded Spill
	v_addc_co_u32_e32 v131, vcc, 0, v1, vcc
	v_mul_lo_u32 v133, s14, v131
	v_mul_lo_u32 v134, s15, v130
	v_mad_u64_u32 v[130:131], s[0:1], s14, v130, 0
	v_add_co_u32_e32 v128, vcc, s18, v128
	buffer_store_dword v128, off, s[36:39], 0 offset:84 ; 4-byte Folded Spill
	v_addc_co_u32_e32 v128, vcc, v132, v129, vcc
	v_add3_u32 v131, v131, v133, v134
	buffer_store_dword v128, off, s[36:39], 0 offset:88 ; 4-byte Folded Spill
	v_lshlrev_b64 v[128:129], 3, v[130:131]
	v_mov_b32_e32 v130, s17
	v_add_co_u32_e32 v131, vcc, s16, v128
	v_addc_co_u32_e32 v130, vcc, v130, v129, vcc
	buffer_store_dword v130, off, s[36:39], 0 offset:96 ; 4-byte Folded Spill
	v_add_co_u32_e32 v130, vcc, 28, v0
	buffer_store_dword v131, off, s[36:39], 0 offset:92 ; 4-byte Folded Spill
	v_addc_co_u32_e32 v131, vcc, 0, v1, vcc
	v_mul_lo_u32 v133, s14, v131
	v_mul_lo_u32 v134, s15, v130
	v_mad_u64_u32 v[130:131], s[0:1], s14, v130, 0
	;; [unrolled: 16-line block ×26, first 2 shown]
	v_add_co_u32_e32 v128, vcc, s18, v128
	buffer_store_dword v128, off, s[36:39], 0 offset:484 ; 4-byte Folded Spill
	v_addc_co_u32_e32 v128, vcc, v132, v129, vcc
	v_add3_u32 v131, v131, v133, v134
	buffer_store_dword v128, off, s[36:39], 0 offset:488 ; 4-byte Folded Spill
	v_lshlrev_b64 v[128:129], 3, v[130:131]
	v_mov_b32_e32 v130, s17
	v_add_co_u32_e32 v131, vcc, s16, v128
	v_addc_co_u32_e32 v130, vcc, v130, v129, vcc
	buffer_store_dword v130, off, s[36:39], 0 offset:496 ; 4-byte Folded Spill
	v_mov_b32_e32 v130, s19
	v_add_co_u32_e32 v128, vcc, s18, v128
	buffer_store_dword v128, off, s[36:39], 0 offset:500 ; 4-byte Folded Spill
	v_addc_co_u32_e32 v128, vcc, v130, v129, vcc
	buffer_store_dword v128, off, s[36:39], 0 offset:504 ; 4-byte Folded Spill
	v_add_co_u32_e32 v128, vcc, 3, v0
	v_addc_co_u32_e32 v129, vcc, 0, v1, vcc
	buffer_store_dword v131, off, s[36:39], 0 offset:492 ; 4-byte Folded Spill
	v_mul_lo_u32 v130, s14, v129
	v_mul_lo_u32 v131, s15, v128
	v_mad_u64_u32 v[128:129], s[0:1], s14, v128, 0
	v_add3_u32 v129, v129, v130, v131
	v_lshlrev_b64 v[128:129], 3, v[128:129]
	v_mov_b32_e32 v130, s17
	v_add_co_u32_e32 v131, vcc, s16, v128
	v_addc_co_u32_e32 v130, vcc, v130, v129, vcc
	buffer_store_dword v130, off, s[36:39], 0 offset:512 ; 4-byte Folded Spill
	v_mov_b32_e32 v130, s19
	v_add_co_u32_e32 v128, vcc, s18, v128
	buffer_store_dword v128, off, s[36:39], 0 offset:516 ; 4-byte Folded Spill
	v_addc_co_u32_e32 v128, vcc, v130, v129, vcc
	v_add_co_u32_e32 v0, vcc, 2, v0
	v_addc_co_u32_e32 v1, vcc, 0, v1, vcc
	buffer_store_dword v128, off, s[36:39], 0 offset:520 ; 4-byte Folded Spill
	v_mul_lo_u32 v128, s14, v1
	v_mul_lo_u32 v129, s15, v0
	v_mad_u64_u32 v[0:1], s[0:1], s14, v0, 0
	s_load_dword s0, s[4:5], 0x44
	buffer_store_dword v131, off, s[36:39], 0 offset:508 ; 4-byte Folded Spill
	v_add3_u32 v1, v1, v128, v129
	v_lshlrev_b64 v[0:1], 3, v[0:1]
	v_mov_b32_e32 v128, s17
	v_add_co_u32_e32 v129, vcc, s16, v0
	v_addc_co_u32_e32 v128, vcc, v128, v1, vcc
	buffer_store_dword v128, off, s[36:39], 0 offset:528 ; 4-byte Folded Spill
	v_mov_b32_e32 v128, s19
	v_add_co_u32_e32 v0, vcc, s18, v0
	buffer_store_dword v0, off, s[36:39], 0 offset:532 ; 4-byte Folded Spill
	v_addc_co_u32_e32 v0, vcc, v128, v1, vcc
	buffer_store_dword v0, off, s[36:39], 0 offset:536 ; 4-byte Folded Spill
	v_lshlrev_b64 v[0:1], 3, v[96:97]
	v_mov_b32_e32 v96, s17
	v_add_co_u32_e32 v97, vcc, s16, v0
	v_addc_co_u32_e32 v96, vcc, v96, v1, vcc
	v_add_co_u32_e32 v146, vcc, s18, v0
	buffer_load_dword v0, off, s[36:39], 0 offset:32 ; 4-byte Folded Reload
	s_nop 0
	buffer_store_dword v96, off, s[36:39], 0 offset:544 ; 4-byte Folded Spill
	v_mov_b32_e32 v96, s19
	v_addc_co_u32_e32 v147, vcc, v96, v1, vcc
	buffer_store_dword v97, off, s[36:39], 0 offset:540 ; 4-byte Folded Spill
	v_mov_b32_e32 v97, 0
	s_mov_b64 s[18:19], 31
	v_mov_b32_e32 v145, v97
	v_mov_b32_e32 v1, v97
	buffer_store_dword v129, off, s[36:39], 0 offset:524 ; 4-byte Folded Spill
	s_waitcnt vmcnt(3)
	v_add_u32_e32 v96, s7, v0
	s_waitcnt lgkmcnt(0)
	s_lshl_b32 s7, s0, 5
	v_mbcnt_lo_u32_b32 v0, -1, 0
	s_mul_i32 s0, s15, s7
	s_mul_hi_u32 s1, s14, s7
	v_mbcnt_hi_u32_b32 v0, -1, v0
	s_add_i32 s1, s1, s0
	s_mul_i32 s0, s14, s7
	v_lshlrev_b32_e32 v0, 2, v0
	v_lshlrev_b64 v[130:131], 3, v[96:97]
	s_lshl_b64 s[16:17], s[0:1], 3
	v_and_b32_e32 v144, 0x100, v0
	buffer_store_dword v0, off, s[36:39], 0 offset:588 ; 4-byte Folded Spill
	s_nop 0
	buffer_store_dword v1, off, s[36:39], 0 offset:592 ; 4-byte Folded Spill
.LBB130_149:                            ; =>This Inner Loop Header: Depth=1
	s_add_u32 s0, s22, s18
	v_mov_b32_e32 v0, s12
	s_addc_u32 s1, 0, s19
	v_mov_b32_e32 v1, s13
	v_cmp_ge_i64_e32 vcc, s[0:1], v[0:1]
	buffer_load_dword v0, off, s[36:39], 0  ; 4-byte Folded Reload
	s_and_b64 vcc, exec, vcc
                                        ; implicit-def: $vgpr96_vgpr97
	s_waitcnt vmcnt(0)
	v_add_co_u32_e64 v134, s[0:1], s22, v0
	v_addc_co_u32_e64 v135, s[0:1], 0, v145, s[0:1]
	s_mov_b64 s[0:1], -1
	s_cbranch_vccz .LBB130_219
; %bb.150:                              ;   in Loop: Header=BB130_149 Depth=1
	s_load_dword s0, s[10:11], 0xc
	buffer_load_dword v0, off, s[36:39], 0 offset:548 ; 4-byte Folded Reload
	buffer_load_dword v1, off, s[36:39], 0 offset:552 ; 4-byte Folded Reload
	;; [unrolled: 1-line block ×3, first 2 shown]
	v_mov_b32_e32 v138, 0
	v_mov_b32_e32 v96, 0
	s_waitcnt lgkmcnt(0)
	s_and_b32 s0, s0, 0xffff
	v_mov_b32_e32 v139, 0
	v_mov_b32_e32 v97, 0
	s_waitcnt vmcnt(0)
	v_mad_u32_u24 v0, v0, s0, v1
	v_and_b32_e32 v0, 63, v0
	v_cmp_gt_u32_e32 vcc, 32, v0
	s_and_saveexec_b64 s[0:1], vcc
	s_cbranch_execz .LBB130_154
; %bb.151:                              ;   in Loop: Header=BB130_149 Depth=1
	v_add_co_u32_e32 v0, vcc, v134, v0
	v_addc_co_u32_e32 v1, vcc, 0, v135, vcc
	v_cmp_gt_i64_e32 vcc, s[12:13], v[0:1]
	v_mov_b32_e32 v96, 0
	v_mov_b32_e32 v97, 0
	s_and_saveexec_b64 s[26:27], vcc
	s_cbranch_execz .LBB130_153
; %bb.152:                              ;   in Loop: Header=BB130_149 Depth=1
	v_lshlrev_b64 v[0:1], 3, v[0:1]
	v_mov_b32_e32 v96, s21
	v_add_co_u32_e32 v0, vcc, s20, v0
	v_addc_co_u32_e32 v1, vcc, v96, v1, vcc
	global_load_dwordx2 v[96:97], v[0:1], off
.LBB130_153:                            ;   in Loop: Header=BB130_149 Depth=1
	s_or_b64 exec, exec, s[26:27]
.LBB130_154:                            ;   in Loop: Header=BB130_149 Depth=1
	s_or_b64 exec, exec, s[0:1]
	v_cmp_gt_i64_e32 vcc, s[12:13], v[134:135]
	v_mov_b32_e32 v148, 0
	v_mov_b32_e32 v149, 0
	s_and_saveexec_b64 s[0:1], vcc
	s_cbranch_execz .LBB130_156
; %bb.155:                              ;   in Loop: Header=BB130_149 Depth=1
	buffer_load_dword v0, off, s[36:39], 0 offset:4 ; 4-byte Folded Reload
	buffer_load_dword v1, off, s[36:39], 0 offset:8 ; 4-byte Folded Reload
	s_waitcnt vmcnt(1)
	v_add_co_u32_e32 v0, vcc, v0, v130
	s_waitcnt vmcnt(0)
	v_addc_co_u32_e32 v1, vcc, v1, v131, vcc
	global_load_dwordx2 v[138:139], v[0:1], off
	s_nop 0
	buffer_load_dword v0, off, s[36:39], 0 offset:16 ; 4-byte Folded Reload
	buffer_load_dword v1, off, s[36:39], 0 offset:24 ; 4-byte Folded Reload
	s_waitcnt vmcnt(1)
	v_add_co_u32_e32 v0, vcc, v0, v130
	s_waitcnt vmcnt(0)
	v_addc_co_u32_e32 v1, vcc, v1, v131, vcc
	global_load_dwordx2 v[148:149], v[0:1], off
.LBB130_156:                            ;   in Loop: Header=BB130_149 Depth=1
	s_or_b64 exec, exec, s[0:1]
	v_add_co_u32_e32 v0, vcc, 1, v134
	v_addc_co_u32_e32 v1, vcc, 0, v135, vcc
	v_cmp_gt_i64_e32 vcc, s[12:13], v[0:1]
	v_mov_b32_e32 v142, 0
	v_mov_b32_e32 v150, 0
	;; [unrolled: 1-line block ×6, first 2 shown]
	buffer_store_dword v0, off, s[36:39], 0 offset:556 ; 4-byte Folded Spill
	s_nop 0
	buffer_store_dword v1, off, s[36:39], 0 offset:560 ; 4-byte Folded Spill
	s_and_saveexec_b64 s[0:1], vcc
	s_cbranch_execz .LBB130_158
; %bb.157:                              ;   in Loop: Header=BB130_149 Depth=1
	buffer_load_dword v0, off, s[36:39], 0 offset:540 ; 4-byte Folded Reload
	buffer_load_dword v1, off, s[36:39], 0 offset:544 ; 4-byte Folded Reload
	s_waitcnt vmcnt(1)
	v_add_co_u32_e32 v0, vcc, v0, v130
	s_waitcnt vmcnt(0)
	v_addc_co_u32_e32 v1, vcc, v1, v131, vcc
	global_load_dwordx2 v[150:151], v[0:1], off
	v_add_co_u32_e32 v0, vcc, v146, v130
	v_addc_co_u32_e32 v1, vcc, v147, v131, vcc
	global_load_dwordx2 v[0:1], v[0:1], off
	s_waitcnt vmcnt(0)
	buffer_store_dword v0, off, s[36:39], 0 offset:556 ; 4-byte Folded Spill
	s_nop 0
	buffer_store_dword v1, off, s[36:39], 0 offset:560 ; 4-byte Folded Spill
.LBB130_158:                            ;   in Loop: Header=BB130_149 Depth=1
	s_or_b64 exec, exec, s[0:1]
	v_add_co_u32_e32 v0, vcc, 2, v134
	v_addc_co_u32_e32 v1, vcc, 0, v135, vcc
	v_cmp_gt_i64_e32 vcc, s[12:13], v[0:1]
	v_mov_b32_e32 v0, 0
	v_mov_b32_e32 v1, 0
	buffer_store_dword v0, off, s[36:39], 0 offset:564 ; 4-byte Folded Spill
	s_nop 0
	buffer_store_dword v1, off, s[36:39], 0 offset:568 ; 4-byte Folded Spill
	s_and_saveexec_b64 s[0:1], vcc
	s_cbranch_execz .LBB130_160
; %bb.159:                              ;   in Loop: Header=BB130_149 Depth=1
	buffer_load_dword v0, off, s[36:39], 0 offset:524 ; 4-byte Folded Reload
	buffer_load_dword v1, off, s[36:39], 0 offset:528 ; 4-byte Folded Reload
	s_waitcnt vmcnt(1)
	v_add_co_u32_e32 v0, vcc, v0, v130
	s_waitcnt vmcnt(0)
	v_addc_co_u32_e32 v1, vcc, v1, v131, vcc
	global_load_dwordx2 v[142:143], v[0:1], off
	s_nop 0
	buffer_load_dword v0, off, s[36:39], 0 offset:532 ; 4-byte Folded Reload
	buffer_load_dword v1, off, s[36:39], 0 offset:536 ; 4-byte Folded Reload
	s_waitcnt vmcnt(1)
	v_add_co_u32_e32 v0, vcc, v0, v130
	s_waitcnt vmcnt(0)
	v_addc_co_u32_e32 v1, vcc, v1, v131, vcc
	global_load_dwordx2 v[0:1], v[0:1], off
	s_waitcnt vmcnt(0)
	buffer_store_dword v0, off, s[36:39], 0 offset:564 ; 4-byte Folded Spill
	s_nop 0
	buffer_store_dword v1, off, s[36:39], 0 offset:568 ; 4-byte Folded Spill
.LBB130_160:                            ;   in Loop: Header=BB130_149 Depth=1
	s_or_b64 exec, exec, s[0:1]
	v_add_co_u32_e32 v0, vcc, 3, v134
	v_addc_co_u32_e32 v1, vcc, 0, v135, vcc
	v_cmp_gt_i64_e32 vcc, s[12:13], v[0:1]
	v_mov_b32_e32 v0, 0
	v_mov_b32_e32 v1, 0
	buffer_store_dword v0, off, s[36:39], 0 offset:572 ; 4-byte Folded Spill
	s_nop 0
	buffer_store_dword v1, off, s[36:39], 0 offset:576 ; 4-byte Folded Spill
	v_mov_b32_e32 v0, 0
	v_mov_b32_e32 v152, 0
	;; [unrolled: 1-line block ×4, first 2 shown]
	buffer_store_dword v0, off, s[36:39], 0 offset:580 ; 4-byte Folded Spill
	s_nop 0
	buffer_store_dword v1, off, s[36:39], 0 offset:584 ; 4-byte Folded Spill
	s_and_saveexec_b64 s[0:1], vcc
	s_cbranch_execz .LBB130_162
; %bb.161:                              ;   in Loop: Header=BB130_149 Depth=1
	buffer_load_dword v0, off, s[36:39], 0 offset:508 ; 4-byte Folded Reload
	buffer_load_dword v1, off, s[36:39], 0 offset:512 ; 4-byte Folded Reload
	s_waitcnt vmcnt(1)
	v_add_co_u32_e32 v0, vcc, v0, v130
	s_waitcnt vmcnt(0)
	v_addc_co_u32_e32 v1, vcc, v1, v131, vcc
	global_load_dwordx2 v[0:1], v[0:1], off
	s_waitcnt vmcnt(0)
	buffer_store_dword v0, off, s[36:39], 0 offset:580 ; 4-byte Folded Spill
	s_nop 0
	buffer_store_dword v1, off, s[36:39], 0 offset:584 ; 4-byte Folded Spill
	buffer_load_dword v0, off, s[36:39], 0 offset:516 ; 4-byte Folded Reload
	s_nop 0
	buffer_load_dword v1, off, s[36:39], 0 offset:520 ; 4-byte Folded Reload
	s_waitcnt vmcnt(1)
	v_add_co_u32_e32 v0, vcc, v0, v130
	s_waitcnt vmcnt(0)
	v_addc_co_u32_e32 v1, vcc, v1, v131, vcc
	global_load_dwordx2 v[152:153], v[0:1], off
.LBB130_162:                            ;   in Loop: Header=BB130_149 Depth=1
	s_or_b64 exec, exec, s[0:1]
	v_add_co_u32_e32 v0, vcc, 4, v134
	v_addc_co_u32_e32 v1, vcc, 0, v135, vcc
	v_cmp_gt_i64_e32 vcc, s[12:13], v[0:1]
	v_mov_b32_e32 v154, 0
	v_mov_b32_e32 v155, 0
	s_and_saveexec_b64 s[0:1], vcc
	s_cbranch_execz .LBB130_164
; %bb.163:                              ;   in Loop: Header=BB130_149 Depth=1
	buffer_load_dword v0, off, s[36:39], 0 offset:492 ; 4-byte Folded Reload
	buffer_load_dword v1, off, s[36:39], 0 offset:496 ; 4-byte Folded Reload
	s_waitcnt vmcnt(1)
	v_add_co_u32_e32 v0, vcc, v0, v130
	s_waitcnt vmcnt(0)
	v_addc_co_u32_e32 v1, vcc, v1, v131, vcc
	global_load_dwordx2 v[0:1], v[0:1], off
	s_waitcnt vmcnt(0)
	buffer_store_dword v0, off, s[36:39], 0 offset:572 ; 4-byte Folded Spill
	s_nop 0
	buffer_store_dword v1, off, s[36:39], 0 offset:576 ; 4-byte Folded Spill
	buffer_load_dword v0, off, s[36:39], 0 offset:500 ; 4-byte Folded Reload
	s_nop 0
	buffer_load_dword v1, off, s[36:39], 0 offset:504 ; 4-byte Folded Reload
	s_waitcnt vmcnt(1)
	v_add_co_u32_e32 v0, vcc, v0, v130
	s_waitcnt vmcnt(0)
	v_addc_co_u32_e32 v1, vcc, v1, v131, vcc
	global_load_dwordx2 v[154:155], v[0:1], off
.LBB130_164:                            ;   in Loop: Header=BB130_149 Depth=1
	s_or_b64 exec, exec, s[0:1]
	v_add_co_u32_e32 v0, vcc, 5, v134
	v_addc_co_u32_e32 v1, vcc, 0, v135, vcc
	v_cmp_gt_i64_e32 vcc, s[12:13], v[0:1]
	v_mov_b32_e32 v156, 0
	v_mov_b32_e32 v158, 0
	v_mov_b32_e32 v160, 0
	v_mov_b32_e32 v157, 0
	v_mov_b32_e32 v159, 0
	v_mov_b32_e32 v161, 0
	s_and_saveexec_b64 s[0:1], vcc
	s_cbranch_execz .LBB130_166
; %bb.165:                              ;   in Loop: Header=BB130_149 Depth=1
	buffer_load_dword v0, off, s[36:39], 0 offset:476 ; 4-byte Folded Reload
	buffer_load_dword v1, off, s[36:39], 0 offset:480 ; 4-byte Folded Reload
	s_waitcnt vmcnt(1)
	v_add_co_u32_e32 v0, vcc, v0, v130
	s_waitcnt vmcnt(0)
	v_addc_co_u32_e32 v1, vcc, v1, v131, vcc
	global_load_dwordx2 v[158:159], v[0:1], off
	s_nop 0
	buffer_load_dword v0, off, s[36:39], 0 offset:484 ; 4-byte Folded Reload
	buffer_load_dword v1, off, s[36:39], 0 offset:488 ; 4-byte Folded Reload
	s_waitcnt vmcnt(1)
	v_add_co_u32_e32 v0, vcc, v0, v130
	s_waitcnt vmcnt(0)
	v_addc_co_u32_e32 v1, vcc, v1, v131, vcc
	global_load_dwordx2 v[160:161], v[0:1], off
.LBB130_166:                            ;   in Loop: Header=BB130_149 Depth=1
	s_or_b64 exec, exec, s[0:1]
	v_add_co_u32_e32 v0, vcc, 6, v134
	v_addc_co_u32_e32 v1, vcc, 0, v135, vcc
	v_cmp_gt_i64_e32 vcc, s[12:13], v[0:1]
	v_mov_b32_e32 v162, 0
	v_mov_b32_e32 v163, 0
	s_and_saveexec_b64 s[0:1], vcc
	s_cbranch_execz .LBB130_168
; %bb.167:                              ;   in Loop: Header=BB130_149 Depth=1
	buffer_load_dword v0, off, s[36:39], 0 offset:460 ; 4-byte Folded Reload
	buffer_load_dword v1, off, s[36:39], 0 offset:464 ; 4-byte Folded Reload
	s_waitcnt vmcnt(1)
	v_add_co_u32_e32 v0, vcc, v0, v130
	s_waitcnt vmcnt(0)
	v_addc_co_u32_e32 v1, vcc, v1, v131, vcc
	global_load_dwordx2 v[156:157], v[0:1], off
	s_nop 0
	buffer_load_dword v0, off, s[36:39], 0 offset:468 ; 4-byte Folded Reload
	buffer_load_dword v1, off, s[36:39], 0 offset:472 ; 4-byte Folded Reload
	s_waitcnt vmcnt(1)
	v_add_co_u32_e32 v0, vcc, v0, v130
	s_waitcnt vmcnt(0)
	v_addc_co_u32_e32 v1, vcc, v1, v131, vcc
	global_load_dwordx2 v[162:163], v[0:1], off
.LBB130_168:                            ;   in Loop: Header=BB130_149 Depth=1
	s_or_b64 exec, exec, s[0:1]
	v_add_co_u32_e32 v0, vcc, 7, v134
	v_addc_co_u32_e32 v1, vcc, 0, v135, vcc
	v_cmp_gt_i64_e32 vcc, s[12:13], v[0:1]
	v_mov_b32_e32 v164, 0
	v_mov_b32_e32 v166, 0
	v_mov_b32_e32 v168, 0
	v_mov_b32_e32 v165, 0
	v_mov_b32_e32 v167, 0
	v_mov_b32_e32 v169, 0
	s_and_saveexec_b64 s[0:1], vcc
	s_cbranch_execz .LBB130_170
; %bb.169:                              ;   in Loop: Header=BB130_149 Depth=1
	buffer_load_dword v0, off, s[36:39], 0 offset:444 ; 4-byte Folded Reload
	buffer_load_dword v1, off, s[36:39], 0 offset:448 ; 4-byte Folded Reload
	s_waitcnt vmcnt(1)
	v_add_co_u32_e32 v0, vcc, v0, v130
	s_waitcnt vmcnt(0)
	v_addc_co_u32_e32 v1, vcc, v1, v131, vcc
	global_load_dwordx2 v[166:167], v[0:1], off
	s_nop 0
	buffer_load_dword v0, off, s[36:39], 0 offset:452 ; 4-byte Folded Reload
	buffer_load_dword v1, off, s[36:39], 0 offset:456 ; 4-byte Folded Reload
	s_waitcnt vmcnt(1)
	v_add_co_u32_e32 v0, vcc, v0, v130
	s_waitcnt vmcnt(0)
	v_addc_co_u32_e32 v1, vcc, v1, v131, vcc
	global_load_dwordx2 v[168:169], v[0:1], off
.LBB130_170:                            ;   in Loop: Header=BB130_149 Depth=1
	s_or_b64 exec, exec, s[0:1]
	v_add_co_u32_e32 v0, vcc, 8, v134
	v_addc_co_u32_e32 v1, vcc, 0, v135, vcc
	v_cmp_gt_i64_e32 vcc, s[12:13], v[0:1]
	v_mov_b32_e32 v170, 0
	v_mov_b32_e32 v171, 0
	s_and_saveexec_b64 s[0:1], vcc
	s_cbranch_execz .LBB130_172
; %bb.171:                              ;   in Loop: Header=BB130_149 Depth=1
	buffer_load_dword v0, off, s[36:39], 0 offset:428 ; 4-byte Folded Reload
	buffer_load_dword v1, off, s[36:39], 0 offset:432 ; 4-byte Folded Reload
	s_waitcnt vmcnt(1)
	v_add_co_u32_e32 v0, vcc, v0, v130
	s_waitcnt vmcnt(0)
	v_addc_co_u32_e32 v1, vcc, v1, v131, vcc
	global_load_dwordx2 v[164:165], v[0:1], off
	s_nop 0
	buffer_load_dword v0, off, s[36:39], 0 offset:436 ; 4-byte Folded Reload
	buffer_load_dword v1, off, s[36:39], 0 offset:440 ; 4-byte Folded Reload
	s_waitcnt vmcnt(1)
	v_add_co_u32_e32 v0, vcc, v0, v130
	s_waitcnt vmcnt(0)
	v_addc_co_u32_e32 v1, vcc, v1, v131, vcc
	global_load_dwordx2 v[170:171], v[0:1], off
.LBB130_172:                            ;   in Loop: Header=BB130_149 Depth=1
	;; [unrolled: 54-line block ×13, first 2 shown]
	s_or_b64 exec, exec, s[0:1]
	v_add_co_u32_e32 v0, vcc, 31, v134
	v_addc_co_u32_e32 v1, vcc, 0, v135, vcc
	v_cmp_gt_i64_e32 vcc, s[12:13], v[0:1]
	v_mov_b32_e32 v0, 0
	v_mov_b32_e32 v1, 0
	s_and_saveexec_b64 s[0:1], vcc
	s_cbranch_execz .LBB130_218
; %bb.217:                              ;   in Loop: Header=BB130_149 Depth=1
	buffer_load_dword v0, off, s[36:39], 0 offset:36 ; 4-byte Folded Reload
	buffer_load_dword v1, off, s[36:39], 0 offset:44 ; 4-byte Folded Reload
	;; [unrolled: 1-line block ×4, first 2 shown]
	s_waitcnt vmcnt(3)
	v_add_co_u32_e32 v0, vcc, v0, v130
	s_waitcnt vmcnt(2)
	v_addc_co_u32_e32 v1, vcc, v1, v131, vcc
	s_waitcnt vmcnt(1)
	v_add_co_u32_e32 v136, vcc, v136, v130
	s_waitcnt vmcnt(0)
	v_addc_co_u32_e32 v137, vcc, v137, v131, vcc
	global_load_dwordx2 v[0:1], v[0:1], off
	s_nop 0
	global_load_dwordx2 v[136:137], v[136:137], off
	s_waitcnt vmcnt(0)
	v_mul_f64 v[0:1], v[0:1], v[136:137]
.LBB130_218:                            ;   in Loop: Header=BB130_149 Depth=1
	s_or_b64 exec, exec, s[0:1]
	s_waitcnt vmcnt(8)
	v_mul_f64 v[136:137], v[138:139], v[148:149]
	buffer_load_dword v148, off, s[36:39], 0 offset:556 ; 4-byte Folded Reload
	buffer_load_dword v149, off, s[36:39], 0 offset:560 ; 4-byte Folded Reload
	ds_bpermute_b32 v138, v144, v96
	ds_bpermute_b32 v139, v144, v97
	s_waitcnt vmcnt(2)
	v_mul_f64 v[128:129], v[254:255], v[128:129]
	v_mul_f64 v[132:133], v[252:253], v[132:133]
	s_mov_b64 s[0:1], 0
	s_waitcnt lgkmcnt(0)
	v_fma_f64 v[136:137], v[136:137], v[138:139], v[140:141]
	ds_bpermute_b32 v138, v144, v96 offset:4
	ds_bpermute_b32 v139, v144, v97 offset:4
	s_waitcnt vmcnt(0)
	v_mul_f64 v[148:149], v[150:151], v[148:149]
	v_mov_b32_e32 v151, v141
	v_mov_b32_e32 v150, v140
	buffer_load_dword v140, off, s[36:39], 0 offset:564 ; 4-byte Folded Reload
	buffer_load_dword v141, off, s[36:39], 0 offset:568 ; 4-byte Folded Reload
	s_waitcnt lgkmcnt(0)
	v_fma_f64 v[136:137], v[148:149], v[138:139], v[136:137]
	ds_bpermute_b32 v138, v144, v96 offset:8
	ds_bpermute_b32 v139, v144, v97 offset:8
	s_waitcnt vmcnt(0)
	v_mul_f64 v[140:141], v[142:143], v[140:141]
	buffer_load_dword v142, off, s[36:39], 0 offset:580 ; 4-byte Folded Reload
	buffer_load_dword v143, off, s[36:39], 0 offset:584 ; 4-byte Folded Reload
	s_waitcnt lgkmcnt(0)
	v_fma_f64 v[136:137], v[140:141], v[138:139], v[136:137]
	buffer_load_dword v140, off, s[36:39], 0 offset:572 ; 4-byte Folded Reload
	buffer_load_dword v141, off, s[36:39], 0 offset:576 ; 4-byte Folded Reload
	ds_bpermute_b32 v138, v144, v96 offset:12
	ds_bpermute_b32 v139, v144, v97 offset:12
	s_waitcnt vmcnt(2)
	v_mul_f64 v[148:149], v[142:143], v[152:153]
	s_waitcnt vmcnt(0)
	v_mul_f64 v[140:141], v[140:141], v[154:155]
	s_waitcnt lgkmcnt(0)
	v_fma_f64 v[136:137], v[148:149], v[138:139], v[136:137]
	ds_bpermute_b32 v138, v144, v96 offset:16
	ds_bpermute_b32 v139, v144, v97 offset:16
	v_mul_f64 v[148:149], v[158:159], v[160:161]
	s_waitcnt lgkmcnt(0)
	v_fma_f64 v[136:137], v[140:141], v[138:139], v[136:137]
	ds_bpermute_b32 v138, v144, v96 offset:20
	ds_bpermute_b32 v139, v144, v97 offset:20
	v_mul_f64 v[140:141], v[156:157], v[162:163]
	s_waitcnt lgkmcnt(0)
	v_fma_f64 v[136:137], v[148:149], v[138:139], v[136:137]
	ds_bpermute_b32 v138, v144, v96 offset:24
	ds_bpermute_b32 v139, v144, v97 offset:24
	v_mul_f64 v[148:149], v[166:167], v[168:169]
	s_waitcnt lgkmcnt(0)
	v_fma_f64 v[136:137], v[140:141], v[138:139], v[136:137]
	ds_bpermute_b32 v138, v144, v96 offset:28
	ds_bpermute_b32 v139, v144, v97 offset:28
	v_mul_f64 v[140:141], v[164:165], v[170:171]
	s_waitcnt lgkmcnt(0)
	v_fma_f64 v[136:137], v[148:149], v[138:139], v[136:137]
	ds_bpermute_b32 v138, v144, v96 offset:32
	ds_bpermute_b32 v139, v144, v97 offset:32
	v_mul_f64 v[148:149], v[174:175], v[176:177]
	s_waitcnt lgkmcnt(0)
	v_fma_f64 v[136:137], v[140:141], v[138:139], v[136:137]
	ds_bpermute_b32 v138, v144, v96 offset:36
	ds_bpermute_b32 v139, v144, v97 offset:36
	v_mul_f64 v[140:141], v[172:173], v[178:179]
	s_waitcnt lgkmcnt(0)
	v_fma_f64 v[136:137], v[148:149], v[138:139], v[136:137]
	ds_bpermute_b32 v138, v144, v96 offset:40
	ds_bpermute_b32 v139, v144, v97 offset:40
	v_mul_f64 v[148:149], v[182:183], v[184:185]
	s_waitcnt lgkmcnt(0)
	v_fma_f64 v[136:137], v[140:141], v[138:139], v[136:137]
	ds_bpermute_b32 v138, v144, v96 offset:44
	ds_bpermute_b32 v139, v144, v97 offset:44
	v_mul_f64 v[140:141], v[180:181], v[186:187]
	s_waitcnt lgkmcnt(0)
	v_fma_f64 v[136:137], v[148:149], v[138:139], v[136:137]
	ds_bpermute_b32 v138, v144, v96 offset:48
	ds_bpermute_b32 v139, v144, v97 offset:48
	v_mul_f64 v[148:149], v[190:191], v[192:193]
	s_waitcnt lgkmcnt(0)
	v_fma_f64 v[136:137], v[140:141], v[138:139], v[136:137]
	ds_bpermute_b32 v138, v144, v96 offset:52
	ds_bpermute_b32 v139, v144, v97 offset:52
	v_mul_f64 v[140:141], v[188:189], v[194:195]
	s_waitcnt lgkmcnt(0)
	v_fma_f64 v[136:137], v[148:149], v[138:139], v[136:137]
	ds_bpermute_b32 v138, v144, v96 offset:56
	ds_bpermute_b32 v139, v144, v97 offset:56
	v_mul_f64 v[148:149], v[198:199], v[200:201]
	s_waitcnt lgkmcnt(0)
	v_fma_f64 v[136:137], v[140:141], v[138:139], v[136:137]
	ds_bpermute_b32 v138, v144, v96 offset:60
	ds_bpermute_b32 v139, v144, v97 offset:60
	v_mul_f64 v[140:141], v[196:197], v[202:203]
	s_waitcnt lgkmcnt(0)
	v_fma_f64 v[136:137], v[148:149], v[138:139], v[136:137]
	ds_bpermute_b32 v138, v144, v96 offset:64
	ds_bpermute_b32 v139, v144, v97 offset:64
	v_mul_f64 v[148:149], v[206:207], v[208:209]
	s_waitcnt lgkmcnt(0)
	v_fma_f64 v[136:137], v[140:141], v[138:139], v[136:137]
	ds_bpermute_b32 v138, v144, v96 offset:68
	ds_bpermute_b32 v139, v144, v97 offset:68
	v_mul_f64 v[140:141], v[204:205], v[210:211]
	s_waitcnt lgkmcnt(0)
	v_fma_f64 v[136:137], v[148:149], v[138:139], v[136:137]
	ds_bpermute_b32 v138, v144, v96 offset:72
	ds_bpermute_b32 v139, v144, v97 offset:72
	v_mul_f64 v[148:149], v[214:215], v[216:217]
	s_waitcnt lgkmcnt(0)
	v_fma_f64 v[136:137], v[140:141], v[138:139], v[136:137]
	ds_bpermute_b32 v138, v144, v96 offset:76
	ds_bpermute_b32 v139, v144, v97 offset:76
	v_mul_f64 v[140:141], v[212:213], v[218:219]
	s_waitcnt lgkmcnt(0)
	v_fma_f64 v[136:137], v[148:149], v[138:139], v[136:137]
	ds_bpermute_b32 v138, v144, v96 offset:80
	ds_bpermute_b32 v139, v144, v97 offset:80
	v_mul_f64 v[148:149], v[222:223], v[224:225]
	s_waitcnt lgkmcnt(0)
	v_fma_f64 v[136:137], v[140:141], v[138:139], v[136:137]
	ds_bpermute_b32 v138, v144, v96 offset:84
	ds_bpermute_b32 v139, v144, v97 offset:84
	v_mul_f64 v[140:141], v[220:221], v[226:227]
	s_waitcnt lgkmcnt(0)
	v_fma_f64 v[136:137], v[148:149], v[138:139], v[136:137]
	ds_bpermute_b32 v138, v144, v96 offset:88
	ds_bpermute_b32 v139, v144, v97 offset:88
	v_mul_f64 v[148:149], v[230:231], v[232:233]
	s_waitcnt lgkmcnt(0)
	v_fma_f64 v[136:137], v[140:141], v[138:139], v[136:137]
	ds_bpermute_b32 v138, v144, v96 offset:92
	ds_bpermute_b32 v139, v144, v97 offset:92
	v_mul_f64 v[140:141], v[228:229], v[234:235]
	s_waitcnt lgkmcnt(0)
	v_fma_f64 v[136:137], v[148:149], v[138:139], v[136:137]
	ds_bpermute_b32 v138, v144, v96 offset:96
	ds_bpermute_b32 v139, v144, v97 offset:96
	v_mul_f64 v[148:149], v[238:239], v[240:241]
	s_waitcnt lgkmcnt(0)
	v_fma_f64 v[136:137], v[140:141], v[138:139], v[136:137]
	ds_bpermute_b32 v138, v144, v96 offset:100
	ds_bpermute_b32 v139, v144, v97 offset:100
	v_mul_f64 v[140:141], v[236:237], v[242:243]
	s_waitcnt lgkmcnt(0)
	v_fma_f64 v[136:137], v[148:149], v[138:139], v[136:137]
	ds_bpermute_b32 v138, v144, v96 offset:104
	ds_bpermute_b32 v139, v144, v97 offset:104
	v_mul_f64 v[148:149], v[246:247], v[248:249]
	s_waitcnt lgkmcnt(0)
	v_fma_f64 v[136:137], v[140:141], v[138:139], v[136:137]
	ds_bpermute_b32 v138, v144, v96 offset:108
	ds_bpermute_b32 v139, v144, v97 offset:108
	v_mul_f64 v[140:141], v[244:245], v[250:251]
	s_waitcnt lgkmcnt(0)
	v_fma_f64 v[136:137], v[148:149], v[138:139], v[136:137]
	ds_bpermute_b32 v138, v144, v96 offset:112
	ds_bpermute_b32 v139, v144, v97 offset:112
	s_waitcnt lgkmcnt(0)
	v_fma_f64 v[136:137], v[140:141], v[138:139], v[136:137]
	ds_bpermute_b32 v138, v144, v96 offset:116
	ds_bpermute_b32 v139, v144, v97 offset:116
	v_mov_b32_e32 v140, v150
	v_mov_b32_e32 v141, v151
	s_waitcnt lgkmcnt(0)
	v_fma_f64 v[128:129], v[128:129], v[138:139], v[136:137]
	ds_bpermute_b32 v136, v144, v96 offset:120
	ds_bpermute_b32 v137, v144, v97 offset:120
	;; [unrolled: 1-line block ×4, first 2 shown]
	s_waitcnt lgkmcnt(2)
	v_fma_f64 v[128:129], v[132:133], v[136:137], v[128:129]
	s_waitcnt lgkmcnt(0)
	v_fma_f64 v[96:97], v[0:1], v[96:97], v[128:129]
.LBB130_219:                            ;   in Loop: Header=BB130_149 Depth=1
	s_and_b64 vcc, exec, s[0:1]
	s_cbranch_vccz .LBB130_225
; %bb.220:                              ;   in Loop: Header=BB130_149 Depth=1
	s_load_dword s0, s[10:11], 0x0
	buffer_load_dword v0, off, s[36:39], 0 offset:588 ; 4-byte Folded Reload
	buffer_load_dword v1, off, s[36:39], 0 offset:592 ; 4-byte Folded Reload
	s_waitcnt lgkmcnt(0)
	s_cmp_lt_u32 s6, s0
	s_cselect_b32 s0, 12, 18
	s_add_u32 s0, s10, s0
	s_addc_u32 s1, s11, 0
	s_waitcnt vmcnt(0)
	global_load_ushort v0, v1, s[0:1]
	buffer_load_dword v96, off, s[36:39], 0 offset:548 ; 4-byte Folded Reload
	buffer_load_dword v97, off, s[36:39], 0 offset:552 ; 4-byte Folded Reload
	s_nop 0
	buffer_load_dword v1, off, s[36:39], 0 offset:32 ; 4-byte Folded Reload
	s_waitcnt vmcnt(0)
	v_mad_u32_u24 v0, v96, v0, v1
	v_and_b32_e32 v0, 63, v0
	v_mov_b32_e32 v96, 0
	v_mov_b32_e32 v97, 0
	v_cmp_gt_u32_e32 vcc, 32, v0
	s_and_saveexec_b64 s[0:1], vcc
	s_cbranch_execz .LBB130_224
; %bb.221:                              ;   in Loop: Header=BB130_149 Depth=1
	v_add_co_u32_e32 v0, vcc, v134, v0
	v_addc_co_u32_e32 v1, vcc, 0, v135, vcc
	v_cmp_gt_i64_e32 vcc, s[12:13], v[0:1]
	v_mov_b32_e32 v96, 0
	v_mov_b32_e32 v97, 0
	s_and_saveexec_b64 s[26:27], vcc
	s_cbranch_execz .LBB130_223
; %bb.222:                              ;   in Loop: Header=BB130_149 Depth=1
	v_lshlrev_b64 v[0:1], 3, v[0:1]
	v_mov_b32_e32 v96, s21
	v_add_co_u32_e32 v0, vcc, s20, v0
	v_addc_co_u32_e32 v1, vcc, v96, v1, vcc
	global_load_dwordx2 v[96:97], v[0:1], off
.LBB130_223:                            ;   in Loop: Header=BB130_149 Depth=1
	s_or_b64 exec, exec, s[26:27]
.LBB130_224:                            ;   in Loop: Header=BB130_149 Depth=1
	s_or_b64 exec, exec, s[0:1]
	buffer_load_dword v0, off, s[36:39], 0 offset:4 ; 4-byte Folded Reload
	buffer_load_dword v1, off, s[36:39], 0 offset:8 ; 4-byte Folded Reload
	;; [unrolled: 1-line block ×4, first 2 shown]
	s_waitcnt vmcnt(3)
	v_add_co_u32_e32 v0, vcc, v0, v130
	s_waitcnt vmcnt(2)
	v_addc_co_u32_e32 v1, vcc, v1, v131, vcc
	s_waitcnt vmcnt(1)
	v_add_co_u32_e32 v128, vcc, v128, v130
	s_waitcnt vmcnt(0)
	v_addc_co_u32_e32 v129, vcc, v129, v131, vcc
	global_load_dwordx2 v[0:1], v[0:1], off
	v_add_co_u32_e32 v132, vcc, v2, v130
	global_load_dwordx2 v[128:129], v[128:129], off
	v_addc_co_u32_e32 v133, vcc, v3, v131, vcc
	v_add_co_u32_e32 v134, vcc, v4, v130
	v_addc_co_u32_e32 v135, vcc, v5, v131, vcc
	v_add_co_u32_e32 v150, vcc, v6, v130
	global_load_dwordx2 v[132:133], v[132:133], off
	v_addc_co_u32_e32 v151, vcc, v7, v131, vcc
	global_load_dwordx2 v[134:135], v[134:135], off
	v_add_co_u32_e32 v152, vcc, v8, v130
	v_addc_co_u32_e32 v153, vcc, v9, v131, vcc
	v_add_co_u32_e32 v154, vcc, v10, v130
	v_addc_co_u32_e32 v155, vcc, v11, v131, vcc
	v_add_co_u32_e32 v156, vcc, v12, v130
	v_addc_co_u32_e32 v157, vcc, v13, v131, vcc
	v_add_co_u32_e32 v158, vcc, v14, v130
	global_load_dwordx2 v[150:151], v[150:151], off
	v_addc_co_u32_e32 v159, vcc, v15, v131, vcc
	global_load_dwordx2 v[152:153], v[152:153], off
	v_add_co_u32_e32 v160, vcc, v16, v130
	v_addc_co_u32_e32 v161, vcc, v17, v131, vcc
	v_add_co_u32_e32 v162, vcc, v18, v130
	;; [unrolled: 10-line block ×9, first 2 shown]
	v_addc_co_u32_e32 v219, vcc, v75, v131, vcc
	v_add_co_u32_e32 v220, vcc, v76, v130
	v_addc_co_u32_e32 v221, vcc, v77, v131, vcc
	v_add_co_u32_e32 v222, vcc, v78, v130
	global_load_dwordx2 v[182:183], v[182:183], off
	v_addc_co_u32_e32 v223, vcc, v79, v131, vcc
	global_load_dwordx2 v[184:185], v[184:185], off
	s_waitcnt vmcnt(20)
	v_mul_f64 v[0:1], v[0:1], v[128:129]
	v_add_co_u32_e32 v224, vcc, v80, v130
	v_addc_co_u32_e32 v225, vcc, v81, v131, vcc
	global_load_dwordx2 v[128:129], v[224:225], off
	ds_bpermute_b32 v224, v144, v96
	ds_bpermute_b32 v225, v144, v97
	global_load_dwordx2 v[186:187], v[186:187], off
	s_waitcnt vmcnt(20)
	v_mul_f64 v[132:133], v[132:133], v[134:135]
	global_load_dwordx2 v[188:189], v[188:189], off
	v_add_co_u32_e32 v226, vcc, v82, v130
	s_waitcnt lgkmcnt(0)
	v_fma_f64 v[0:1], v[0:1], v[224:225], v[140:141]
	ds_bpermute_b32 v224, v144, v96 offset:4
	ds_bpermute_b32 v225, v144, v97 offset:4
	global_load_dwordx2 v[190:191], v[190:191], off
	v_addc_co_u32_e32 v227, vcc, v83, v131, vcc
	global_load_dwordx2 v[192:193], v[192:193], off
	s_waitcnt lgkmcnt(0)
	v_fma_f64 v[0:1], v[132:133], v[224:225], v[0:1]
	s_waitcnt vmcnt(21)
	v_mul_f64 v[132:133], v[150:151], v[152:153]
	ds_bpermute_b32 v152, v144, v96 offset:8
	ds_bpermute_b32 v153, v144, v97 offset:8
	global_load_dwordx2 v[194:195], v[194:195], off
	s_waitcnt lgkmcnt(0)
	v_fma_f64 v[0:1], v[132:133], v[152:153], v[0:1]
	global_load_dwordx2 v[196:197], v[196:197], off
	s_waitcnt vmcnt(21)
	v_mul_f64 v[132:133], v[154:155], v[156:157]
	ds_bpermute_b32 v154, v144, v96 offset:12
	ds_bpermute_b32 v155, v144, v97 offset:12
	global_load_dwordx2 v[134:135], v[226:227], off
	v_add_co_u32_e32 v226, vcc, v84, v130
	v_addc_co_u32_e32 v227, vcc, v85, v131, vcc
	v_add_co_u32_e32 v224, vcc, v86, v130
	global_load_dwordx2 v[198:199], v[198:199], off
	v_addc_co_u32_e32 v225, vcc, v87, v131, vcc
	global_load_dwordx2 v[200:201], v[200:201], off
	s_waitcnt lgkmcnt(0)
	v_fma_f64 v[0:1], v[132:133], v[154:155], v[0:1]
	s_waitcnt vmcnt(22)
	v_mul_f64 v[132:133], v[158:159], v[160:161]
	v_add_co_u32_e32 v156, vcc, v88, v130
	v_addc_co_u32_e32 v157, vcc, v89, v131, vcc
	global_load_dwordx2 v[154:155], v[156:157], off
	ds_bpermute_b32 v156, v144, v96 offset:16
	ds_bpermute_b32 v157, v144, v97 offset:16
	global_load_dwordx2 v[202:203], v[202:203], off
	v_add_co_u32_e32 v158, vcc, v90, v130
	global_load_dwordx2 v[204:205], v[204:205], off
	s_waitcnt lgkmcnt(0)
	v_fma_f64 v[0:1], v[132:133], v[156:157], v[0:1]
	s_waitcnt vmcnt(23)
	v_mul_f64 v[132:133], v[162:163], v[164:165]
	v_addc_co_u32_e32 v159, vcc, v91, v131, vcc
	global_load_dwordx2 v[156:157], v[158:159], off
	ds_bpermute_b32 v158, v144, v96 offset:20
	ds_bpermute_b32 v159, v144, v97 offset:20
	global_load_dwordx2 v[206:207], v[206:207], off
	v_add_co_u32_e32 v160, vcc, v92, v130
	global_load_dwordx2 v[208:209], v[208:209], off
	s_waitcnt lgkmcnt(0)
	v_fma_f64 v[0:1], v[132:133], v[158:159], v[0:1]
	s_waitcnt vmcnt(24)
	v_mul_f64 v[132:133], v[166:167], v[168:169]
	;; [unrolled: 11-line block ×5, first 2 shown]
	v_addc_co_u32_e32 v167, vcc, v101, v131, vcc
	global_load_dwordx2 v[164:165], v[166:167], off
	ds_bpermute_b32 v166, v144, v96 offset:36
	ds_bpermute_b32 v167, v144, v97 offset:36
	global_load_dwordx2 v[222:223], v[222:223], off
	v_add_co_u32_e32 v168, vcc, v102, v130
	v_addc_co_u32_e32 v169, vcc, v103, v131, vcc
	s_waitcnt lgkmcnt(0)
	v_fma_f64 v[0:1], v[132:133], v[166:167], v[0:1]
	s_waitcnt vmcnt(27)
	v_mul_f64 v[132:133], v[182:183], v[184:185]
	global_load_dwordx2 v[166:167], v[168:169], off
	ds_bpermute_b32 v168, v144, v96 offset:40
	ds_bpermute_b32 v169, v144, v97 offset:40
	global_load_dwordx2 v[150:151], v[226:227], off
	v_add_co_u32_e32 v170, vcc, v104, v130
	v_addc_co_u32_e32 v171, vcc, v105, v131, vcc
	s_waitcnt lgkmcnt(0)
	v_fma_f64 v[0:1], v[132:133], v[168:169], v[0:1]
	s_waitcnt vmcnt(26)
	v_mul_f64 v[132:133], v[186:187], v[188:189]
	global_load_dwordx2 v[168:169], v[170:171], off
	ds_bpermute_b32 v170, v144, v96 offset:44
	ds_bpermute_b32 v171, v144, v97 offset:44
	v_add_co_u32_e32 v172, vcc, v106, v130
	v_addc_co_u32_e32 v173, vcc, v107, v131, vcc
	s_waitcnt lgkmcnt(0)
	v_fma_f64 v[0:1], v[132:133], v[170:171], v[0:1]
	s_waitcnt vmcnt(25)
	v_mul_f64 v[132:133], v[190:191], v[192:193]
	global_load_dwordx2 v[170:171], v[172:173], off
	ds_bpermute_b32 v172, v144, v96 offset:48
	ds_bpermute_b32 v173, v144, v97 offset:48
	global_load_dwordx2 v[152:153], v[224:225], off
	v_add_co_u32_e32 v174, vcc, v108, v130
	v_addc_co_u32_e32 v175, vcc, v109, v131, vcc
	s_waitcnt lgkmcnt(0)
	v_fma_f64 v[0:1], v[132:133], v[172:173], v[0:1]
	s_waitcnt vmcnt(25)
	v_mul_f64 v[132:133], v[194:195], v[196:197]
	global_load_dwordx2 v[172:173], v[174:175], off
	ds_bpermute_b32 v174, v144, v96 offset:52
	ds_bpermute_b32 v175, v144, v97 offset:52
	v_add_co_u32_e32 v176, vcc, v110, v130
	v_addc_co_u32_e32 v177, vcc, v111, v131, vcc
	s_waitcnt lgkmcnt(0)
	v_fma_f64 v[0:1], v[132:133], v[174:175], v[0:1]
	s_waitcnt vmcnt(23)
	v_mul_f64 v[132:133], v[198:199], v[200:201]
	global_load_dwordx2 v[174:175], v[176:177], off
	ds_bpermute_b32 v176, v144, v96 offset:56
	ds_bpermute_b32 v177, v144, v97 offset:56
	;; [unrolled: 9-line block ×7, first 2 shown]
	s_waitcnt vmcnt(12)
	v_mul_f64 v[128:129], v[222:223], v[128:129]
	v_add_co_u32_e32 v188, vcc, v122, v130
	v_addc_co_u32_e32 v189, vcc, v123, v131, vcc
	s_waitcnt lgkmcnt(0)
	v_fma_f64 v[0:1], v[132:133], v[186:187], v[0:1]
	ds_bpermute_b32 v186, v144, v96 offset:80
	ds_bpermute_b32 v187, v144, v97 offset:80
	global_load_dwordx2 v[132:133], v[188:189], off
	v_add_co_u32_e32 v188, vcc, v124, v130
	v_addc_co_u32_e32 v189, vcc, v125, v131, vcc
	s_waitcnt lgkmcnt(0)
	v_fma_f64 v[0:1], v[128:129], v[186:187], v[0:1]
	s_waitcnt vmcnt(11)
	v_mul_f64 v[128:129], v[134:135], v[150:151]
	ds_bpermute_b32 v150, v144, v96 offset:84
	ds_bpermute_b32 v151, v144, v97 offset:84
	v_add_co_u32_e32 v186, vcc, v126, v130
	v_addc_co_u32_e32 v187, vcc, v127, v131, vcc
	global_load_dwordx2 v[134:135], v[188:189], off
	s_waitcnt lgkmcnt(0)
	v_fma_f64 v[0:1], v[128:129], v[150:151], v[0:1]
	global_load_dwordx2 v[150:151], v[186:187], off
	s_waitcnt vmcnt(10)
	v_mul_f64 v[128:129], v[152:153], v[154:155]
	ds_bpermute_b32 v152, v144, v96 offset:88
	ds_bpermute_b32 v153, v144, v97 offset:88
	s_waitcnt lgkmcnt(0)
	v_fma_f64 v[0:1], v[128:129], v[152:153], v[0:1]
	v_mul_f64 v[128:129], v[156:157], v[158:159]
	ds_bpermute_b32 v152, v144, v96 offset:92
	ds_bpermute_b32 v153, v144, v97 offset:92
	s_waitcnt lgkmcnt(0)
	v_fma_f64 v[0:1], v[128:129], v[152:153], v[0:1]
	v_mul_f64 v[128:129], v[160:161], v[162:163]
	ds_bpermute_b32 v152, v144, v96 offset:96
	ds_bpermute_b32 v153, v144, v97 offset:96
	s_waitcnt lgkmcnt(0)
	v_fma_f64 v[0:1], v[128:129], v[152:153], v[0:1]
	v_mul_f64 v[128:129], v[164:165], v[166:167]
	ds_bpermute_b32 v152, v144, v96 offset:100
	ds_bpermute_b32 v153, v144, v97 offset:100
	s_waitcnt lgkmcnt(0)
	v_fma_f64 v[0:1], v[128:129], v[152:153], v[0:1]
	v_mul_f64 v[128:129], v[168:169], v[170:171]
	ds_bpermute_b32 v152, v144, v96 offset:104
	ds_bpermute_b32 v153, v144, v97 offset:104
	s_waitcnt lgkmcnt(0)
	v_fma_f64 v[0:1], v[128:129], v[152:153], v[0:1]
	s_waitcnt vmcnt(8)
	v_mul_f64 v[128:129], v[172:173], v[174:175]
	ds_bpermute_b32 v152, v144, v96 offset:108
	ds_bpermute_b32 v153, v144, v97 offset:108
	s_waitcnt lgkmcnt(0)
	v_fma_f64 v[0:1], v[128:129], v[152:153], v[0:1]
	s_waitcnt vmcnt(6)
	v_mul_f64 v[128:129], v[176:177], v[178:179]
	ds_bpermute_b32 v152, v144, v96 offset:112
	ds_bpermute_b32 v153, v144, v97 offset:112
	s_waitcnt lgkmcnt(0)
	v_fma_f64 v[0:1], v[128:129], v[152:153], v[0:1]
	;; [unrolled: 6-line block ×3, first 2 shown]
	s_waitcnt vmcnt(2)
	v_mul_f64 v[128:129], v[184:185], v[132:133]
	ds_bpermute_b32 v132, v144, v96 offset:120
	ds_bpermute_b32 v133, v144, v97 offset:120
	;; [unrolled: 1-line block ×4, first 2 shown]
	s_waitcnt lgkmcnt(2)
	v_fma_f64 v[0:1], v[128:129], v[132:133], v[0:1]
	s_waitcnt vmcnt(0)
	v_mul_f64 v[128:129], v[134:135], v[150:151]
	s_waitcnt lgkmcnt(0)
	v_fma_f64 v[96:97], v[128:129], v[96:97], v[0:1]
.LBB130_225:                            ;   in Loop: Header=BB130_149 Depth=1
	buffer_load_dword v0, off, s[36:39], 0 offset:4 ; 4-byte Folded Reload
	buffer_load_dword v1, off, s[36:39], 0 offset:8 ; 4-byte Folded Reload
	s_add_u32 s24, s24, s7
	s_addc_u32 s25, s25, 0
	s_add_u32 s18, s18, s7
	s_addc_u32 s19, 0, s19
	s_waitcnt vmcnt(1)
	v_add_co_u32_e32 v0, vcc, s16, v0
	buffer_store_dword v0, off, s[36:39], 0 offset:4 ; 4-byte Folded Spill
	v_mov_b32_e32 v0, s17
	s_waitcnt vmcnt(1)
	v_addc_co_u32_e32 v1, vcc, v1, v0, vcc
	buffer_store_dword v1, off, s[36:39], 0 offset:8 ; 4-byte Folded Spill
	buffer_load_dword v1, off, s[36:39], 0 offset:16 ; 4-byte Folded Reload
	s_waitcnt vmcnt(0)
	v_add_co_u32_e32 v1, vcc, s16, v1
	buffer_store_dword v1, off, s[36:39], 0 offset:16 ; 4-byte Folded Spill
	buffer_load_dword v1, off, s[36:39], 0 offset:24 ; 4-byte Folded Reload
	s_waitcnt vmcnt(0)
	v_addc_co_u32_e32 v1, vcc, v1, v0, vcc
	buffer_store_dword v1, off, s[36:39], 0 offset:24 ; 4-byte Folded Spill
	buffer_load_dword v1, off, s[36:39], 0  ; 4-byte Folded Reload
	s_waitcnt vmcnt(0)
	v_add_co_u32_e32 v1, vcc, s7, v1
	v_addc_co_u32_e32 v145, vcc, 0, v145, vcc
	v_add_co_u32_e32 v2, vcc, s16, v2
	v_addc_co_u32_e32 v3, vcc, v3, v0, vcc
	;; [unrolled: 2-line block ×23, first 2 shown]
	buffer_store_dword v1, off, s[36:39], 0 ; 4-byte Folded Spill
	v_add_co_u32_e32 v90, vcc, s16, v90
	buffer_load_dword v1, off, s[36:39], 0 offset:36 ; 4-byte Folded Reload
	v_addc_co_u32_e32 v91, vcc, v91, v0, vcc
	v_add_co_u32_e32 v94, vcc, s16, v94
	v_addc_co_u32_e32 v95, vcc, v95, v0, vcc
	v_add_co_u32_e32 v100, vcc, s16, v100
	;; [unrolled: 2-line block ×39, first 2 shown]
	v_addc_co_u32_e32 v127, vcc, v127, v0, vcc
	s_waitcnt vmcnt(0)
	v_add_co_u32_e32 v1, vcc, s16, v1
	buffer_store_dword v1, off, s[36:39], 0 offset:36 ; 4-byte Folded Spill
	buffer_load_dword v1, off, s[36:39], 0 offset:44 ; 4-byte Folded Reload
	s_waitcnt vmcnt(0)
	v_addc_co_u32_e32 v1, vcc, v1, v0, vcc
	buffer_store_dword v1, off, s[36:39], 0 offset:44 ; 4-byte Folded Spill
	buffer_load_dword v1, off, s[36:39], 0 offset:52 ; 4-byte Folded Reload
	s_waitcnt vmcnt(0)
	v_add_co_u32_e32 v1, vcc, s16, v1
	buffer_store_dword v1, off, s[36:39], 0 offset:52 ; 4-byte Folded Spill
	buffer_load_dword v1, off, s[36:39], 0 offset:60 ; 4-byte Folded Reload
	s_waitcnt vmcnt(0)
	v_addc_co_u32_e32 v1, vcc, v1, v0, vcc
	buffer_store_dword v1, off, s[36:39], 0 offset:60 ; 4-byte Folded Spill
	buffer_load_dword v1, off, s[36:39], 0 offset:68 ; 4-byte Folded Reload
	;; [unrolled: 8-line block ×60, first 2 shown]
	s_waitcnt vmcnt(0)
	v_add_co_u32_e32 v1, vcc, s16, v1
	buffer_store_dword v1, off, s[36:39], 0 offset:540 ; 4-byte Folded Spill
	buffer_load_dword v1, off, s[36:39], 0 offset:544 ; 4-byte Folded Reload
	s_waitcnt vmcnt(0)
	v_addc_co_u32_e32 v1, vcc, v1, v0, vcc
	v_add_co_u32_e32 v146, vcc, s16, v146
	buffer_store_dword v1, off, s[36:39], 0 offset:544 ; 4-byte Folded Spill
	v_addc_co_u32_e32 v147, vcc, v147, v0, vcc
	v_mov_b32_e32 v0, s12
	v_mov_b32_e32 v1, s13
	v_cmp_ge_i64_e32 vcc, s[24:25], v[0:1]
	s_cbranch_vccnz .LBB130_227
; %bb.226:                              ;   in Loop: Header=BB130_149 Depth=1
	v_mov_b32_e32 v141, v97
	v_mov_b32_e32 v140, v96
	s_branch .LBB130_149
.LBB130_227:
	buffer_load_dword v0, off, s[36:39], 0 offset:32 ; 4-byte Folded Reload
	s_mov_b32 s7, 0
	s_lshl_b64 s[0:1], s[6:7], 5
	v_mov_b32_e32 v1, s1
	s_waitcnt lgkmcnt(0)
	s_cmp_lg_u64 s[2:3], 0
	s_waitcnt vmcnt(0)
	v_or_b32_e32 v0, s0, v0
	v_cmp_gt_i64_e32 vcc, s[14:15], v[0:1]
	s_cselect_b64 s[0:1], -1, 0
	s_and_b64 s[0:1], vcc, s[0:1]
	s_and_saveexec_b64 s[6:7], s[0:1]
	s_cbranch_execz .LBB130_229
; %bb.228:
	s_load_dword s0, s[4:5], 0x4c
	buffer_load_dword v2, off, s[36:39], 0 offset:548 ; 4-byte Folded Reload
	buffer_load_dword v3, off, s[36:39], 0 offset:552 ; 4-byte Folded Reload
	v_mov_b32_e32 v4, 0
	v_mov_b32_e32 v6, s3
	v_lshlrev_b64 v[0:1], 3, v[0:1]
	s_waitcnt lgkmcnt(0)
	s_lshr_b32 s0, s0, 16
	s_waitcnt vmcnt(0)
	v_mov_b32_e32 v3, v2
	v_mov_b32_e32 v2, s8
	v_mad_u64_u32 v[2:3], s[0:1], s0, v2, v[3:4]
	v_mul_lo_u32 v4, v3, s14
	v_mul_lo_u32 v5, v2, s15
	v_mad_u64_u32 v[2:3], s[0:1], v2, s14, 0
	v_add3_u32 v3, v3, v5, v4
	v_lshlrev_b64 v[2:3], 3, v[2:3]
	v_add_co_u32_e32 v2, vcc, s2, v2
	v_addc_co_u32_e32 v3, vcc, v6, v3, vcc
	v_add_co_u32_e32 v0, vcc, v2, v0
	v_addc_co_u32_e32 v1, vcc, v3, v1, vcc
	global_store_dwordx2 v[0:1], v[96:97], off
.LBB130_229:
	s_endpgm
	.section	.rodata,"a",@progbits
	.p2align	6, 0x0
	.amdhsa_kernel _ZN2at6native12_GLOBAL__N_135GammaBetaBackwardCUDAKernelTemplateIddLj32ELj1ELj32ELb1ELb0ELb1EEEvllPKT_S5_PKT0_S8_PS3_S9_
		.amdhsa_group_segment_fixed_size 0
		.amdhsa_private_segment_fixed_size 600
		.amdhsa_kernarg_size 320
		.amdhsa_user_sgpr_count 6
		.amdhsa_user_sgpr_private_segment_buffer 1
		.amdhsa_user_sgpr_dispatch_ptr 0
		.amdhsa_user_sgpr_queue_ptr 0
		.amdhsa_user_sgpr_kernarg_segment_ptr 1
		.amdhsa_user_sgpr_dispatch_id 0
		.amdhsa_user_sgpr_flat_scratch_init 0
		.amdhsa_user_sgpr_private_segment_size 0
		.amdhsa_uses_dynamic_stack 0
		.amdhsa_system_sgpr_private_segment_wavefront_offset 1
		.amdhsa_system_sgpr_workgroup_id_x 1
		.amdhsa_system_sgpr_workgroup_id_y 1
		.amdhsa_system_sgpr_workgroup_id_z 0
		.amdhsa_system_sgpr_workgroup_info 0
		.amdhsa_system_vgpr_workitem_id 1
		.amdhsa_next_free_vgpr 256
		.amdhsa_next_free_sgpr 40
		.amdhsa_reserve_vcc 1
		.amdhsa_reserve_flat_scratch 0
		.amdhsa_float_round_mode_32 0
		.amdhsa_float_round_mode_16_64 0
		.amdhsa_float_denorm_mode_32 3
		.amdhsa_float_denorm_mode_16_64 3
		.amdhsa_dx10_clamp 1
		.amdhsa_ieee_mode 1
		.amdhsa_fp16_overflow 0
		.amdhsa_exception_fp_ieee_invalid_op 0
		.amdhsa_exception_fp_denorm_src 0
		.amdhsa_exception_fp_ieee_div_zero 0
		.amdhsa_exception_fp_ieee_overflow 0
		.amdhsa_exception_fp_ieee_underflow 0
		.amdhsa_exception_fp_ieee_inexact 0
		.amdhsa_exception_int_div_zero 0
	.end_amdhsa_kernel
	.section	.text._ZN2at6native12_GLOBAL__N_135GammaBetaBackwardCUDAKernelTemplateIddLj32ELj1ELj32ELb1ELb0ELb1EEEvllPKT_S5_PKT0_S8_PS3_S9_,"axG",@progbits,_ZN2at6native12_GLOBAL__N_135GammaBetaBackwardCUDAKernelTemplateIddLj32ELj1ELj32ELb1ELb0ELb1EEEvllPKT_S5_PKT0_S8_PS3_S9_,comdat
.Lfunc_end130:
	.size	_ZN2at6native12_GLOBAL__N_135GammaBetaBackwardCUDAKernelTemplateIddLj32ELj1ELj32ELb1ELb0ELb1EEEvllPKT_S5_PKT0_S8_PS3_S9_, .Lfunc_end130-_ZN2at6native12_GLOBAL__N_135GammaBetaBackwardCUDAKernelTemplateIddLj32ELj1ELj32ELb1ELb0ELb1EEEvllPKT_S5_PKT0_S8_PS3_S9_
                                        ; -- End function
	.set _ZN2at6native12_GLOBAL__N_135GammaBetaBackwardCUDAKernelTemplateIddLj32ELj1ELj32ELb1ELb0ELb1EEEvllPKT_S5_PKT0_S8_PS3_S9_.num_vgpr, 256
	.set _ZN2at6native12_GLOBAL__N_135GammaBetaBackwardCUDAKernelTemplateIddLj32ELj1ELj32ELb1ELb0ELb1EEEvllPKT_S5_PKT0_S8_PS3_S9_.num_agpr, 0
	.set _ZN2at6native12_GLOBAL__N_135GammaBetaBackwardCUDAKernelTemplateIddLj32ELj1ELj32ELb1ELb0ELb1EEEvllPKT_S5_PKT0_S8_PS3_S9_.numbered_sgpr, 40
	.set _ZN2at6native12_GLOBAL__N_135GammaBetaBackwardCUDAKernelTemplateIddLj32ELj1ELj32ELb1ELb0ELb1EEEvllPKT_S5_PKT0_S8_PS3_S9_.num_named_barrier, 0
	.set _ZN2at6native12_GLOBAL__N_135GammaBetaBackwardCUDAKernelTemplateIddLj32ELj1ELj32ELb1ELb0ELb1EEEvllPKT_S5_PKT0_S8_PS3_S9_.private_seg_size, 600
	.set _ZN2at6native12_GLOBAL__N_135GammaBetaBackwardCUDAKernelTemplateIddLj32ELj1ELj32ELb1ELb0ELb1EEEvllPKT_S5_PKT0_S8_PS3_S9_.uses_vcc, 1
	.set _ZN2at6native12_GLOBAL__N_135GammaBetaBackwardCUDAKernelTemplateIddLj32ELj1ELj32ELb1ELb0ELb1EEEvllPKT_S5_PKT0_S8_PS3_S9_.uses_flat_scratch, 0
	.set _ZN2at6native12_GLOBAL__N_135GammaBetaBackwardCUDAKernelTemplateIddLj32ELj1ELj32ELb1ELb0ELb1EEEvllPKT_S5_PKT0_S8_PS3_S9_.has_dyn_sized_stack, 0
	.set _ZN2at6native12_GLOBAL__N_135GammaBetaBackwardCUDAKernelTemplateIddLj32ELj1ELj32ELb1ELb0ELb1EEEvllPKT_S5_PKT0_S8_PS3_S9_.has_recursion, 0
	.set _ZN2at6native12_GLOBAL__N_135GammaBetaBackwardCUDAKernelTemplateIddLj32ELj1ELj32ELb1ELb0ELb1EEEvllPKT_S5_PKT0_S8_PS3_S9_.has_indirect_call, 0
	.section	.AMDGPU.csdata,"",@progbits
; Kernel info:
; codeLenInByte = 28316
; TotalNumSgprs: 44
; NumVgprs: 256
; ScratchSize: 600
; MemoryBound: 1
; FloatMode: 240
; IeeeMode: 1
; LDSByteSize: 0 bytes/workgroup (compile time only)
; SGPRBlocks: 5
; VGPRBlocks: 63
; NumSGPRsForWavesPerEU: 44
; NumVGPRsForWavesPerEU: 256
; Occupancy: 1
; WaveLimiterHint : 0
; COMPUTE_PGM_RSRC2:SCRATCH_EN: 1
; COMPUTE_PGM_RSRC2:USER_SGPR: 6
; COMPUTE_PGM_RSRC2:TRAP_HANDLER: 0
; COMPUTE_PGM_RSRC2:TGID_X_EN: 1
; COMPUTE_PGM_RSRC2:TGID_Y_EN: 1
; COMPUTE_PGM_RSRC2:TGID_Z_EN: 0
; COMPUTE_PGM_RSRC2:TIDIG_COMP_CNT: 1
	.section	.text._ZN2at6native12_GLOBAL__N_135GammaBetaBackwardCUDAKernelTemplateIddLj32ELj1ELj8ELb1ELb1ELb1EEEvllPKT_S5_PKT0_S8_PS3_S9_,"axG",@progbits,_ZN2at6native12_GLOBAL__N_135GammaBetaBackwardCUDAKernelTemplateIddLj32ELj1ELj8ELb1ELb1ELb1EEEvllPKT_S5_PKT0_S8_PS3_S9_,comdat
	.globl	_ZN2at6native12_GLOBAL__N_135GammaBetaBackwardCUDAKernelTemplateIddLj32ELj1ELj8ELb1ELb1ELb1EEEvllPKT_S5_PKT0_S8_PS3_S9_ ; -- Begin function _ZN2at6native12_GLOBAL__N_135GammaBetaBackwardCUDAKernelTemplateIddLj32ELj1ELj8ELb1ELb1ELb1EEEvllPKT_S5_PKT0_S8_PS3_S9_
	.p2align	8
	.type	_ZN2at6native12_GLOBAL__N_135GammaBetaBackwardCUDAKernelTemplateIddLj32ELj1ELj8ELb1ELb1ELb1EEEvllPKT_S5_PKT0_S8_PS3_S9_,@function
_ZN2at6native12_GLOBAL__N_135GammaBetaBackwardCUDAKernelTemplateIddLj32ELj1ELj8ELb1ELb1ELb1EEEvllPKT_S5_PKT0_S8_PS3_S9_: ; @_ZN2at6native12_GLOBAL__N_135GammaBetaBackwardCUDAKernelTemplateIddLj32ELj1ELj8ELb1ELb1ELb1EEEvllPKT_S5_PKT0_S8_PS3_S9_
; %bb.0:
	s_load_dwordx4 s[8:11], s[4:5], 0x0
	s_load_dwordx2 s[16:17], s[4:5], 0x30
	s_lshl_b32 s18, s7, 3
	s_mov_b32 s19, 0
	v_mov_b32_e32 v2, s18
	v_mov_b32_e32 v3, s19
	s_waitcnt lgkmcnt(0)
	v_cmp_le_i64_e32 vcc, s[8:9], v[2:3]
	v_mov_b32_e32 v8, 0
	v_mov_b32_e32 v9, 0
	s_cbranch_vccnz .LBB131_7
; %bb.1:
	s_load_dword s0, s[4:5], 0x4c
	s_load_dword s22, s[4:5], 0x44
	s_load_dwordx4 s[12:15], s[4:5], 0x10
	s_load_dwordx2 s[2:3], s[4:5], 0x28
	v_lshlrev_b32_e32 v2, 3, v1
	s_waitcnt lgkmcnt(0)
	s_and_b32 s0, s0, 0xffff
	v_mad_u32_u24 v3, v1, s0, v0
	v_and_b32_e32 v3, 63, v3
	v_mbcnt_lo_u32_b32 v4, -1, 0
	v_add_co_u32_e32 v8, vcc, s18, v2
	v_mbcnt_hi_u32_b32 v4, -1, v4
	v_addc_co_u32_e64 v9, s[20:21], 0, 0, vcc
	v_add_co_u32_e32 v2, vcc, v8, v3
	v_cmp_gt_u32_e64 s[0:1], 8, v3
	v_lshlrev_b32_e32 v4, 2, v4
	v_addc_co_u32_e32 v3, vcc, 0, v9, vcc
	v_and_b32_e32 v10, 0x100, v4
	v_lshlrev_b64 v[4:5], 3, v[2:3]
	v_mov_b32_e32 v14, s3
	v_add_co_u32_e32 v4, vcc, s2, v4
	v_mul_lo_u32 v17, s11, v8
	v_mul_lo_u32 v18, s10, v9
	v_mad_u64_u32 v[8:9], s[2:3], s10, v8, 0
	v_mov_b32_e32 v7, 0
	v_lshl_or_b32 v6, s6, 5, v0
	v_add3_u32 v9, v9, v18, v17
	v_lshlrev_b64 v[8:9], 3, v[8:9]
	v_lshlrev_b64 v[6:7], 3, v[6:7]
	v_addc_co_u32_e32 v5, vcc, v14, v5, vcc
	s_lshl_b32 s20, s22, 3
	v_add_co_u32_e32 v18, vcc, v8, v6
	s_mul_i32 s2, s11, s20
	s_mul_hi_u32 s3, s10, s20
	s_mov_b32 s21, s19
	v_addc_co_u32_e32 v19, vcc, v9, v7, vcc
	s_add_i32 s3, s3, s2
	s_mul_i32 s2, s10, s20
	v_mov_b32_e32 v8, 0
	v_or_b32_e32 v11, 4, v10
	v_or_b32_e32 v12, 8, v10
	;; [unrolled: 1-line block ×7, first 2 shown]
	s_lshl_b64 s[22:23], s[20:21], 3
	s_lshl_b64 s[24:25], s[2:3], 3
	v_mov_b32_e32 v9, 0
	s_lshl_b64 s[26:27], s[10:11], 3
	s_branch .LBB131_4
.LBB131_2:                              ;   in Loop: Header=BB131_4 Depth=1
	s_or_b64 exec, exec, s[28:29]
.LBB131_3:                              ;   in Loop: Header=BB131_4 Depth=1
	s_or_b64 exec, exec, s[2:3]
	v_mov_b32_e32 v21, s13
	v_add_co_u32_e32 v20, vcc, s12, v18
	v_addc_co_u32_e32 v21, vcc, v21, v19, vcc
	v_mov_b32_e32 v23, s15
	v_add_co_u32_e32 v22, vcc, s14, v18
	v_addc_co_u32_e32 v23, vcc, v23, v19, vcc
	global_load_dwordx2 v[24:25], v[20:21], off
	global_load_dwordx2 v[26:27], v[22:23], off
	v_mov_b32_e32 v28, s27
	v_add_co_u32_e32 v20, vcc, s26, v20
	v_addc_co_u32_e32 v21, vcc, v21, v28, vcc
	v_add_co_u32_e32 v22, vcc, s26, v22
	v_addc_co_u32_e32 v23, vcc, v23, v28, vcc
	s_add_u32 s18, s18, s20
	s_addc_u32 s19, s19, 0
	v_add_co_u32_e64 v18, s[2:3], s24, v18
	s_waitcnt vmcnt(0)
	v_mul_f64 v[24:25], v[24:25], v[26:27]
	ds_bpermute_b32 v26, v10, v6
	ds_bpermute_b32 v27, v10, v7
	s_waitcnt lgkmcnt(0)
	v_fma_f64 v[8:9], v[24:25], v[26:27], v[8:9]
	global_load_dwordx2 v[24:25], v[20:21], off
	global_load_dwordx2 v[26:27], v[22:23], off
	v_add_co_u32_e32 v20, vcc, s26, v20
	v_addc_co_u32_e32 v21, vcc, v21, v28, vcc
	v_add_co_u32_e32 v22, vcc, s26, v22
	v_addc_co_u32_e32 v23, vcc, v23, v28, vcc
	s_waitcnt vmcnt(0)
	v_mul_f64 v[24:25], v[24:25], v[26:27]
	ds_bpermute_b32 v26, v11, v6
	ds_bpermute_b32 v27, v11, v7
	s_waitcnt lgkmcnt(0)
	v_fma_f64 v[8:9], v[24:25], v[26:27], v[8:9]
	global_load_dwordx2 v[24:25], v[20:21], off
	global_load_dwordx2 v[26:27], v[22:23], off
	v_add_co_u32_e32 v20, vcc, s26, v20
	v_addc_co_u32_e32 v21, vcc, v21, v28, vcc
	v_add_co_u32_e32 v22, vcc, s26, v22
	v_addc_co_u32_e32 v23, vcc, v23, v28, vcc
	;; [unrolled: 12-line block ×5, first 2 shown]
	s_waitcnt vmcnt(0)
	v_mul_f64 v[24:25], v[24:25], v[26:27]
	ds_bpermute_b32 v26, v15, v6
	ds_bpermute_b32 v27, v15, v7
	s_waitcnt lgkmcnt(0)
	v_fma_f64 v[8:9], v[24:25], v[26:27], v[8:9]
	global_load_dwordx2 v[24:25], v[20:21], off
	v_add_co_u32_e32 v20, vcc, s26, v20
	v_addc_co_u32_e32 v21, vcc, v21, v28, vcc
	v_add_co_u32_e32 v26, vcc, s26, v22
	v_addc_co_u32_e32 v27, vcc, v23, v28, vcc
	global_load_dwordx2 v[28:29], v[22:23], off
	global_load_dwordx2 v[30:31], v[20:21], off
                                        ; kill: killed $vgpr20 killed $vgpr21
                                        ; kill: killed $vgpr22 killed $vgpr23
	s_nop 0
	global_load_dwordx2 v[20:21], v[26:27], off
	ds_bpermute_b32 v22, v16, v6
	ds_bpermute_b32 v23, v16, v7
	;; [unrolled: 1-line block ×4, first 2 shown]
	v_add_co_u32_e32 v2, vcc, s20, v2
	v_addc_co_u32_e32 v3, vcc, 0, v3, vcc
	v_mov_b32_e32 v27, s9
	v_add_co_u32_e32 v4, vcc, s22, v4
	v_mov_b32_e32 v26, s8
	s_waitcnt vmcnt(2)
	v_mul_f64 v[24:25], v[24:25], v[28:29]
	v_mov_b32_e32 v28, s23
	v_addc_co_u32_e32 v5, vcc, v5, v28, vcc
	s_waitcnt vmcnt(0)
	v_mul_f64 v[20:21], v[30:31], v[20:21]
	v_cmp_lt_i64_e32 vcc, s[18:19], v[26:27]
	s_and_b64 vcc, exec, vcc
	s_waitcnt lgkmcnt(2)
	v_fma_f64 v[8:9], v[24:25], v[22:23], v[8:9]
	s_waitcnt lgkmcnt(0)
	v_fma_f64 v[8:9], v[20:21], v[6:7], v[8:9]
	v_mov_b32_e32 v6, s25
	v_addc_co_u32_e64 v19, s[2:3], v19, v6, s[2:3]
	s_cbranch_vccz .LBB131_7
.LBB131_4:                              ; =>This Inner Loop Header: Depth=1
	v_mov_b32_e32 v6, 0
	v_mov_b32_e32 v7, 0
	s_and_saveexec_b64 s[2:3], s[0:1]
	s_cbranch_execz .LBB131_3
; %bb.5:                                ;   in Loop: Header=BB131_4 Depth=1
	v_cmp_gt_i64_e32 vcc, s[8:9], v[2:3]
	v_mov_b32_e32 v6, 0
	v_mov_b32_e32 v7, 0
	s_and_saveexec_b64 s[28:29], vcc
	s_cbranch_execz .LBB131_2
; %bb.6:                                ;   in Loop: Header=BB131_4 Depth=1
	global_load_dwordx2 v[6:7], v[4:5], off
	s_branch .LBB131_2
.LBB131_7:
	s_cmp_eq_u64 s[16:17], 0
	s_cbranch_scc1 .LBB131_9
; %bb.8:
	s_load_dword s0, s[4:5], 0x4c
	v_mov_b32_e32 v2, 0
	v_mov_b32_e32 v3, s7
	s_mov_b32 s7, 0
	v_mov_b32_e32 v5, s17
	s_waitcnt lgkmcnt(0)
	s_lshr_b32 s0, s0, 16
	v_mad_u64_u32 v[1:2], s[0:1], s0, v3, v[1:2]
	v_lshlrev_b32_e32 v0, 3, v0
	v_mul_lo_u32 v3, v2, s10
	v_mul_lo_u32 v4, v1, s11
	v_mad_u64_u32 v[1:2], s[0:1], v1, s10, 0
	s_lshl_b64 s[0:1], s[6:7], 8
	v_add3_u32 v2, v2, v4, v3
	v_lshlrev_b64 v[1:2], 3, v[1:2]
	v_mov_b32_e32 v3, s1
	v_add_co_u32_e32 v1, vcc, s16, v1
	v_addc_co_u32_e32 v2, vcc, v5, v2, vcc
	v_add_co_u32_e32 v1, vcc, s0, v1
	v_addc_co_u32_e32 v2, vcc, v2, v3, vcc
	v_add_co_u32_e32 v0, vcc, v1, v0
	v_addc_co_u32_e32 v1, vcc, 0, v2, vcc
	global_store_dwordx2 v[0:1], v[8:9], off
.LBB131_9:
	s_endpgm
	.section	.rodata,"a",@progbits
	.p2align	6, 0x0
	.amdhsa_kernel _ZN2at6native12_GLOBAL__N_135GammaBetaBackwardCUDAKernelTemplateIddLj32ELj1ELj8ELb1ELb1ELb1EEEvllPKT_S5_PKT0_S8_PS3_S9_
		.amdhsa_group_segment_fixed_size 0
		.amdhsa_private_segment_fixed_size 0
		.amdhsa_kernarg_size 320
		.amdhsa_user_sgpr_count 6
		.amdhsa_user_sgpr_private_segment_buffer 1
		.amdhsa_user_sgpr_dispatch_ptr 0
		.amdhsa_user_sgpr_queue_ptr 0
		.amdhsa_user_sgpr_kernarg_segment_ptr 1
		.amdhsa_user_sgpr_dispatch_id 0
		.amdhsa_user_sgpr_flat_scratch_init 0
		.amdhsa_user_sgpr_private_segment_size 0
		.amdhsa_uses_dynamic_stack 0
		.amdhsa_system_sgpr_private_segment_wavefront_offset 0
		.amdhsa_system_sgpr_workgroup_id_x 1
		.amdhsa_system_sgpr_workgroup_id_y 1
		.amdhsa_system_sgpr_workgroup_id_z 0
		.amdhsa_system_sgpr_workgroup_info 0
		.amdhsa_system_vgpr_workitem_id 1
		.amdhsa_next_free_vgpr 32
		.amdhsa_next_free_sgpr 30
		.amdhsa_reserve_vcc 1
		.amdhsa_reserve_flat_scratch 0
		.amdhsa_float_round_mode_32 0
		.amdhsa_float_round_mode_16_64 0
		.amdhsa_float_denorm_mode_32 3
		.amdhsa_float_denorm_mode_16_64 3
		.amdhsa_dx10_clamp 1
		.amdhsa_ieee_mode 1
		.amdhsa_fp16_overflow 0
		.amdhsa_exception_fp_ieee_invalid_op 0
		.amdhsa_exception_fp_denorm_src 0
		.amdhsa_exception_fp_ieee_div_zero 0
		.amdhsa_exception_fp_ieee_overflow 0
		.amdhsa_exception_fp_ieee_underflow 0
		.amdhsa_exception_fp_ieee_inexact 0
		.amdhsa_exception_int_div_zero 0
	.end_amdhsa_kernel
	.section	.text._ZN2at6native12_GLOBAL__N_135GammaBetaBackwardCUDAKernelTemplateIddLj32ELj1ELj8ELb1ELb1ELb1EEEvllPKT_S5_PKT0_S8_PS3_S9_,"axG",@progbits,_ZN2at6native12_GLOBAL__N_135GammaBetaBackwardCUDAKernelTemplateIddLj32ELj1ELj8ELb1ELb1ELb1EEEvllPKT_S5_PKT0_S8_PS3_S9_,comdat
.Lfunc_end131:
	.size	_ZN2at6native12_GLOBAL__N_135GammaBetaBackwardCUDAKernelTemplateIddLj32ELj1ELj8ELb1ELb1ELb1EEEvllPKT_S5_PKT0_S8_PS3_S9_, .Lfunc_end131-_ZN2at6native12_GLOBAL__N_135GammaBetaBackwardCUDAKernelTemplateIddLj32ELj1ELj8ELb1ELb1ELb1EEEvllPKT_S5_PKT0_S8_PS3_S9_
                                        ; -- End function
	.set _ZN2at6native12_GLOBAL__N_135GammaBetaBackwardCUDAKernelTemplateIddLj32ELj1ELj8ELb1ELb1ELb1EEEvllPKT_S5_PKT0_S8_PS3_S9_.num_vgpr, 32
	.set _ZN2at6native12_GLOBAL__N_135GammaBetaBackwardCUDAKernelTemplateIddLj32ELj1ELj8ELb1ELb1ELb1EEEvllPKT_S5_PKT0_S8_PS3_S9_.num_agpr, 0
	.set _ZN2at6native12_GLOBAL__N_135GammaBetaBackwardCUDAKernelTemplateIddLj32ELj1ELj8ELb1ELb1ELb1EEEvllPKT_S5_PKT0_S8_PS3_S9_.numbered_sgpr, 30
	.set _ZN2at6native12_GLOBAL__N_135GammaBetaBackwardCUDAKernelTemplateIddLj32ELj1ELj8ELb1ELb1ELb1EEEvllPKT_S5_PKT0_S8_PS3_S9_.num_named_barrier, 0
	.set _ZN2at6native12_GLOBAL__N_135GammaBetaBackwardCUDAKernelTemplateIddLj32ELj1ELj8ELb1ELb1ELb1EEEvllPKT_S5_PKT0_S8_PS3_S9_.private_seg_size, 0
	.set _ZN2at6native12_GLOBAL__N_135GammaBetaBackwardCUDAKernelTemplateIddLj32ELj1ELj8ELb1ELb1ELb1EEEvllPKT_S5_PKT0_S8_PS3_S9_.uses_vcc, 1
	.set _ZN2at6native12_GLOBAL__N_135GammaBetaBackwardCUDAKernelTemplateIddLj32ELj1ELj8ELb1ELb1ELb1EEEvllPKT_S5_PKT0_S8_PS3_S9_.uses_flat_scratch, 0
	.set _ZN2at6native12_GLOBAL__N_135GammaBetaBackwardCUDAKernelTemplateIddLj32ELj1ELj8ELb1ELb1ELb1EEEvllPKT_S5_PKT0_S8_PS3_S9_.has_dyn_sized_stack, 0
	.set _ZN2at6native12_GLOBAL__N_135GammaBetaBackwardCUDAKernelTemplateIddLj32ELj1ELj8ELb1ELb1ELb1EEEvllPKT_S5_PKT0_S8_PS3_S9_.has_recursion, 0
	.set _ZN2at6native12_GLOBAL__N_135GammaBetaBackwardCUDAKernelTemplateIddLj32ELj1ELj8ELb1ELb1ELb1EEEvllPKT_S5_PKT0_S8_PS3_S9_.has_indirect_call, 0
	.section	.AMDGPU.csdata,"",@progbits
; Kernel info:
; codeLenInByte = 1184
; TotalNumSgprs: 34
; NumVgprs: 32
; ScratchSize: 0
; MemoryBound: 0
; FloatMode: 240
; IeeeMode: 1
; LDSByteSize: 0 bytes/workgroup (compile time only)
; SGPRBlocks: 4
; VGPRBlocks: 7
; NumSGPRsForWavesPerEU: 34
; NumVGPRsForWavesPerEU: 32
; Occupancy: 8
; WaveLimiterHint : 0
; COMPUTE_PGM_RSRC2:SCRATCH_EN: 0
; COMPUTE_PGM_RSRC2:USER_SGPR: 6
; COMPUTE_PGM_RSRC2:TRAP_HANDLER: 0
; COMPUTE_PGM_RSRC2:TGID_X_EN: 1
; COMPUTE_PGM_RSRC2:TGID_Y_EN: 1
; COMPUTE_PGM_RSRC2:TGID_Z_EN: 0
; COMPUTE_PGM_RSRC2:TIDIG_COMP_CNT: 1
	.section	.text._ZN2at6native12_GLOBAL__N_135GammaBetaBackwardCUDAKernelTemplateIddLj32ELj1ELj8ELb1ELb0ELb1EEEvllPKT_S5_PKT0_S8_PS3_S9_,"axG",@progbits,_ZN2at6native12_GLOBAL__N_135GammaBetaBackwardCUDAKernelTemplateIddLj32ELj1ELj8ELb1ELb0ELb1EEEvllPKT_S5_PKT0_S8_PS3_S9_,comdat
	.globl	_ZN2at6native12_GLOBAL__N_135GammaBetaBackwardCUDAKernelTemplateIddLj32ELj1ELj8ELb1ELb0ELb1EEEvllPKT_S5_PKT0_S8_PS3_S9_ ; -- Begin function _ZN2at6native12_GLOBAL__N_135GammaBetaBackwardCUDAKernelTemplateIddLj32ELj1ELj8ELb1ELb0ELb1EEEvllPKT_S5_PKT0_S8_PS3_S9_
	.p2align	8
	.type	_ZN2at6native12_GLOBAL__N_135GammaBetaBackwardCUDAKernelTemplateIddLj32ELj1ELj8ELb1ELb0ELb1EEEvllPKT_S5_PKT0_S8_PS3_S9_,@function
_ZN2at6native12_GLOBAL__N_135GammaBetaBackwardCUDAKernelTemplateIddLj32ELj1ELj8ELb1ELb0ELb1EEEvllPKT_S5_PKT0_S8_PS3_S9_: ; @_ZN2at6native12_GLOBAL__N_135GammaBetaBackwardCUDAKernelTemplateIddLj32ELj1ELj8ELb1ELb0ELb1EEEvllPKT_S5_PKT0_S8_PS3_S9_
; %bb.0:
	s_load_dwordx8 s[12:19], s[4:5], 0x0
	s_load_dwordx2 s[20:21], s[4:5], 0x28
	s_mov_b32 s8, s7
	s_lshl_b32 s7, s6, 5
	s_or_b32 s0, s7, 31
	v_mov_b32_e32 v2, s0
	v_mov_b32_e32 v3, 0
	s_lshl_b32 s22, s8, 3
	s_mov_b32 s23, 0
	s_waitcnt lgkmcnt(0)
	v_cmp_le_i64_e32 vcc, s[14:15], v[2:3]
	v_mov_b32_e32 v2, s22
	v_mov_b32_e32 v3, s23
	v_cmp_gt_i64_e64 s[0:1], s[12:13], v[2:3]
	v_cndmask_b32_e64 v2, 0, 1, s[0:1]
	v_cmp_ne_u32_e64 s[0:1], 1, v2
	s_cbranch_vccz .LBB132_48
; %bb.1:
	v_mov_b32_e32 v19, 0
	v_mov_b32_e32 v20, 0
	s_and_b64 vcc, exec, s[0:1]
	s_cbranch_vccnz .LBB132_49
; %bb.2:
	v_lshlrev_b32_e32 v43, 3, v1
	v_add_co_u32_e32 v9, vcc, s22, v43
	v_addc_co_u32_e64 v10, s[2:3], 0, 0, vcc
	v_mul_lo_u32 v7, s15, v9
	v_mul_lo_u32 v8, s14, v10
	v_mad_u64_u32 v[5:6], s[2:3], s14, v9, 0
	v_mov_b32_e32 v2, 0
	s_load_dword s9, s[4:5], 0x44
	v_add_u32_e32 v3, s7, v0
	v_mov_b32_e32 v4, v2
	v_add3_u32 v6, v6, v8, v7
	v_cmp_gt_i64_e64 s[2:3], s[14:15], v[3:4]
	v_lshlrev_b64 v[21:22], 3, v[3:4]
	v_lshlrev_b64 v[3:4], 3, v[5:6]
	s_add_u32 s24, s4, 64
	v_mov_b32_e32 v7, s17
	v_add_co_u32_e32 v45, vcc, s16, v3
	s_addc_u32 s25, s5, 0
	s_waitcnt lgkmcnt(0)
	s_lshl_b32 s9, s9, 3
	v_addc_co_u32_e32 v46, vcc, v7, v4, vcc
	s_mul_i32 s10, s15, s9
	s_mul_hi_u32 s11, s14, s9
	v_add_co_u32_e32 v7, vcc, 7, v9
	s_add_i32 s11, s11, s10
	s_mul_i32 s10, s14, s9
	v_addc_co_u32_e32 v8, vcc, 0, v10, vcc
	s_lshl_b64 s[26:27], s[10:11], 3
	v_mul_lo_u32 v12, s15, v7
	v_mul_lo_u32 v13, s14, v8
	v_mad_u64_u32 v[7:8], s[10:11], s14, v7, 0
	v_mov_b32_e32 v11, s19
	v_add_co_u32_e32 v47, vcc, s18, v3
	v_add3_u32 v8, v8, v13, v12
	v_addc_co_u32_e32 v48, vcc, v11, v4, vcc
	v_lshlrev_b64 v[3:4], 3, v[7:8]
	v_mov_b32_e32 v7, s17
	v_add_co_u32_e32 v49, vcc, s16, v3
	v_addc_co_u32_e32 v50, vcc, v7, v4, vcc
	v_add_co_u32_e32 v7, vcc, 6, v9
	v_addc_co_u32_e32 v8, vcc, 0, v10, vcc
	v_mul_lo_u32 v12, s15, v7
	v_mul_lo_u32 v13, s14, v8
	v_mad_u64_u32 v[7:8], s[10:11], s14, v7, 0
	v_add_co_u32_e32 v51, vcc, s18, v3
	v_add3_u32 v8, v8, v13, v12
	v_addc_co_u32_e32 v52, vcc, v11, v4, vcc
	v_lshlrev_b64 v[3:4], 3, v[7:8]
	v_mov_b32_e32 v7, s17
	v_add_co_u32_e32 v53, vcc, s16, v3
	v_addc_co_u32_e32 v54, vcc, v7, v4, vcc
	v_add_co_u32_e32 v7, vcc, 5, v9
	v_addc_co_u32_e32 v8, vcc, 0, v10, vcc
	v_mul_lo_u32 v12, s15, v7
	v_mul_lo_u32 v13, s14, v8
	v_mad_u64_u32 v[7:8], s[10:11], s14, v7, 0
	;; [unrolled: 12-line block ×5, first 2 shown]
	v_add_co_u32_e32 v67, vcc, s18, v3
	v_add3_u32 v8, v8, v10, v9
	v_addc_co_u32_e32 v68, vcc, v11, v4, vcc
	v_lshlrev_b64 v[3:4], 3, v[7:8]
	v_mov_b32_e32 v7, s17
	v_add_co_u32_e32 v69, vcc, s16, v3
	v_addc_co_u32_e32 v70, vcc, v7, v4, vcc
	v_mov_b32_e32 v7, s19
	v_add_co_u32_e32 v71, vcc, s18, v3
	v_addc_co_u32_e32 v72, vcc, v7, v4, vcc
	;; [unrolled: 3-line block ×3, first 2 shown]
	v_lshlrev_b64 v[3:4], 3, v[3:4]
	v_mov_b32_e32 v5, s17
	v_add_co_u32_e32 v73, vcc, s16, v3
	v_addc_co_u32_e32 v74, vcc, v5, v4, vcc
	v_add_co_u32_e32 v75, vcc, s18, v3
	v_mbcnt_lo_u32_b32 v3, -1, 0
	v_mbcnt_hi_u32_b32 v3, -1, v3
	v_mov_b32_e32 v5, s19
	v_mov_b32_e32 v19, 0
	v_lshlrev_b32_e32 v3, 2, v3
	v_mov_b32_e32 v44, v2
	s_mov_b64 s[28:29], 7
	v_addc_co_u32_e32 v76, vcc, v5, v4, vcc
	v_mov_b32_e32 v20, 0
	v_and_b32_e32 v77, 0x100, v3
	s_mov_b64 s[30:31], s[22:23]
	s_branch .LBB132_5
.LBB132_3:                              ;   in Loop: Header=BB132_5 Depth=1
	s_or_b64 exec, exec, s[10:11]
	s_waitcnt vmcnt(0)
	v_mul_f64 v[3:4], v[27:28], v[3:4]
	ds_bpermute_b32 v27, v77, v25
	ds_bpermute_b32 v28, v77, v26
	v_mul_f64 v[5:6], v[29:30], v[5:6]
	v_mul_f64 v[7:8], v[23:24], v[7:8]
	;; [unrolled: 1-line block ×3, first 2 shown]
	s_waitcnt lgkmcnt(0)
	v_fma_f64 v[3:4], v[3:4], v[27:28], v[19:20]
	ds_bpermute_b32 v19, v77, v25 offset:4
	ds_bpermute_b32 v20, v77, v26 offset:4
	s_waitcnt lgkmcnt(0)
	v_fma_f64 v[3:4], v[5:6], v[19:20], v[3:4]
	ds_bpermute_b32 v5, v77, v25 offset:8
	ds_bpermute_b32 v6, v77, v26 offset:8
	;; [unrolled: 4-line block ×3, first 2 shown]
	v_mul_f64 v[7:8], v[31:32], v[11:12]
	s_waitcnt lgkmcnt(0)
	v_fma_f64 v[3:4], v[9:10], v[5:6], v[3:4]
	ds_bpermute_b32 v5, v77, v25 offset:16
	ds_bpermute_b32 v6, v77, v26 offset:16
	v_mul_f64 v[9:10], v[39:40], v[13:14]
	s_waitcnt lgkmcnt(0)
	v_fma_f64 v[3:4], v[7:8], v[5:6], v[3:4]
	ds_bpermute_b32 v5, v77, v25 offset:20
	ds_bpermute_b32 v6, v77, v26 offset:20
	;; [unrolled: 1-line block ×4, first 2 shown]
	s_waitcnt lgkmcnt(2)
	v_fma_f64 v[3:4], v[9:10], v[5:6], v[3:4]
	v_mul_f64 v[5:6], v[37:38], v[15:16]
	s_waitcnt lgkmcnt(0)
	v_fma_f64 v[27:28], v[5:6], v[7:8], v[3:4]
	ds_bpermute_b32 v3, v77, v25 offset:28
	ds_bpermute_b32 v4, v77, v26 offset:28
.LBB132_4:                              ;   in Loop: Header=BB132_5 Depth=1
	v_mov_b32_e32 v7, s27
	v_add_co_u32_e32 v45, vcc, s26, v45
	v_addc_co_u32_e32 v46, vcc, v46, v7, vcc
	v_add_co_u32_e32 v47, vcc, s26, v47
	v_addc_co_u32_e32 v48, vcc, v48, v7, vcc
	;; [unrolled: 2-line block ×10, first 2 shown]
	v_add_co_u32_e32 v65, vcc, s26, v65
	v_mul_f64 v[5:6], v[33:34], v[17:18]
	v_addc_co_u32_e32 v66, vcc, v66, v7, vcc
	v_add_co_u32_e32 v67, vcc, s26, v67
	v_addc_co_u32_e32 v68, vcc, v68, v7, vcc
	v_add_co_u32_e32 v69, vcc, s26, v69
	;; [unrolled: 2-line block ×4, first 2 shown]
	s_waitcnt lgkmcnt(0)
	v_fma_f64 v[19:20], v[5:6], v[3:4], v[27:28]
	v_addc_co_u32_e32 v74, vcc, v74, v7, vcc
	v_add_co_u32_e32 v75, vcc, s26, v75
	v_addc_co_u32_e32 v76, vcc, v76, v7, vcc
	s_add_u32 s30, s30, s9
	v_add_co_u32_e32 v43, vcc, s9, v43
	v_mov_b32_e32 v3, s12
	s_addc_u32 s31, s31, 0
	v_addc_co_u32_e32 v44, vcc, 0, v44, vcc
	v_mov_b32_e32 v4, s13
	v_cmp_lt_i64_e32 vcc, s[30:31], v[3:4]
	s_add_u32 s28, s28, s9
	s_addc_u32 s29, 0, s29
	s_cbranch_vccz .LBB132_49
.LBB132_5:                              ; =>This Inner Loop Header: Depth=1
	s_add_u32 s10, s22, s28
	v_mov_b32_e32 v3, s12
	s_addc_u32 s11, 0, s29
	v_mov_b32_e32 v4, s13
	v_cmp_ge_i64_e32 vcc, s[10:11], v[3:4]
	v_add_co_u32_e64 v23, s[10:11], s22, v43
	v_addc_co_u32_e64 v24, s[10:11], 0, v44, s[10:11]
	s_mov_b64 s[10:11], -1
	s_and_b64 vcc, exec, vcc
                                        ; implicit-def: $vgpr3_vgpr4_vgpr5_vgpr6_vgpr7_vgpr8_vgpr9_vgpr10_vgpr11_vgpr12_vgpr13_vgpr14_vgpr15_vgpr16_vgpr17_vgpr18
                                        ; implicit-def: $vgpr27_vgpr28
                                        ; implicit-def: $vgpr33_vgpr34
                                        ; implicit-def: $vgpr3
	s_cbranch_vccz .LBB132_27
; %bb.6:                                ;   in Loop: Header=BB132_5 Depth=1
	s_load_dword s10, s[24:25], 0xc
	v_mov_b32_e32 v27, 0
	v_mov_b32_e32 v25, 0
	;; [unrolled: 1-line block ×4, first 2 shown]
	s_waitcnt lgkmcnt(0)
	s_and_b32 s10, s10, 0xffff
	v_mad_u32_u24 v3, v1, s10, v0
	v_and_b32_e32 v3, 63, v3
	v_cmp_gt_u32_e32 vcc, 8, v3
	s_and_saveexec_b64 s[10:11], vcc
	s_cbranch_execz .LBB132_10
; %bb.7:                                ;   in Loop: Header=BB132_5 Depth=1
	v_add_co_u32_e32 v3, vcc, v23, v3
	v_addc_co_u32_e32 v4, vcc, 0, v24, vcc
	v_cmp_gt_i64_e32 vcc, s[12:13], v[3:4]
	v_mov_b32_e32 v25, 0
	v_mov_b32_e32 v26, 0
	s_and_saveexec_b64 s[34:35], vcc
	s_cbranch_execz .LBB132_9
; %bb.8:                                ;   in Loop: Header=BB132_5 Depth=1
	v_lshlrev_b64 v[3:4], 3, v[3:4]
	v_mov_b32_e32 v5, s21
	v_add_co_u32_e32 v3, vcc, s20, v3
	v_addc_co_u32_e32 v4, vcc, v5, v4, vcc
	global_load_dwordx2 v[25:26], v[3:4], off
.LBB132_9:                              ;   in Loop: Header=BB132_5 Depth=1
	s_or_b64 exec, exec, s[34:35]
.LBB132_10:                             ;   in Loop: Header=BB132_5 Depth=1
	s_or_b64 exec, exec, s[10:11]
	v_cmp_gt_i64_e32 vcc, s[12:13], v[23:24]
	v_mov_b32_e32 v3, v2
	v_mov_b32_e32 v4, v2
	;; [unrolled: 1-line block ×31, first 2 shown]
	s_and_b64 s[34:35], s[2:3], vcc
	s_and_saveexec_b64 s[10:11], s[34:35]
	s_cbranch_execz .LBB132_12
; %bb.11:                               ;   in Loop: Header=BB132_5 Depth=1
	v_add_co_u32_e32 v3, vcc, v45, v21
	v_addc_co_u32_e32 v4, vcc, v46, v22, vcc
	v_add_co_u32_e32 v5, vcc, v47, v21
	v_addc_co_u32_e32 v6, vcc, v48, v22, vcc
	global_load_dwordx2 v[3:4], v[3:4], off
	v_mov_b32_e32 v7, v2
	global_load_dwordx2 v[27:28], v[5:6], off
	v_mov_b32_e32 v5, v2
	v_mov_b32_e32 v6, v2
	;; [unrolled: 1-line block ×13, first 2 shown]
.LBB132_12:                             ;   in Loop: Header=BB132_5 Depth=1
	s_or_b64 exec, exec, s[10:11]
	v_add_co_u32_e32 v29, vcc, 1, v23
	v_addc_co_u32_e32 v30, vcc, 0, v24, vcc
	v_cmp_gt_i64_e32 vcc, s[12:13], v[29:30]
	v_mov_b32_e32 v29, 0
	v_mov_b32_e32 v31, 0
	v_mov_b32_e32 v30, 0
	v_mov_b32_e32 v32, 0
	s_and_b64 s[34:35], s[2:3], vcc
	s_and_saveexec_b64 s[10:11], s[34:35]
	s_cbranch_execz .LBB132_14
; %bb.13:                               ;   in Loop: Header=BB132_5 Depth=1
	v_add_co_u32_e32 v5, vcc, v73, v21
	v_addc_co_u32_e32 v6, vcc, v74, v22, vcc
	v_add_co_u32_e32 v31, vcc, v75, v21
	v_addc_co_u32_e32 v32, vcc, v76, v22, vcc
	global_load_dwordx2 v[5:6], v[5:6], off
	s_nop 0
	global_load_dwordx2 v[31:32], v[31:32], off
.LBB132_14:                             ;   in Loop: Header=BB132_5 Depth=1
	s_or_b64 exec, exec, s[10:11]
	v_add_co_u32_e32 v33, vcc, 2, v23
	v_addc_co_u32_e32 v34, vcc, 0, v24, vcc
	v_cmp_gt_i64_e32 vcc, s[12:13], v[33:34]
	s_and_b64 s[34:35], s[2:3], vcc
	s_and_saveexec_b64 s[10:11], s[34:35]
	s_cbranch_execz .LBB132_16
; %bb.15:                               ;   in Loop: Header=BB132_5 Depth=1
	v_add_co_u32_e32 v7, vcc, v69, v21
	v_addc_co_u32_e32 v8, vcc, v70, v22, vcc
	v_add_co_u32_e32 v29, vcc, v71, v21
	v_addc_co_u32_e32 v30, vcc, v72, v22, vcc
	global_load_dwordx2 v[7:8], v[7:8], off
	s_nop 0
	global_load_dwordx2 v[29:30], v[29:30], off
.LBB132_16:                             ;   in Loop: Header=BB132_5 Depth=1
	s_or_b64 exec, exec, s[10:11]
	v_add_co_u32_e32 v33, vcc, 3, v23
	v_addc_co_u32_e32 v34, vcc, 0, v24, vcc
	v_cmp_gt_i64_e32 vcc, s[12:13], v[33:34]
	v_mov_b32_e32 v35, 0
	v_mov_b32_e32 v37, 0
	v_mov_b32_e32 v36, 0
	v_mov_b32_e32 v38, 0
	s_and_b64 s[34:35], s[2:3], vcc
	s_and_saveexec_b64 s[10:11], s[34:35]
	s_cbranch_execz .LBB132_18
; %bb.17:                               ;   in Loop: Header=BB132_5 Depth=1
	v_add_co_u32_e32 v9, vcc, v65, v21
	v_addc_co_u32_e32 v10, vcc, v66, v22, vcc
	v_add_co_u32_e32 v33, vcc, v67, v21
	v_addc_co_u32_e32 v34, vcc, v68, v22, vcc
	global_load_dwordx2 v[9:10], v[9:10], off
	s_nop 0
	global_load_dwordx2 v[37:38], v[33:34], off
.LBB132_18:                             ;   in Loop: Header=BB132_5 Depth=1
	s_or_b64 exec, exec, s[10:11]
	v_add_co_u32_e32 v33, vcc, 4, v23
	v_addc_co_u32_e32 v34, vcc, 0, v24, vcc
	v_cmp_gt_i64_e32 vcc, s[12:13], v[33:34]
	s_and_b64 s[34:35], s[2:3], vcc
	s_and_saveexec_b64 s[10:11], s[34:35]
	s_cbranch_execz .LBB132_20
; %bb.19:                               ;   in Loop: Header=BB132_5 Depth=1
	v_add_co_u32_e32 v11, vcc, v61, v21
	v_addc_co_u32_e32 v12, vcc, v62, v22, vcc
	v_add_co_u32_e32 v33, vcc, v63, v21
	v_addc_co_u32_e32 v34, vcc, v64, v22, vcc
	global_load_dwordx2 v[11:12], v[11:12], off
	s_nop 0
	global_load_dwordx2 v[35:36], v[33:34], off
.LBB132_20:                             ;   in Loop: Header=BB132_5 Depth=1
	;; [unrolled: 36-line block ×3, first 2 shown]
	s_or_b64 exec, exec, s[10:11]
	v_add_co_u32_e32 v33, vcc, 7, v23
	v_addc_co_u32_e32 v34, vcc, 0, v24, vcc
	v_cmp_gt_i64_e32 vcc, s[12:13], v[33:34]
	v_mov_b32_e32 v33, 0
	v_mov_b32_e32 v34, 0
	s_and_b64 s[34:35], s[2:3], vcc
	s_and_saveexec_b64 s[10:11], s[34:35]
	s_cbranch_execz .LBB132_26
; %bb.25:                               ;   in Loop: Header=BB132_5 Depth=1
	v_add_co_u32_e32 v17, vcc, v49, v21
	v_addc_co_u32_e32 v18, vcc, v50, v22, vcc
	v_add_co_u32_e32 v33, vcc, v51, v21
	v_addc_co_u32_e32 v34, vcc, v52, v22, vcc
	global_load_dwordx2 v[17:18], v[17:18], off
	s_nop 0
	global_load_dwordx2 v[33:34], v[33:34], off
.LBB132_26:                             ;   in Loop: Header=BB132_5 Depth=1
	s_or_b64 exec, exec, s[10:11]
	s_waitcnt vmcnt(0)
	v_mul_f64 v[3:4], v[27:28], v[3:4]
	ds_bpermute_b32 v27, v77, v25
	ds_bpermute_b32 v28, v77, v26
	v_mul_f64 v[5:6], v[31:32], v[5:6]
	v_mul_f64 v[7:8], v[29:30], v[7:8]
	;; [unrolled: 1-line block ×3, first 2 shown]
	s_mov_b64 s[10:11], 0
	s_waitcnt lgkmcnt(0)
	v_fma_f64 v[3:4], v[3:4], v[27:28], v[19:20]
	ds_bpermute_b32 v27, v77, v25 offset:4
	ds_bpermute_b32 v28, v77, v26 offset:4
	s_waitcnt lgkmcnt(0)
	v_fma_f64 v[3:4], v[5:6], v[27:28], v[3:4]
	ds_bpermute_b32 v5, v77, v25 offset:8
	ds_bpermute_b32 v6, v77, v26 offset:8
	;; [unrolled: 4-line block ×3, first 2 shown]
	v_mul_f64 v[7:8], v[35:36], v[11:12]
	s_waitcnt lgkmcnt(0)
	v_fma_f64 v[3:4], v[9:10], v[5:6], v[3:4]
	ds_bpermute_b32 v5, v77, v25 offset:16
	ds_bpermute_b32 v6, v77, v26 offset:16
	v_mul_f64 v[9:10], v[41:42], v[13:14]
	s_waitcnt lgkmcnt(0)
	v_fma_f64 v[3:4], v[7:8], v[5:6], v[3:4]
	ds_bpermute_b32 v5, v77, v25 offset:20
	ds_bpermute_b32 v6, v77, v26 offset:20
	;; [unrolled: 1-line block ×4, first 2 shown]
	s_waitcnt lgkmcnt(2)
	v_fma_f64 v[3:4], v[9:10], v[5:6], v[3:4]
	v_mul_f64 v[5:6], v[39:40], v[15:16]
	s_waitcnt lgkmcnt(0)
	v_fma_f64 v[27:28], v[5:6], v[7:8], v[3:4]
	ds_bpermute_b32 v3, v77, v25 offset:28
	ds_bpermute_b32 v4, v77, v26 offset:28
.LBB132_27:                             ;   in Loop: Header=BB132_5 Depth=1
	s_and_b64 vcc, exec, s[10:11]
	s_cbranch_vccz .LBB132_4
; %bb.28:                               ;   in Loop: Header=BB132_5 Depth=1
	s_load_dword s10, s[24:25], 0x0
	v_mov_b32_e32 v27, 0
	v_mov_b32_e32 v25, 0
	;; [unrolled: 1-line block ×4, first 2 shown]
	s_waitcnt lgkmcnt(0)
	s_cmp_lt_u32 s6, s10
	s_cselect_b32 s10, 12, 18
	s_add_u32 s10, s24, s10
	s_addc_u32 s11, s25, 0
	global_load_ushort v3, v2, s[10:11]
	s_waitcnt vmcnt(0)
	v_mad_u32_u24 v3, v1, v3, v0
	v_and_b32_e32 v3, 63, v3
	v_cmp_gt_u32_e32 vcc, 8, v3
	s_and_saveexec_b64 s[10:11], vcc
	s_cbranch_execz .LBB132_32
; %bb.29:                               ;   in Loop: Header=BB132_5 Depth=1
	v_add_co_u32_e32 v3, vcc, v23, v3
	v_addc_co_u32_e32 v4, vcc, 0, v24, vcc
	v_cmp_gt_i64_e32 vcc, s[12:13], v[3:4]
	v_mov_b32_e32 v25, 0
	v_mov_b32_e32 v26, 0
	s_and_saveexec_b64 s[34:35], vcc
	s_cbranch_execz .LBB132_31
; %bb.30:                               ;   in Loop: Header=BB132_5 Depth=1
	v_lshlrev_b64 v[3:4], 3, v[3:4]
	v_mov_b32_e32 v5, s21
	v_add_co_u32_e32 v3, vcc, s20, v3
	v_addc_co_u32_e32 v4, vcc, v5, v4, vcc
	global_load_dwordx2 v[25:26], v[3:4], off
.LBB132_31:                             ;   in Loop: Header=BB132_5 Depth=1
	s_or_b64 exec, exec, s[34:35]
.LBB132_32:                             ;   in Loop: Header=BB132_5 Depth=1
	s_or_b64 exec, exec, s[10:11]
	v_mov_b32_e32 v3, v2
	v_mov_b32_e32 v4, v2
	;; [unrolled: 1-line block ×31, first 2 shown]
	s_and_saveexec_b64 s[10:11], s[2:3]
	s_cbranch_execz .LBB132_34
; %bb.33:                               ;   in Loop: Header=BB132_5 Depth=1
	v_add_co_u32_e32 v3, vcc, v45, v21
	v_addc_co_u32_e32 v4, vcc, v46, v22, vcc
	v_add_co_u32_e32 v5, vcc, v47, v21
	v_addc_co_u32_e32 v6, vcc, v48, v22, vcc
	global_load_dwordx2 v[3:4], v[3:4], off
	v_mov_b32_e32 v7, v2
	global_load_dwordx2 v[27:28], v[5:6], off
	v_mov_b32_e32 v5, v2
	v_mov_b32_e32 v6, v2
	;; [unrolled: 1-line block ×13, first 2 shown]
.LBB132_34:                             ;   in Loop: Header=BB132_5 Depth=1
	s_or_b64 exec, exec, s[10:11]
	v_mov_b32_e32 v23, 0
	v_mov_b32_e32 v29, 0
	v_mov_b32_e32 v24, 0
	v_mov_b32_e32 v30, 0
	s_and_saveexec_b64 s[10:11], s[2:3]
	s_cbranch_execz .LBB132_36
; %bb.35:                               ;   in Loop: Header=BB132_5 Depth=1
	v_add_co_u32_e32 v5, vcc, v73, v21
	v_addc_co_u32_e32 v6, vcc, v74, v22, vcc
	v_add_co_u32_e32 v29, vcc, v75, v21
	v_addc_co_u32_e32 v30, vcc, v76, v22, vcc
	global_load_dwordx2 v[5:6], v[5:6], off
	s_nop 0
	global_load_dwordx2 v[29:30], v[29:30], off
.LBB132_36:                             ;   in Loop: Header=BB132_5 Depth=1
	s_or_b64 exec, exec, s[10:11]
	s_and_saveexec_b64 s[10:11], s[2:3]
	s_cbranch_execz .LBB132_38
; %bb.37:                               ;   in Loop: Header=BB132_5 Depth=1
	v_add_co_u32_e32 v7, vcc, v69, v21
	v_addc_co_u32_e32 v8, vcc, v70, v22, vcc
	v_add_co_u32_e32 v23, vcc, v71, v21
	v_addc_co_u32_e32 v24, vcc, v72, v22, vcc
	global_load_dwordx2 v[7:8], v[7:8], off
	s_nop 0
	global_load_dwordx2 v[23:24], v[23:24], off
.LBB132_38:                             ;   in Loop: Header=BB132_5 Depth=1
	s_or_b64 exec, exec, s[10:11]
	v_mov_b32_e32 v31, 0
	v_mov_b32_e32 v35, 0
	v_mov_b32_e32 v32, 0
	v_mov_b32_e32 v36, 0
	s_and_saveexec_b64 s[10:11], s[2:3]
	s_cbranch_execz .LBB132_40
; %bb.39:                               ;   in Loop: Header=BB132_5 Depth=1
	v_add_co_u32_e32 v9, vcc, v65, v21
	v_addc_co_u32_e32 v10, vcc, v66, v22, vcc
	v_add_co_u32_e32 v33, vcc, v67, v21
	v_addc_co_u32_e32 v34, vcc, v68, v22, vcc
	global_load_dwordx2 v[9:10], v[9:10], off
	s_nop 0
	global_load_dwordx2 v[35:36], v[33:34], off
.LBB132_40:                             ;   in Loop: Header=BB132_5 Depth=1
	s_or_b64 exec, exec, s[10:11]
	s_and_saveexec_b64 s[10:11], s[2:3]
	s_cbranch_execz .LBB132_42
; %bb.41:                               ;   in Loop: Header=BB132_5 Depth=1
	v_add_co_u32_e32 v11, vcc, v61, v21
	v_addc_co_u32_e32 v12, vcc, v62, v22, vcc
	v_add_co_u32_e32 v31, vcc, v63, v21
	v_addc_co_u32_e32 v32, vcc, v64, v22, vcc
	global_load_dwordx2 v[11:12], v[11:12], off
	s_nop 0
	global_load_dwordx2 v[31:32], v[31:32], off
.LBB132_42:                             ;   in Loop: Header=BB132_5 Depth=1
	;; [unrolled: 28-line block ×3, first 2 shown]
	s_or_b64 exec, exec, s[10:11]
	v_mov_b32_e32 v33, 0
	v_mov_b32_e32 v34, 0
	s_and_saveexec_b64 s[10:11], s[2:3]
	s_cbranch_execz .LBB132_3
; %bb.47:                               ;   in Loop: Header=BB132_5 Depth=1
	v_add_co_u32_e32 v17, vcc, v49, v21
	v_addc_co_u32_e32 v18, vcc, v50, v22, vcc
	v_add_co_u32_e32 v33, vcc, v51, v21
	v_addc_co_u32_e32 v34, vcc, v52, v22, vcc
	global_load_dwordx2 v[17:18], v[17:18], off
	s_nop 0
	global_load_dwordx2 v[33:34], v[33:34], off
	s_branch .LBB132_3
.LBB132_48:
                                        ; implicit-def: $vgpr19_vgpr20
	s_load_dwordx2 s[2:3], s[4:5], 0x30
	s_branch .LBB132_50
.LBB132_49:
	s_load_dwordx2 s[2:3], s[4:5], 0x30
	s_cbranch_execnz .LBB132_82
.LBB132_50:
	v_mov_b32_e32 v19, 0
	v_mov_b32_e32 v20, 0
	s_and_b64 vcc, exec, s[0:1]
	s_cbranch_vccnz .LBB132_82
; %bb.51:
	v_lshlrev_b32_e32 v71, 3, v1
	v_add_co_u32_e32 v8, vcc, s22, v71
	v_addc_co_u32_e64 v9, s[0:1], 0, 0, vcc
	v_mul_lo_u32 v4, s15, v8
	v_mul_lo_u32 v5, s14, v9
	v_mad_u64_u32 v[2:3], s[0:1], s14, v8, 0
	v_mov_b32_e32 v6, s17
	s_add_u32 s10, s4, 64
	v_add3_u32 v3, v3, v5, v4
	v_lshlrev_b64 v[4:5], 3, v[2:3]
	s_addc_u32 s11, s5, 0
	v_add_co_u32_e32 v72, vcc, s16, v4
	v_addc_co_u32_e32 v73, vcc, v6, v5, vcc
	v_mov_b32_e32 v6, s19
	v_add_co_u32_e32 v74, vcc, s18, v4
	v_addc_co_u32_e32 v75, vcc, v6, v5, vcc
	v_lshlrev_b32_e32 v4, 6, v1
	s_lshl_b64 s[0:1], s[22:23], 3
	v_mov_b32_e32 v5, s1
	v_add_co_u32_e32 v10, vcc, s0, v4
	v_addc_co_u32_e32 v11, vcc, 0, v5, vcc
	v_add_co_u32_e32 v12, vcc, 8, v10
	v_addc_co_u32_e32 v6, vcc, 0, v11, vcc
	v_mov_b32_e32 v4, s16
	v_mul_lo_u32 v14, s14, v6
	v_mov_b32_e32 v6, s18
	v_mov_b32_e32 v5, s17
	;; [unrolled: 1-line block ×3, first 2 shown]
	v_mad_u64_u32 v[21:22], s[0:1], s14, v12, v[4:5]
	v_mul_lo_u32 v15, s15, v12
	v_mad_u64_u32 v[23:24], s[0:1], s14, v12, v[6:7]
	v_add_co_u32_e32 v12, vcc, 16, v10
	v_addc_co_u32_e32 v16, vcc, 0, v11, vcc
	v_mov_b32_e32 v13, s15
	v_add_co_u32_e32 v2, vcc, s14, v2
	v_addc_co_u32_e32 v3, vcc, v3, v13, vcc
	v_mul_lo_u32 v17, s15, v12
	v_mad_u64_u32 v[25:26], s[0:1], s14, v12, v[4:5]
	v_mad_u64_u32 v[27:28], s[0:1], s14, v12, v[6:7]
	v_add_co_u32_e32 v12, vcc, 24, v10
	v_addc_co_u32_e32 v13, vcc, 0, v11, vcc
	v_add3_u32 v22, v15, v22, v14
	v_add3_u32 v24, v15, v24, v14
	v_mul_lo_u32 v13, s14, v13
	v_mul_lo_u32 v14, s15, v12
	v_mad_u64_u32 v[29:30], s[0:1], s14, v12, v[4:5]
	v_mad_u64_u32 v[31:32], s[0:1], s14, v12, v[6:7]
	v_add_co_u32_e32 v12, vcc, 32, v10
	v_mul_lo_u32 v16, s14, v16
	v_addc_co_u32_e32 v15, vcc, 0, v11, vcc
	v_mul_lo_u32 v18, s15, v12
	v_mad_u64_u32 v[33:34], s[0:1], s14, v12, v[4:5]
	v_mad_u64_u32 v[35:36], s[0:1], s14, v12, v[6:7]
	v_add_co_u32_e32 v12, vcc, 40, v10
	v_add3_u32 v30, v14, v30, v13
	v_add3_u32 v32, v14, v32, v13
	v_addc_co_u32_e32 v13, vcc, 0, v11, vcc
	v_mul_lo_u32 v14, s15, v12
	v_mad_u64_u32 v[37:38], s[0:1], s14, v12, v[4:5]
	v_mad_u64_u32 v[39:40], s[0:1], s14, v12, v[6:7]
	v_add_co_u32_e32 v12, vcc, 48, v10
	v_add3_u32 v26, v17, v26, v16
	v_add3_u32 v28, v17, v28, v16
	v_addc_co_u32_e32 v16, vcc, 0, v11, vcc
	v_add_co_u32_e32 v10, vcc, 56, v10
	v_addc_co_u32_e32 v11, vcc, 0, v11, vcc
	v_mad_u64_u32 v[41:42], s[0:1], s14, v12, v[4:5]
	v_mad_u64_u32 v[45:46], s[0:1], s14, v10, v[4:5]
	v_add_co_u32_e32 v4, vcc, 7, v8
	v_addc_co_u32_e32 v5, vcc, 0, v9, vcc
	v_mad_u64_u32 v[43:44], s[0:1], s14, v12, v[6:7]
	v_mad_u64_u32 v[47:48], s[0:1], s14, v10, v[6:7]
	v_mul_lo_u32 v6, s15, v10
	v_mul_lo_u32 v7, s14, v5
	;; [unrolled: 1-line block ×3, first 2 shown]
	v_mad_u64_u32 v[4:5], s[0:1], s14, v4, 0
	v_mul_lo_u32 v11, s14, v11
	v_mul_lo_u32 v17, s15, v12
	v_add3_u32 v5, v5, v7, v10
	v_lshlrev_b64 v[4:5], 3, v[4:5]
	v_add3_u32 v46, v6, v46, v11
	v_add3_u32 v48, v6, v48, v11
	v_mov_b32_e32 v6, s17
	v_add_co_u32_e32 v76, vcc, s16, v4
	v_addc_co_u32_e32 v77, vcc, v6, v5, vcc
	v_add_co_u32_e32 v6, vcc, 6, v8
	v_addc_co_u32_e32 v7, vcc, 0, v9, vcc
	v_mul_lo_u32 v11, s14, v7
	v_mul_lo_u32 v12, s15, v6
	v_mad_u64_u32 v[6:7], s[0:1], s14, v6, 0
	v_mov_b32_e32 v10, s19
	v_add_co_u32_e32 v78, vcc, s18, v4
	v_add3_u32 v7, v7, v11, v12
	v_addc_co_u32_e32 v79, vcc, v10, v5, vcc
	v_lshlrev_b64 v[4:5], 3, v[6:7]
	v_mov_b32_e32 v6, s17
	v_add_co_u32_e32 v80, vcc, s16, v4
	v_addc_co_u32_e32 v81, vcc, v6, v5, vcc
	v_add_co_u32_e32 v6, vcc, 5, v8
	v_addc_co_u32_e32 v7, vcc, 0, v9, vcc
	v_mul_lo_u32 v11, s14, v7
	v_mul_lo_u32 v12, s15, v6
	v_mad_u64_u32 v[6:7], s[0:1], s14, v6, 0
	v_add_co_u32_e32 v82, vcc, s18, v4
	v_add3_u32 v7, v7, v11, v12
	v_addc_co_u32_e32 v83, vcc, v10, v5, vcc
	v_lshlrev_b64 v[4:5], 3, v[6:7]
	v_mov_b32_e32 v6, s17
	v_add_co_u32_e32 v84, vcc, s16, v4
	v_addc_co_u32_e32 v85, vcc, v6, v5, vcc
	v_add_co_u32_e32 v6, vcc, 4, v8
	v_addc_co_u32_e32 v7, vcc, 0, v9, vcc
	v_mul_lo_u32 v11, s14, v7
	v_mul_lo_u32 v12, s15, v6
	v_mad_u64_u32 v[6:7], s[0:1], s14, v6, 0
	;; [unrolled: 12-line block ×4, first 2 shown]
	v_add_co_u32_e32 v94, vcc, s18, v4
	v_add3_u32 v7, v7, v8, v9
	v_addc_co_u32_e32 v95, vcc, v10, v5, vcc
	v_lshlrev_b64 v[4:5], 3, v[6:7]
	v_mov_b32_e32 v6, s17
	v_add_co_u32_e32 v96, vcc, s16, v4
	v_addc_co_u32_e32 v97, vcc, v6, v5, vcc
	v_mov_b32_e32 v6, s19
	v_add_co_u32_e32 v98, vcc, s18, v4
	v_lshlrev_b64 v[2:3], 3, v[2:3]
	v_addc_co_u32_e32 v99, vcc, v6, v5, vcc
	s_load_dword s0, s[4:5], 0x44
	v_mov_b32_e32 v4, s17
	v_add_co_u32_e32 v100, vcc, s16, v2
	v_addc_co_u32_e32 v101, vcc, v4, v3, vcc
	v_mov_b32_e32 v4, s19
	v_add_co_u32_e32 v102, vcc, s18, v2
	v_mov_b32_e32 v2, 0
	v_mul_lo_u32 v15, s14, v15
	v_mul_lo_u32 v13, s14, v13
	;; [unrolled: 1-line block ×3, first 2 shown]
	v_addc_co_u32_e32 v103, vcc, v4, v3, vcc
	v_add_u32_e32 v3, s7, v0
	v_mov_b32_e32 v4, v2
	s_waitcnt lgkmcnt(0)
	s_lshl_b32 s7, s0, 3
	v_lshlrev_b64 v[49:50], 3, v[3:4]
	v_mbcnt_lo_u32_b32 v3, -1, 0
	s_mul_i32 s0, s15, s7
	s_mul_hi_u32 s1, s14, s7
	v_mbcnt_hi_u32_b32 v3, -1, v3
	s_add_i32 s1, s1, s0
	s_mul_i32 s0, s14, s7
	v_lshlrev_b32_e32 v3, 2, v3
	v_mov_b32_e32 v51, 0
	v_add3_u32 v34, v18, v34, v15
	v_add3_u32 v36, v18, v36, v15
	;; [unrolled: 1-line block ×6, first 2 shown]
	s_lshl_b64 s[16:17], s[0:1], 3
	s_mov_b64 s[18:19], 7
	v_and_b32_e32 v104, 0x100, v3
	s_mov_b64 s[24:25], s[22:23]
	v_mov_b32_e32 v52, 0
	v_mov_b32_e32 v105, v2
.LBB132_52:                             ; =>This Inner Loop Header: Depth=1
	s_add_u32 s0, s22, s18
	v_mov_b32_e32 v3, s12
	s_addc_u32 s1, 0, s19
	v_mov_b32_e32 v4, s13
	v_cmp_ge_i64_e32 vcc, s[0:1], v[3:4]
	v_add_co_u32_e64 v53, s[0:1], s22, v71
	v_addc_co_u32_e64 v54, s[0:1], 0, v105, s[0:1]
	s_mov_b64 s[0:1], -1
                                        ; implicit-def: $vgpr19_vgpr20
	s_cbranch_vccz .LBB132_74
; %bb.53:                               ;   in Loop: Header=BB132_52 Depth=1
	s_load_dword s0, s[10:11], 0xc
	v_mov_b32_e32 v55, 0
	v_mov_b32_e32 v19, 0
	;; [unrolled: 1-line block ×4, first 2 shown]
	s_waitcnt lgkmcnt(0)
	s_and_b32 s0, s0, 0xffff
	v_mad_u32_u24 v3, v1, s0, v0
	v_and_b32_e32 v3, 63, v3
	v_cmp_gt_u32_e32 vcc, 8, v3
	s_and_saveexec_b64 s[0:1], vcc
	s_cbranch_execz .LBB132_57
; %bb.54:                               ;   in Loop: Header=BB132_52 Depth=1
	v_add_co_u32_e32 v3, vcc, v53, v3
	v_addc_co_u32_e32 v4, vcc, 0, v54, vcc
	v_cmp_gt_i64_e32 vcc, s[12:13], v[3:4]
	v_mov_b32_e32 v19, 0
	v_mov_b32_e32 v20, 0
	s_and_saveexec_b64 s[26:27], vcc
	s_cbranch_execz .LBB132_56
; %bb.55:                               ;   in Loop: Header=BB132_52 Depth=1
	v_lshlrev_b64 v[3:4], 3, v[3:4]
	v_mov_b32_e32 v5, s21
	v_add_co_u32_e32 v3, vcc, s20, v3
	v_addc_co_u32_e32 v4, vcc, v5, v4, vcc
	global_load_dwordx2 v[19:20], v[3:4], off
.LBB132_56:                             ;   in Loop: Header=BB132_52 Depth=1
	s_or_b64 exec, exec, s[26:27]
.LBB132_57:                             ;   in Loop: Header=BB132_52 Depth=1
	s_or_b64 exec, exec, s[0:1]
	v_mov_b32_e32 v3, v2
	v_mov_b32_e32 v4, v2
	;; [unrolled: 1-line block ×15, first 2 shown]
	v_cmp_gt_i64_e32 vcc, s[12:13], v[53:54]
	v_mov_b32_e32 v18, v17
	v_mov_b32_e32 v17, v16
	;; [unrolled: 1-line block ×16, first 2 shown]
	s_and_saveexec_b64 s[0:1], vcc
	s_cbranch_execz .LBB132_59
; %bb.58:                               ;   in Loop: Header=BB132_52 Depth=1
	v_add_co_u32_e32 v3, vcc, v72, v49
	v_addc_co_u32_e32 v4, vcc, v73, v50, vcc
	v_add_co_u32_e32 v5, vcc, v74, v49
	v_addc_co_u32_e32 v6, vcc, v75, v50, vcc
	global_load_dwordx2 v[3:4], v[3:4], off
	v_mov_b32_e32 v7, v2
	global_load_dwordx2 v[55:56], v[5:6], off
	v_mov_b32_e32 v5, v2
	v_mov_b32_e32 v6, v2
	v_mov_b32_e32 v8, v2
	v_mov_b32_e32 v9, v2
	v_mov_b32_e32 v10, v2
	v_mov_b32_e32 v11, v2
	v_mov_b32_e32 v12, v2
	v_mov_b32_e32 v13, v2
	v_mov_b32_e32 v14, v2
	v_mov_b32_e32 v15, v2
	v_mov_b32_e32 v16, v2
	v_mov_b32_e32 v17, v2
	v_mov_b32_e32 v18, v2
.LBB132_59:                             ;   in Loop: Header=BB132_52 Depth=1
	s_or_b64 exec, exec, s[0:1]
	v_add_co_u32_e32 v57, vcc, 1, v53
	v_addc_co_u32_e32 v58, vcc, 0, v54, vcc
	v_cmp_gt_i64_e32 vcc, s[12:13], v[57:58]
	v_mov_b32_e32 v57, 0
	v_mov_b32_e32 v59, 0
	v_mov_b32_e32 v58, 0
	v_mov_b32_e32 v60, 0
	s_and_saveexec_b64 s[0:1], vcc
	s_cbranch_execz .LBB132_61
; %bb.60:                               ;   in Loop: Header=BB132_52 Depth=1
	v_add_co_u32_e32 v5, vcc, v100, v49
	v_addc_co_u32_e32 v6, vcc, v101, v50, vcc
	v_add_co_u32_e32 v59, vcc, v102, v49
	v_addc_co_u32_e32 v60, vcc, v103, v50, vcc
	global_load_dwordx2 v[5:6], v[5:6], off
	s_nop 0
	global_load_dwordx2 v[59:60], v[59:60], off
.LBB132_61:                             ;   in Loop: Header=BB132_52 Depth=1
	s_or_b64 exec, exec, s[0:1]
	v_add_co_u32_e32 v61, vcc, 2, v53
	v_addc_co_u32_e32 v62, vcc, 0, v54, vcc
	v_cmp_gt_i64_e32 vcc, s[12:13], v[61:62]
	s_and_saveexec_b64 s[0:1], vcc
	s_cbranch_execz .LBB132_63
; %bb.62:                               ;   in Loop: Header=BB132_52 Depth=1
	v_add_co_u32_e32 v7, vcc, v96, v49
	v_addc_co_u32_e32 v8, vcc, v97, v50, vcc
	v_add_co_u32_e32 v57, vcc, v98, v49
	v_addc_co_u32_e32 v58, vcc, v99, v50, vcc
	global_load_dwordx2 v[7:8], v[7:8], off
	s_nop 0
	global_load_dwordx2 v[57:58], v[57:58], off
.LBB132_63:                             ;   in Loop: Header=BB132_52 Depth=1
	s_or_b64 exec, exec, s[0:1]
	v_add_co_u32_e32 v61, vcc, 3, v53
	v_addc_co_u32_e32 v62, vcc, 0, v54, vcc
	v_cmp_gt_i64_e32 vcc, s[12:13], v[61:62]
	v_mov_b32_e32 v61, 0
	v_mov_b32_e32 v63, 0
	v_mov_b32_e32 v62, 0
	v_mov_b32_e32 v64, 0
	s_and_saveexec_b64 s[0:1], vcc
	s_cbranch_execz .LBB132_65
; %bb.64:                               ;   in Loop: Header=BB132_52 Depth=1
	v_add_co_u32_e32 v9, vcc, v92, v49
	v_addc_co_u32_e32 v10, vcc, v93, v50, vcc
	v_add_co_u32_e32 v63, vcc, v94, v49
	v_addc_co_u32_e32 v64, vcc, v95, v50, vcc
	global_load_dwordx2 v[9:10], v[9:10], off
	s_nop 0
	global_load_dwordx2 v[63:64], v[63:64], off
.LBB132_65:                             ;   in Loop: Header=BB132_52 Depth=1
	s_or_b64 exec, exec, s[0:1]
	v_add_co_u32_e32 v65, vcc, 4, v53
	v_addc_co_u32_e32 v66, vcc, 0, v54, vcc
	v_cmp_gt_i64_e32 vcc, s[12:13], v[65:66]
	s_and_saveexec_b64 s[0:1], vcc
	s_cbranch_execz .LBB132_67
; %bb.66:                               ;   in Loop: Header=BB132_52 Depth=1
	v_add_co_u32_e32 v11, vcc, v88, v49
	v_addc_co_u32_e32 v12, vcc, v89, v50, vcc
	v_add_co_u32_e32 v61, vcc, v90, v49
	v_addc_co_u32_e32 v62, vcc, v91, v50, vcc
	global_load_dwordx2 v[11:12], v[11:12], off
	s_nop 0
	global_load_dwordx2 v[61:62], v[61:62], off
.LBB132_67:                             ;   in Loop: Header=BB132_52 Depth=1
	;; [unrolled: 34-line block ×3, first 2 shown]
	s_or_b64 exec, exec, s[0:1]
	v_add_co_u32_e32 v69, vcc, 7, v53
	v_addc_co_u32_e32 v70, vcc, 0, v54, vcc
	v_cmp_gt_i64_e32 vcc, s[12:13], v[69:70]
	v_mov_b32_e32 v69, 0
	v_mov_b32_e32 v70, 0
	s_and_saveexec_b64 s[0:1], vcc
	s_cbranch_execz .LBB132_73
; %bb.72:                               ;   in Loop: Header=BB132_52 Depth=1
	v_add_co_u32_e32 v17, vcc, v76, v49
	v_addc_co_u32_e32 v18, vcc, v77, v50, vcc
	v_add_co_u32_e32 v69, vcc, v78, v49
	v_addc_co_u32_e32 v70, vcc, v79, v50, vcc
	global_load_dwordx2 v[17:18], v[17:18], off
	s_nop 0
	global_load_dwordx2 v[69:70], v[69:70], off
.LBB132_73:                             ;   in Loop: Header=BB132_52 Depth=1
	s_or_b64 exec, exec, s[0:1]
	s_waitcnt vmcnt(0)
	v_mul_f64 v[3:4], v[55:56], v[3:4]
	ds_bpermute_b32 v55, v104, v19
	ds_bpermute_b32 v56, v104, v20
	v_mul_f64 v[5:6], v[59:60], v[5:6]
	v_mul_f64 v[7:8], v[57:58], v[7:8]
	;; [unrolled: 1-line block ×3, first 2 shown]
	s_mov_b64 s[0:1], 0
	s_waitcnt lgkmcnt(0)
	v_fma_f64 v[3:4], v[3:4], v[55:56], v[51:52]
	ds_bpermute_b32 v55, v104, v19 offset:4
	ds_bpermute_b32 v56, v104, v20 offset:4
	s_waitcnt lgkmcnt(0)
	v_fma_f64 v[3:4], v[5:6], v[55:56], v[3:4]
	ds_bpermute_b32 v5, v104, v19 offset:8
	ds_bpermute_b32 v6, v104, v20 offset:8
	;; [unrolled: 4-line block ×3, first 2 shown]
	v_mul_f64 v[7:8], v[61:62], v[11:12]
	s_waitcnt lgkmcnt(0)
	v_fma_f64 v[3:4], v[9:10], v[5:6], v[3:4]
	ds_bpermute_b32 v5, v104, v19 offset:16
	ds_bpermute_b32 v6, v104, v20 offset:16
	v_mul_f64 v[9:10], v[67:68], v[13:14]
	s_waitcnt lgkmcnt(0)
	v_fma_f64 v[3:4], v[7:8], v[5:6], v[3:4]
	ds_bpermute_b32 v5, v104, v19 offset:20
	ds_bpermute_b32 v6, v104, v20 offset:20
	;; [unrolled: 5-line block ×3, first 2 shown]
	s_waitcnt lgkmcnt(0)
	v_fma_f64 v[3:4], v[7:8], v[5:6], v[3:4]
	v_mul_f64 v[5:6], v[69:70], v[17:18]
	ds_bpermute_b32 v7, v104, v19 offset:28
	ds_bpermute_b32 v8, v104, v20 offset:28
	s_waitcnt lgkmcnt(0)
	v_fma_f64 v[19:20], v[5:6], v[7:8], v[3:4]
.LBB132_74:                             ;   in Loop: Header=BB132_52 Depth=1
	s_and_b64 vcc, exec, s[0:1]
	s_cbranch_vccz .LBB132_80
; %bb.75:                               ;   in Loop: Header=BB132_52 Depth=1
	s_load_dword s0, s[10:11], 0x0
	s_waitcnt lgkmcnt(0)
	s_cmp_lt_u32 s6, s0
	s_cselect_b32 s0, 12, 18
	s_add_u32 s0, s10, s0
	s_addc_u32 s1, s11, 0
	global_load_ushort v3, v2, s[0:1]
	s_waitcnt vmcnt(0)
	v_mad_u32_u24 v3, v1, v3, v0
	v_and_b32_e32 v5, 63, v3
	v_mov_b32_e32 v3, 0
	v_mov_b32_e32 v4, 0
	v_cmp_gt_u32_e32 vcc, 8, v5
	s_and_saveexec_b64 s[0:1], vcc
	s_cbranch_execz .LBB132_79
; %bb.76:                               ;   in Loop: Header=BB132_52 Depth=1
	v_add_co_u32_e32 v5, vcc, v53, v5
	v_addc_co_u32_e32 v6, vcc, 0, v54, vcc
	v_cmp_gt_i64_e32 vcc, s[12:13], v[5:6]
	v_mov_b32_e32 v3, 0
	v_mov_b32_e32 v4, 0
	s_and_saveexec_b64 s[26:27], vcc
	s_cbranch_execz .LBB132_78
; %bb.77:                               ;   in Loop: Header=BB132_52 Depth=1
	v_lshlrev_b64 v[3:4], 3, v[5:6]
	v_mov_b32_e32 v5, s21
	v_add_co_u32_e32 v3, vcc, s20, v3
	v_addc_co_u32_e32 v4, vcc, v5, v4, vcc
	global_load_dwordx2 v[3:4], v[3:4], off
.LBB132_78:                             ;   in Loop: Header=BB132_52 Depth=1
	s_or_b64 exec, exec, s[26:27]
.LBB132_79:                             ;   in Loop: Header=BB132_52 Depth=1
	s_or_b64 exec, exec, s[0:1]
	v_add_co_u32_e32 v5, vcc, v72, v49
	v_addc_co_u32_e32 v6, vcc, v73, v50, vcc
	v_add_co_u32_e32 v7, vcc, v74, v49
	v_addc_co_u32_e32 v8, vcc, v75, v50, vcc
	global_load_dwordx2 v[5:6], v[5:6], off
	v_add_co_u32_e32 v9, vcc, v21, v49
	global_load_dwordx2 v[7:8], v[7:8], off
	v_addc_co_u32_e32 v10, vcc, v22, v50, vcc
	v_add_co_u32_e32 v11, vcc, v23, v49
	v_addc_co_u32_e32 v12, vcc, v24, v50, vcc
	global_load_dwordx2 v[9:10], v[9:10], off
	v_add_co_u32_e32 v13, vcc, v25, v49
	global_load_dwordx2 v[11:12], v[11:12], off
	;; [unrolled: 6-line block ×7, first 2 shown]
	v_addc_co_u32_e32 v66, vcc, v46, v50, vcc
	v_add_co_u32_e32 v67, vcc, v47, v49
	v_addc_co_u32_e32 v68, vcc, v48, v50, vcc
	global_load_dwordx2 v[65:66], v[65:66], off
	s_waitcnt vmcnt(13)
	v_mul_f64 v[5:6], v[5:6], v[7:8]
	global_load_dwordx2 v[67:68], v[67:68], off
	ds_bpermute_b32 v7, v104, v3
	ds_bpermute_b32 v8, v104, v4
	s_waitcnt lgkmcnt(0)
	v_fma_f64 v[5:6], v[5:6], v[7:8], v[51:52]
	ds_bpermute_b32 v7, v104, v3 offset:4
	s_waitcnt vmcnt(12)
	v_mul_f64 v[9:10], v[9:10], v[11:12]
	ds_bpermute_b32 v8, v104, v4 offset:4
	s_waitcnt lgkmcnt(0)
	v_fma_f64 v[5:6], v[9:10], v[7:8], v[5:6]
	ds_bpermute_b32 v7, v104, v3 offset:8
	s_waitcnt vmcnt(10)
	v_mul_f64 v[11:12], v[13:14], v[15:16]
	ds_bpermute_b32 v8, v104, v4 offset:8
	;; [unrolled: 6-line block ×6, first 2 shown]
	ds_bpermute_b32 v3, v104, v3 offset:28
	ds_bpermute_b32 v4, v104, v4 offset:28
	s_waitcnt lgkmcnt(2)
	v_fma_f64 v[5:6], v[11:12], v[7:8], v[5:6]
	s_waitcnt vmcnt(0)
	v_mul_f64 v[7:8], v[65:66], v[67:68]
	s_waitcnt lgkmcnt(0)
	v_fma_f64 v[19:20], v[7:8], v[3:4], v[5:6]
.LBB132_80:                             ;   in Loop: Header=BB132_52 Depth=1
	v_mov_b32_e32 v3, s17
	v_add_co_u32_e32 v72, vcc, s16, v72
	v_addc_co_u32_e32 v73, vcc, v73, v3, vcc
	v_add_co_u32_e32 v74, vcc, s16, v74
	v_addc_co_u32_e32 v75, vcc, v75, v3, vcc
	;; [unrolled: 2-line block ×30, first 2 shown]
	v_add_co_u32_e32 v102, vcc, s16, v102
	s_add_u32 s24, s24, s7
	v_addc_co_u32_e32 v103, vcc, v103, v3, vcc
	v_mov_b32_e32 v3, s12
	s_addc_u32 s25, s25, 0
	v_mov_b32_e32 v4, s13
	v_cmp_ge_i64_e32 vcc, s[24:25], v[3:4]
	s_add_u32 s18, s18, s7
	s_addc_u32 s19, 0, s19
	s_cbranch_vccnz .LBB132_82
; %bb.81:                               ;   in Loop: Header=BB132_52 Depth=1
	v_mov_b32_e32 v52, v20
	v_mov_b32_e32 v51, v19
	s_branch .LBB132_52
.LBB132_82:
	s_mov_b32 s7, 0
	s_lshl_b64 s[0:1], s[6:7], 5
	v_or_b32_e32 v3, s0, v0
	v_mov_b32_e32 v4, s1
	v_cmp_gt_i64_e32 vcc, s[14:15], v[3:4]
	s_waitcnt lgkmcnt(0)
	s_cmp_lg_u64 s[2:3], 0
	s_cselect_b64 s[0:1], -1, 0
	s_and_b64 s[0:1], vcc, s[0:1]
	s_and_saveexec_b64 s[6:7], s[0:1]
	s_cbranch_execz .LBB132_84
; %bb.83:
	s_load_dword s0, s[4:5], 0x4c
	v_mov_b32_e32 v2, 0
	v_mov_b32_e32 v0, s8
	;; [unrolled: 1-line block ×3, first 2 shown]
	s_waitcnt lgkmcnt(0)
	s_lshr_b32 s0, s0, 16
	v_mad_u64_u32 v[0:1], s[0:1], s0, v0, v[1:2]
	v_lshlrev_b64 v[2:3], 3, v[3:4]
	v_mul_lo_u32 v5, v1, s14
	v_mul_lo_u32 v6, v0, s15
	v_mad_u64_u32 v[0:1], s[0:1], v0, s14, 0
	v_add3_u32 v1, v1, v6, v5
	v_lshlrev_b64 v[0:1], 3, v[0:1]
	v_add_co_u32_e32 v0, vcc, s2, v0
	v_addc_co_u32_e32 v1, vcc, v7, v1, vcc
	v_add_co_u32_e32 v0, vcc, v0, v2
	v_addc_co_u32_e32 v1, vcc, v1, v3, vcc
	global_store_dwordx2 v[0:1], v[19:20], off
.LBB132_84:
	s_endpgm
	.section	.rodata,"a",@progbits
	.p2align	6, 0x0
	.amdhsa_kernel _ZN2at6native12_GLOBAL__N_135GammaBetaBackwardCUDAKernelTemplateIddLj32ELj1ELj8ELb1ELb0ELb1EEEvllPKT_S5_PKT0_S8_PS3_S9_
		.amdhsa_group_segment_fixed_size 0
		.amdhsa_private_segment_fixed_size 0
		.amdhsa_kernarg_size 320
		.amdhsa_user_sgpr_count 6
		.amdhsa_user_sgpr_private_segment_buffer 1
		.amdhsa_user_sgpr_dispatch_ptr 0
		.amdhsa_user_sgpr_queue_ptr 0
		.amdhsa_user_sgpr_kernarg_segment_ptr 1
		.amdhsa_user_sgpr_dispatch_id 0
		.amdhsa_user_sgpr_flat_scratch_init 0
		.amdhsa_user_sgpr_private_segment_size 0
		.amdhsa_uses_dynamic_stack 0
		.amdhsa_system_sgpr_private_segment_wavefront_offset 0
		.amdhsa_system_sgpr_workgroup_id_x 1
		.amdhsa_system_sgpr_workgroup_id_y 1
		.amdhsa_system_sgpr_workgroup_id_z 0
		.amdhsa_system_sgpr_workgroup_info 0
		.amdhsa_system_vgpr_workitem_id 1
		.amdhsa_next_free_vgpr 106
		.amdhsa_next_free_sgpr 36
		.amdhsa_reserve_vcc 1
		.amdhsa_reserve_flat_scratch 0
		.amdhsa_float_round_mode_32 0
		.amdhsa_float_round_mode_16_64 0
		.amdhsa_float_denorm_mode_32 3
		.amdhsa_float_denorm_mode_16_64 3
		.amdhsa_dx10_clamp 1
		.amdhsa_ieee_mode 1
		.amdhsa_fp16_overflow 0
		.amdhsa_exception_fp_ieee_invalid_op 0
		.amdhsa_exception_fp_denorm_src 0
		.amdhsa_exception_fp_ieee_div_zero 0
		.amdhsa_exception_fp_ieee_overflow 0
		.amdhsa_exception_fp_ieee_underflow 0
		.amdhsa_exception_fp_ieee_inexact 0
		.amdhsa_exception_int_div_zero 0
	.end_amdhsa_kernel
	.section	.text._ZN2at6native12_GLOBAL__N_135GammaBetaBackwardCUDAKernelTemplateIddLj32ELj1ELj8ELb1ELb0ELb1EEEvllPKT_S5_PKT0_S8_PS3_S9_,"axG",@progbits,_ZN2at6native12_GLOBAL__N_135GammaBetaBackwardCUDAKernelTemplateIddLj32ELj1ELj8ELb1ELb0ELb1EEEvllPKT_S5_PKT0_S8_PS3_S9_,comdat
.Lfunc_end132:
	.size	_ZN2at6native12_GLOBAL__N_135GammaBetaBackwardCUDAKernelTemplateIddLj32ELj1ELj8ELb1ELb0ELb1EEEvllPKT_S5_PKT0_S8_PS3_S9_, .Lfunc_end132-_ZN2at6native12_GLOBAL__N_135GammaBetaBackwardCUDAKernelTemplateIddLj32ELj1ELj8ELb1ELb0ELb1EEEvllPKT_S5_PKT0_S8_PS3_S9_
                                        ; -- End function
	.set _ZN2at6native12_GLOBAL__N_135GammaBetaBackwardCUDAKernelTemplateIddLj32ELj1ELj8ELb1ELb0ELb1EEEvllPKT_S5_PKT0_S8_PS3_S9_.num_vgpr, 106
	.set _ZN2at6native12_GLOBAL__N_135GammaBetaBackwardCUDAKernelTemplateIddLj32ELj1ELj8ELb1ELb0ELb1EEEvllPKT_S5_PKT0_S8_PS3_S9_.num_agpr, 0
	.set _ZN2at6native12_GLOBAL__N_135GammaBetaBackwardCUDAKernelTemplateIddLj32ELj1ELj8ELb1ELb0ELb1EEEvllPKT_S5_PKT0_S8_PS3_S9_.numbered_sgpr, 36
	.set _ZN2at6native12_GLOBAL__N_135GammaBetaBackwardCUDAKernelTemplateIddLj32ELj1ELj8ELb1ELb0ELb1EEEvllPKT_S5_PKT0_S8_PS3_S9_.num_named_barrier, 0
	.set _ZN2at6native12_GLOBAL__N_135GammaBetaBackwardCUDAKernelTemplateIddLj32ELj1ELj8ELb1ELb0ELb1EEEvllPKT_S5_PKT0_S8_PS3_S9_.private_seg_size, 0
	.set _ZN2at6native12_GLOBAL__N_135GammaBetaBackwardCUDAKernelTemplateIddLj32ELj1ELj8ELb1ELb0ELb1EEEvllPKT_S5_PKT0_S8_PS3_S9_.uses_vcc, 1
	.set _ZN2at6native12_GLOBAL__N_135GammaBetaBackwardCUDAKernelTemplateIddLj32ELj1ELj8ELb1ELb0ELb1EEEvllPKT_S5_PKT0_S8_PS3_S9_.uses_flat_scratch, 0
	.set _ZN2at6native12_GLOBAL__N_135GammaBetaBackwardCUDAKernelTemplateIddLj32ELj1ELj8ELb1ELb0ELb1EEEvllPKT_S5_PKT0_S8_PS3_S9_.has_dyn_sized_stack, 0
	.set _ZN2at6native12_GLOBAL__N_135GammaBetaBackwardCUDAKernelTemplateIddLj32ELj1ELj8ELb1ELb0ELb1EEEvllPKT_S5_PKT0_S8_PS3_S9_.has_recursion, 0
	.set _ZN2at6native12_GLOBAL__N_135GammaBetaBackwardCUDAKernelTemplateIddLj32ELj1ELj8ELb1ELb0ELb1EEEvllPKT_S5_PKT0_S8_PS3_S9_.has_indirect_call, 0
	.section	.AMDGPU.csdata,"",@progbits
; Kernel info:
; codeLenInByte = 6644
; TotalNumSgprs: 40
; NumVgprs: 106
; ScratchSize: 0
; MemoryBound: 0
; FloatMode: 240
; IeeeMode: 1
; LDSByteSize: 0 bytes/workgroup (compile time only)
; SGPRBlocks: 4
; VGPRBlocks: 26
; NumSGPRsForWavesPerEU: 40
; NumVGPRsForWavesPerEU: 106
; Occupancy: 2
; WaveLimiterHint : 0
; COMPUTE_PGM_RSRC2:SCRATCH_EN: 0
; COMPUTE_PGM_RSRC2:USER_SGPR: 6
; COMPUTE_PGM_RSRC2:TRAP_HANDLER: 0
; COMPUTE_PGM_RSRC2:TGID_X_EN: 1
; COMPUTE_PGM_RSRC2:TGID_Y_EN: 1
; COMPUTE_PGM_RSRC2:TGID_Z_EN: 0
; COMPUTE_PGM_RSRC2:TIDIG_COMP_CNT: 1
	.section	.text._ZN2at6native12_GLOBAL__N_135GammaBetaBackwardCUDAKernelTemplateIddLj32ELj8ELj64ELb0ELb1ELb1EEEvllPKT_S5_PKT0_S8_PS3_S9_,"axG",@progbits,_ZN2at6native12_GLOBAL__N_135GammaBetaBackwardCUDAKernelTemplateIddLj32ELj8ELj64ELb0ELb1ELb1EEEvllPKT_S5_PKT0_S8_PS3_S9_,comdat
	.globl	_ZN2at6native12_GLOBAL__N_135GammaBetaBackwardCUDAKernelTemplateIddLj32ELj8ELj64ELb0ELb1ELb1EEEvllPKT_S5_PKT0_S8_PS3_S9_ ; -- Begin function _ZN2at6native12_GLOBAL__N_135GammaBetaBackwardCUDAKernelTemplateIddLj32ELj8ELj64ELb0ELb1ELb1EEEvllPKT_S5_PKT0_S8_PS3_S9_
	.p2align	8
	.type	_ZN2at6native12_GLOBAL__N_135GammaBetaBackwardCUDAKernelTemplateIddLj32ELj8ELj64ELb0ELb1ELb1EEEvllPKT_S5_PKT0_S8_PS3_S9_,@function
_ZN2at6native12_GLOBAL__N_135GammaBetaBackwardCUDAKernelTemplateIddLj32ELj8ELj64ELb0ELb1ELb1EEEvllPKT_S5_PKT0_S8_PS3_S9_: ; @_ZN2at6native12_GLOBAL__N_135GammaBetaBackwardCUDAKernelTemplateIddLj32ELj8ELj64ELb0ELb1ELb1EEEvllPKT_S5_PKT0_S8_PS3_S9_
; %bb.0:
	s_load_dwordx4 s[8:11], s[4:5], 0x0
	s_lshl_b32 s18, s7, 6
	s_mov_b32 s19, 0
	v_mov_b32_e32 v2, s18
	v_mov_b32_e32 v3, s19
	s_waitcnt lgkmcnt(0)
	v_cmp_gt_i64_e32 vcc, s[8:9], v[2:3]
	s_cbranch_vccnz .LBB133_2
; %bb.1:
	s_mov_b64 s[0:1], 0
	s_branch .LBB133_3
.LBB133_2:
	s_mov_b64 s[0:1], -1
.LBB133_3:
	s_load_dwordx2 s[16:17], s[4:5], 0x30
	v_mov_b32_e32 v8, 0
	v_mov_b32_e32 v9, 0
	s_andn2_b64 vcc, exec, s[0:1]
	v_mbcnt_lo_u32_b32 v10, -1, 0
	s_cbranch_vccnz .LBB133_10
; %bb.4:
	s_load_dword s0, s[4:5], 0x4c
	s_load_dword s7, s[4:5], 0x44
	s_load_dwordx4 s[12:15], s[4:5], 0x10
	s_load_dwordx2 s[2:3], s[4:5], 0x28
	v_lshlrev_b32_e32 v2, 3, v1
	s_waitcnt lgkmcnt(0)
	s_and_b32 s0, s0, 0xffff
	v_mad_u32_u24 v3, v1, s0, v0
	v_and_b32_e32 v3, 63, v3
	v_add_co_u32_e32 v8, vcc, s18, v2
	v_mbcnt_hi_u32_b32 v4, -1, v10
	v_addc_co_u32_e64 v9, s[4:5], 0, 0, vcc
	v_add_co_u32_e32 v2, vcc, v8, v3
	v_cmp_gt_u32_e64 s[0:1], 8, v3
	v_lshlrev_b32_e32 v4, 2, v4
	v_addc_co_u32_e32 v3, vcc, 0, v9, vcc
	v_and_b32_e32 v11, 0x100, v4
	v_lshlrev_b64 v[4:5], 3, v[2:3]
	v_mov_b32_e32 v15, s3
	v_add_co_u32_e32 v4, vcc, s2, v4
	v_mul_lo_u32 v18, s11, v8
	v_mul_lo_u32 v19, s10, v9
	v_mad_u64_u32 v[8:9], s[2:3], s10, v8, 0
	v_mov_b32_e32 v7, 0
	v_lshl_add_u32 v6, s6, 5, v0
	v_add3_u32 v9, v9, v19, v18
	v_lshlrev_b64 v[8:9], 3, v[8:9]
	v_lshlrev_b64 v[6:7], 3, v[6:7]
	v_addc_co_u32_e32 v5, vcc, v15, v5, vcc
	s_lshl_b32 s20, s7, 6
	v_add_co_u32_e32 v19, vcc, v8, v6
	s_mul_i32 s2, s11, s20
	s_mul_hi_u32 s3, s10, s20
	s_mov_b32 s21, 0
	v_addc_co_u32_e32 v20, vcc, v9, v7, vcc
	s_add_i32 s3, s3, s2
	s_mul_i32 s2, s10, s20
	v_mov_b32_e32 v8, 0
	v_or_b32_e32 v12, 4, v11
	v_or_b32_e32 v13, 8, v11
	;; [unrolled: 1-line block ×7, first 2 shown]
	s_lshl_b64 s[22:23], s[20:21], 3
	s_lshl_b64 s[24:25], s[2:3], 3
	v_mov_b32_e32 v9, 0
	s_lshl_b64 s[10:11], s[10:11], 3
	s_branch .LBB133_7
.LBB133_5:                              ;   in Loop: Header=BB133_7 Depth=1
	s_or_b64 exec, exec, s[4:5]
.LBB133_6:                              ;   in Loop: Header=BB133_7 Depth=1
	s_or_b64 exec, exec, s[2:3]
	v_mov_b32_e32 v22, s13
	v_add_co_u32_e32 v21, vcc, s12, v19
	v_addc_co_u32_e32 v22, vcc, v22, v20, vcc
	v_mov_b32_e32 v24, s15
	v_add_co_u32_e32 v23, vcc, s14, v19
	v_addc_co_u32_e32 v24, vcc, v24, v20, vcc
	global_load_dwordx2 v[25:26], v[21:22], off
	global_load_dwordx2 v[27:28], v[23:24], off
	v_mov_b32_e32 v29, s11
	v_add_co_u32_e32 v21, vcc, s10, v21
	v_addc_co_u32_e32 v22, vcc, v22, v29, vcc
	v_add_co_u32_e32 v23, vcc, s10, v23
	v_addc_co_u32_e32 v24, vcc, v24, v29, vcc
	s_add_u32 s18, s18, s20
	s_addc_u32 s19, s19, 0
	v_add_co_u32_e64 v2, s[2:3], s20, v2
	v_add_co_u32_e64 v4, s[4:5], s22, v4
	v_addc_co_u32_e64 v3, s[2:3], 0, v3, s[2:3]
	s_waitcnt vmcnt(0)
	v_mul_f64 v[25:26], v[25:26], v[27:28]
	ds_bpermute_b32 v27, v11, v6
	ds_bpermute_b32 v28, v11, v7
	s_waitcnt lgkmcnt(0)
	v_fma_f64 v[8:9], v[25:26], v[27:28], v[8:9]
	global_load_dwordx2 v[25:26], v[21:22], off
	global_load_dwordx2 v[27:28], v[23:24], off
	v_add_co_u32_e32 v21, vcc, s10, v21
	v_addc_co_u32_e32 v22, vcc, v22, v29, vcc
	v_add_co_u32_e32 v23, vcc, s10, v23
	v_addc_co_u32_e32 v24, vcc, v24, v29, vcc
	s_waitcnt vmcnt(0)
	v_mul_f64 v[25:26], v[25:26], v[27:28]
	ds_bpermute_b32 v27, v12, v6
	ds_bpermute_b32 v28, v12, v7
	s_waitcnt lgkmcnt(0)
	v_fma_f64 v[8:9], v[25:26], v[27:28], v[8:9]
	global_load_dwordx2 v[25:26], v[21:22], off
	global_load_dwordx2 v[27:28], v[23:24], off
	v_add_co_u32_e32 v21, vcc, s10, v21
	v_addc_co_u32_e32 v22, vcc, v22, v29, vcc
	v_add_co_u32_e32 v23, vcc, s10, v23
	v_addc_co_u32_e32 v24, vcc, v24, v29, vcc
	;; [unrolled: 12-line block ×6, first 2 shown]
	s_waitcnt vmcnt(0)
	v_mul_f64 v[25:26], v[25:26], v[27:28]
	ds_bpermute_b32 v27, v17, v6
	ds_bpermute_b32 v28, v17, v7
	;; [unrolled: 1-line block ×4, first 2 shown]
	s_waitcnt lgkmcnt(2)
	v_fma_f64 v[8:9], v[25:26], v[27:28], v[8:9]
	global_load_dwordx2 v[25:26], v[21:22], off
	global_load_dwordx2 v[27:28], v[23:24], off
	s_waitcnt vmcnt(0)
	v_mul_f64 v[21:22], v[25:26], v[27:28]
	s_waitcnt lgkmcnt(0)
	v_fma_f64 v[8:9], v[21:22], v[6:7], v[8:9]
	v_mov_b32_e32 v6, s8
	v_mov_b32_e32 v7, s9
	v_cmp_lt_i64_e32 vcc, s[18:19], v[6:7]
	v_mov_b32_e32 v6, s23
	v_addc_co_u32_e64 v5, s[2:3], v5, v6, s[4:5]
	v_mov_b32_e32 v6, s25
	v_add_co_u32_e64 v19, s[2:3], s24, v19
	v_addc_co_u32_e64 v20, s[2:3], v20, v6, s[2:3]
	s_cbranch_vccz .LBB133_10
.LBB133_7:                              ; =>This Inner Loop Header: Depth=1
	v_mov_b32_e32 v6, 0
	v_mov_b32_e32 v7, 0
	s_and_saveexec_b64 s[2:3], s[0:1]
	s_cbranch_execz .LBB133_6
; %bb.8:                                ;   in Loop: Header=BB133_7 Depth=1
	v_cmp_gt_i64_e32 vcc, s[8:9], v[2:3]
	v_mov_b32_e32 v6, 0
	v_mov_b32_e32 v7, 0
	s_and_saveexec_b64 s[4:5], vcc
	s_cbranch_execz .LBB133_5
; %bb.9:                                ;   in Loop: Header=BB133_7 Depth=1
	global_load_dwordx2 v[6:7], v[4:5], off
	s_branch .LBB133_5
.LBB133_10:
	v_mad_u32_u24 v4, v1, 33, v0
	v_mov_b32_e32 v2, 0
	v_lshl_add_u32 v5, v4, 3, 0
	v_mov_b32_e32 v3, v2
	ds_write_b64 v5, v[8:9]
	ds_write_b64 v5, v[2:3] offset:2112
	v_sub_u32_e32 v5, v4, v1
	s_movk_i32 s0, 0x800
	v_cmp_gt_u32_e32 vcc, s0, v5
	s_waitcnt lgkmcnt(0)
	s_barrier
	s_and_saveexec_b64 s[0:1], vcc
	s_cbranch_execz .LBB133_50
; %bb.11:
	v_lshrrev_b32_e32 v1, 6, v5
	v_and_b32_e32 v2, 63, v5
	v_cmp_gt_u32_e32 vcc, 8, v2
	v_mul_u32_u24_e32 v3, 33, v2
	v_lshlrev_b32_e32 v4, 3, v1
                                        ; implicit-def: $vgpr1_vgpr2
	s_and_saveexec_b64 s[0:1], vcc
; %bb.12:
	v_lshlrev_b32_e32 v1, 3, v3
	v_add3_u32 v1, 0, v4, v1
	ds_read_b64 v[1:2], v1
; %bb.13:
	s_or_b64 exec, exec, s[0:1]
	v_mbcnt_hi_u32_b32 v10, -1, v10
	v_and_b32_e32 v6, 64, v10
	v_add_u32_e32 v11, 64, v6
	v_xor_b32_e32 v6, 4, v10
	v_cmp_lt_i32_e64 s[0:1], v6, v11
	v_cndmask_b32_e64 v6, v10, v6, s[0:1]
	v_lshlrev_b32_e32 v6, 2, v6
	s_waitcnt lgkmcnt(0)
	ds_bpermute_b32 v7, v6, v1
	ds_bpermute_b32 v8, v6, v2
	s_cmp_lg_u64 s[16:17], 0
	s_mov_b32 s7, 0
	s_cselect_b64 s[2:3], -1, 0
	s_waitcnt lgkmcnt(0)
	v_add_f64 v[1:2], v[1:2], v[7:8]
	v_xor_b32_e32 v7, 2, v10
	v_cmp_lt_i32_e64 s[0:1], v7, v11
	v_cndmask_b32_e64 v7, v10, v7, s[0:1]
	v_lshlrev_b32_e32 v7, 2, v7
	ds_bpermute_b32 v8, v7, v1
	ds_bpermute_b32 v9, v7, v2
	s_waitcnt lgkmcnt(0)
	v_add_f64 v[1:2], v[1:2], v[8:9]
	v_xor_b32_e32 v8, 1, v10
	v_cmp_lt_i32_e64 s[0:1], v8, v11
	v_cndmask_b32_e64 v8, v10, v8, s[0:1]
	v_lshlrev_b32_e32 v8, 2, v8
	v_cmp_eq_u32_e64 s[0:1], 0, v0
	s_and_b64 s[4:5], s[0:1], s[2:3]
	s_lshl_b64 s[0:1], s[6:7], 8
	ds_bpermute_b32 v9, v8, v1
	ds_bpermute_b32 v10, v8, v2
	s_add_u32 s2, s16, s0
	s_addc_u32 s3, s17, s1
	s_waitcnt lgkmcnt(0)
	v_add_f64 v[1:2], v[1:2], v[9:10]
	s_and_saveexec_b64 s[0:1], s[4:5]
	s_cbranch_execz .LBB133_15
; %bb.14:
	global_store_dwordx2 v4, v[1:2], s[2:3]
.LBB133_15:
	s_or_b64 exec, exec, s[0:1]
	s_movk_i32 s0, 0x700
	v_cmp_gt_u32_e64 s[0:1], s0, v5
	s_and_b64 exec, exec, s[0:1]
	s_cbranch_execz .LBB133_50
; %bb.16:
	s_and_saveexec_b64 s[0:1], vcc
; %bb.17:
	v_lshlrev_b32_e32 v0, 3, v3
	v_add3_u32 v0, 0, v4, v0
	ds_read_b64 v[1:2], v0 offset:32
; %bb.18:
	s_or_b64 exec, exec, s[0:1]
	s_waitcnt lgkmcnt(0)
	ds_bpermute_b32 v9, v6, v1
	ds_bpermute_b32 v10, v6, v2
	s_waitcnt lgkmcnt(0)
	v_add_f64 v[0:1], v[1:2], v[9:10]
	ds_bpermute_b32 v9, v7, v0
	ds_bpermute_b32 v10, v7, v1
	s_waitcnt lgkmcnt(0)
	v_add_f64 v[0:1], v[0:1], v[9:10]
	ds_bpermute_b32 v9, v8, v0
	ds_bpermute_b32 v10, v8, v1
	s_waitcnt lgkmcnt(0)
	v_add_f64 v[0:1], v[0:1], v[9:10]
	s_and_saveexec_b64 s[0:1], s[4:5]
	s_cbranch_execz .LBB133_20
; %bb.19:
	global_store_dwordx2 v4, v[0:1], s[2:3] offset:32
.LBB133_20:
	s_or_b64 exec, exec, s[0:1]
	s_movk_i32 s0, 0x600
	v_cmp_gt_u32_e64 s[0:1], s0, v5
	s_and_b64 exec, exec, s[0:1]
	s_cbranch_execz .LBB133_50
; %bb.21:
	s_and_saveexec_b64 s[0:1], vcc
; %bb.22:
	v_lshlrev_b32_e32 v0, 3, v3
	v_add3_u32 v0, 0, v4, v0
	ds_read_b64 v[0:1], v0 offset:64
; %bb.23:
	s_or_b64 exec, exec, s[0:1]
	s_waitcnt lgkmcnt(0)
	ds_bpermute_b32 v9, v6, v0
	ds_bpermute_b32 v10, v6, v1
	s_waitcnt lgkmcnt(0)
	v_add_f64 v[0:1], v[0:1], v[9:10]
	ds_bpermute_b32 v9, v7, v0
	ds_bpermute_b32 v10, v7, v1
	s_waitcnt lgkmcnt(0)
	v_add_f64 v[0:1], v[0:1], v[9:10]
	ds_bpermute_b32 v9, v8, v0
	ds_bpermute_b32 v10, v8, v1
	s_waitcnt lgkmcnt(0)
	v_add_f64 v[0:1], v[0:1], v[9:10]
	s_and_saveexec_b64 s[0:1], s[4:5]
	s_cbranch_execz .LBB133_25
; %bb.24:
	global_store_dwordx2 v4, v[0:1], s[2:3] offset:64
.LBB133_25:
	s_or_b64 exec, exec, s[0:1]
	s_movk_i32 s0, 0x500
	v_cmp_gt_u32_e64 s[0:1], s0, v5
	s_and_b64 exec, exec, s[0:1]
	s_cbranch_execz .LBB133_50
; %bb.26:
	s_and_saveexec_b64 s[0:1], vcc
; %bb.27:
	v_lshlrev_b32_e32 v0, 3, v3
	v_add3_u32 v0, 0, v4, v0
	ds_read_b64 v[0:1], v0 offset:96
; %bb.28:
	s_or_b64 exec, exec, s[0:1]
	s_waitcnt lgkmcnt(0)
	ds_bpermute_b32 v9, v6, v0
	ds_bpermute_b32 v10, v6, v1
	s_waitcnt lgkmcnt(0)
	v_add_f64 v[0:1], v[0:1], v[9:10]
	ds_bpermute_b32 v9, v7, v0
	ds_bpermute_b32 v10, v7, v1
	s_waitcnt lgkmcnt(0)
	v_add_f64 v[0:1], v[0:1], v[9:10]
	ds_bpermute_b32 v9, v8, v0
	ds_bpermute_b32 v10, v8, v1
	s_waitcnt lgkmcnt(0)
	v_add_f64 v[0:1], v[0:1], v[9:10]
	s_and_saveexec_b64 s[0:1], s[4:5]
	s_cbranch_execz .LBB133_30
; %bb.29:
	global_store_dwordx2 v4, v[0:1], s[2:3] offset:96
.LBB133_30:
	s_or_b64 exec, exec, s[0:1]
	s_movk_i32 s0, 0x400
	v_cmp_gt_u32_e64 s[0:1], s0, v5
	s_and_b64 exec, exec, s[0:1]
	s_cbranch_execz .LBB133_50
; %bb.31:
	s_and_saveexec_b64 s[0:1], vcc
; %bb.32:
	v_lshlrev_b32_e32 v0, 3, v3
	v_add3_u32 v0, 0, v4, v0
	ds_read_b64 v[0:1], v0 offset:128
; %bb.33:
	s_or_b64 exec, exec, s[0:1]
	s_waitcnt lgkmcnt(0)
	ds_bpermute_b32 v9, v6, v0
	ds_bpermute_b32 v10, v6, v1
	s_waitcnt lgkmcnt(0)
	v_add_f64 v[0:1], v[0:1], v[9:10]
	ds_bpermute_b32 v9, v7, v0
	ds_bpermute_b32 v10, v7, v1
	s_waitcnt lgkmcnt(0)
	v_add_f64 v[0:1], v[0:1], v[9:10]
	ds_bpermute_b32 v9, v8, v0
	ds_bpermute_b32 v10, v8, v1
	s_waitcnt lgkmcnt(0)
	v_add_f64 v[0:1], v[0:1], v[9:10]
	s_and_saveexec_b64 s[0:1], s[4:5]
	s_cbranch_execz .LBB133_35
; %bb.34:
	global_store_dwordx2 v4, v[0:1], s[2:3] offset:128
.LBB133_35:
	s_or_b64 exec, exec, s[0:1]
	s_movk_i32 s0, 0x300
	v_cmp_gt_u32_e64 s[0:1], s0, v5
	s_and_b64 exec, exec, s[0:1]
	s_cbranch_execz .LBB133_50
; %bb.36:
	s_and_saveexec_b64 s[0:1], vcc
; %bb.37:
	v_lshlrev_b32_e32 v0, 3, v3
	v_add3_u32 v0, 0, v4, v0
	ds_read_b64 v[0:1], v0 offset:160
; %bb.38:
	s_or_b64 exec, exec, s[0:1]
	s_waitcnt lgkmcnt(0)
	ds_bpermute_b32 v9, v6, v0
	ds_bpermute_b32 v10, v6, v1
	s_waitcnt lgkmcnt(0)
	v_add_f64 v[0:1], v[0:1], v[9:10]
	ds_bpermute_b32 v9, v7, v0
	ds_bpermute_b32 v10, v7, v1
	s_waitcnt lgkmcnt(0)
	v_add_f64 v[0:1], v[0:1], v[9:10]
	ds_bpermute_b32 v9, v8, v0
	ds_bpermute_b32 v10, v8, v1
	s_waitcnt lgkmcnt(0)
	v_add_f64 v[0:1], v[0:1], v[9:10]
	s_and_saveexec_b64 s[0:1], s[4:5]
	s_cbranch_execz .LBB133_40
; %bb.39:
	global_store_dwordx2 v4, v[0:1], s[2:3] offset:160
.LBB133_40:
	s_or_b64 exec, exec, s[0:1]
	s_movk_i32 s0, 0x200
	v_cmp_gt_u32_e64 s[0:1], s0, v5
	s_and_b64 exec, exec, s[0:1]
	s_cbranch_execz .LBB133_50
; %bb.41:
	s_and_saveexec_b64 s[0:1], vcc
; %bb.42:
	v_lshlrev_b32_e32 v0, 3, v3
	v_add3_u32 v0, 0, v4, v0
	ds_read_b64 v[0:1], v0 offset:192
; %bb.43:
	s_or_b64 exec, exec, s[0:1]
	s_waitcnt lgkmcnt(0)
	ds_bpermute_b32 v9, v6, v0
	ds_bpermute_b32 v10, v6, v1
	s_waitcnt lgkmcnt(0)
	v_add_f64 v[0:1], v[0:1], v[9:10]
	ds_bpermute_b32 v9, v7, v0
	ds_bpermute_b32 v10, v7, v1
	s_waitcnt lgkmcnt(0)
	v_add_f64 v[0:1], v[0:1], v[9:10]
	ds_bpermute_b32 v9, v8, v0
	ds_bpermute_b32 v10, v8, v1
	s_waitcnt lgkmcnt(0)
	v_add_f64 v[0:1], v[0:1], v[9:10]
	s_and_saveexec_b64 s[0:1], s[4:5]
	s_cbranch_execz .LBB133_45
; %bb.44:
	global_store_dwordx2 v4, v[0:1], s[2:3] offset:192
.LBB133_45:
	s_or_b64 exec, exec, s[0:1]
	s_movk_i32 s0, 0x100
	v_cmp_gt_u32_e64 s[0:1], s0, v5
	s_and_b64 exec, exec, s[0:1]
	s_cbranch_execz .LBB133_50
; %bb.46:
	s_and_saveexec_b64 s[0:1], vcc
; %bb.47:
	v_lshlrev_b32_e32 v0, 3, v3
	v_add3_u32 v0, 0, v4, v0
	ds_read_b64 v[0:1], v0 offset:224
; %bb.48:
	s_or_b64 exec, exec, s[0:1]
	s_waitcnt lgkmcnt(0)
	ds_bpermute_b32 v2, v6, v0
	ds_bpermute_b32 v3, v6, v1
	s_waitcnt lgkmcnt(0)
	v_add_f64 v[0:1], v[0:1], v[2:3]
	ds_bpermute_b32 v2, v7, v0
	ds_bpermute_b32 v3, v7, v1
	s_waitcnt lgkmcnt(0)
	v_add_f64 v[0:1], v[0:1], v[2:3]
	ds_bpermute_b32 v2, v8, v0
	ds_bpermute_b32 v3, v8, v1
	s_and_saveexec_b64 s[0:1], s[4:5]
	s_xor_b64 s[0:1], exec, s[0:1]
	s_cbranch_execz .LBB133_50
; %bb.49:
	s_waitcnt lgkmcnt(0)
	v_add_f64 v[0:1], v[0:1], v[2:3]
	global_store_dwordx2 v4, v[0:1], s[2:3] offset:224
.LBB133_50:
	s_endpgm
	.section	.rodata,"a",@progbits
	.p2align	6, 0x0
	.amdhsa_kernel _ZN2at6native12_GLOBAL__N_135GammaBetaBackwardCUDAKernelTemplateIddLj32ELj8ELj64ELb0ELb1ELb1EEEvllPKT_S5_PKT0_S8_PS3_S9_
		.amdhsa_group_segment_fixed_size 0
		.amdhsa_private_segment_fixed_size 0
		.amdhsa_kernarg_size 320
		.amdhsa_user_sgpr_count 6
		.amdhsa_user_sgpr_private_segment_buffer 1
		.amdhsa_user_sgpr_dispatch_ptr 0
		.amdhsa_user_sgpr_queue_ptr 0
		.amdhsa_user_sgpr_kernarg_segment_ptr 1
		.amdhsa_user_sgpr_dispatch_id 0
		.amdhsa_user_sgpr_flat_scratch_init 0
		.amdhsa_user_sgpr_private_segment_size 0
		.amdhsa_uses_dynamic_stack 0
		.amdhsa_system_sgpr_private_segment_wavefront_offset 0
		.amdhsa_system_sgpr_workgroup_id_x 1
		.amdhsa_system_sgpr_workgroup_id_y 1
		.amdhsa_system_sgpr_workgroup_id_z 0
		.amdhsa_system_sgpr_workgroup_info 0
		.amdhsa_system_vgpr_workitem_id 1
		.amdhsa_next_free_vgpr 30
		.amdhsa_next_free_sgpr 26
		.amdhsa_reserve_vcc 1
		.amdhsa_reserve_flat_scratch 0
		.amdhsa_float_round_mode_32 0
		.amdhsa_float_round_mode_16_64 0
		.amdhsa_float_denorm_mode_32 3
		.amdhsa_float_denorm_mode_16_64 3
		.amdhsa_dx10_clamp 1
		.amdhsa_ieee_mode 1
		.amdhsa_fp16_overflow 0
		.amdhsa_exception_fp_ieee_invalid_op 0
		.amdhsa_exception_fp_denorm_src 0
		.amdhsa_exception_fp_ieee_div_zero 0
		.amdhsa_exception_fp_ieee_overflow 0
		.amdhsa_exception_fp_ieee_underflow 0
		.amdhsa_exception_fp_ieee_inexact 0
		.amdhsa_exception_int_div_zero 0
	.end_amdhsa_kernel
	.section	.text._ZN2at6native12_GLOBAL__N_135GammaBetaBackwardCUDAKernelTemplateIddLj32ELj8ELj64ELb0ELb1ELb1EEEvllPKT_S5_PKT0_S8_PS3_S9_,"axG",@progbits,_ZN2at6native12_GLOBAL__N_135GammaBetaBackwardCUDAKernelTemplateIddLj32ELj8ELj64ELb0ELb1ELb1EEEvllPKT_S5_PKT0_S8_PS3_S9_,comdat
.Lfunc_end133:
	.size	_ZN2at6native12_GLOBAL__N_135GammaBetaBackwardCUDAKernelTemplateIddLj32ELj8ELj64ELb0ELb1ELb1EEEvllPKT_S5_PKT0_S8_PS3_S9_, .Lfunc_end133-_ZN2at6native12_GLOBAL__N_135GammaBetaBackwardCUDAKernelTemplateIddLj32ELj8ELj64ELb0ELb1ELb1EEEvllPKT_S5_PKT0_S8_PS3_S9_
                                        ; -- End function
	.set _ZN2at6native12_GLOBAL__N_135GammaBetaBackwardCUDAKernelTemplateIddLj32ELj8ELj64ELb0ELb1ELb1EEEvllPKT_S5_PKT0_S8_PS3_S9_.num_vgpr, 30
	.set _ZN2at6native12_GLOBAL__N_135GammaBetaBackwardCUDAKernelTemplateIddLj32ELj8ELj64ELb0ELb1ELb1EEEvllPKT_S5_PKT0_S8_PS3_S9_.num_agpr, 0
	.set _ZN2at6native12_GLOBAL__N_135GammaBetaBackwardCUDAKernelTemplateIddLj32ELj8ELj64ELb0ELb1ELb1EEEvllPKT_S5_PKT0_S8_PS3_S9_.numbered_sgpr, 26
	.set _ZN2at6native12_GLOBAL__N_135GammaBetaBackwardCUDAKernelTemplateIddLj32ELj8ELj64ELb0ELb1ELb1EEEvllPKT_S5_PKT0_S8_PS3_S9_.num_named_barrier, 0
	.set _ZN2at6native12_GLOBAL__N_135GammaBetaBackwardCUDAKernelTemplateIddLj32ELj8ELj64ELb0ELb1ELb1EEEvllPKT_S5_PKT0_S8_PS3_S9_.private_seg_size, 0
	.set _ZN2at6native12_GLOBAL__N_135GammaBetaBackwardCUDAKernelTemplateIddLj32ELj8ELj64ELb0ELb1ELb1EEEvllPKT_S5_PKT0_S8_PS3_S9_.uses_vcc, 1
	.set _ZN2at6native12_GLOBAL__N_135GammaBetaBackwardCUDAKernelTemplateIddLj32ELj8ELj64ELb0ELb1ELb1EEEvllPKT_S5_PKT0_S8_PS3_S9_.uses_flat_scratch, 0
	.set _ZN2at6native12_GLOBAL__N_135GammaBetaBackwardCUDAKernelTemplateIddLj32ELj8ELj64ELb0ELb1ELb1EEEvllPKT_S5_PKT0_S8_PS3_S9_.has_dyn_sized_stack, 0
	.set _ZN2at6native12_GLOBAL__N_135GammaBetaBackwardCUDAKernelTemplateIddLj32ELj8ELj64ELb0ELb1ELb1EEEvllPKT_S5_PKT0_S8_PS3_S9_.has_recursion, 0
	.set _ZN2at6native12_GLOBAL__N_135GammaBetaBackwardCUDAKernelTemplateIddLj32ELj8ELj64ELb0ELb1ELb1EEEvllPKT_S5_PKT0_S8_PS3_S9_.has_indirect_call, 0
	.section	.AMDGPU.csdata,"",@progbits
; Kernel info:
; codeLenInByte = 2520
; TotalNumSgprs: 30
; NumVgprs: 30
; ScratchSize: 0
; MemoryBound: 0
; FloatMode: 240
; IeeeMode: 1
; LDSByteSize: 0 bytes/workgroup (compile time only)
; SGPRBlocks: 3
; VGPRBlocks: 7
; NumSGPRsForWavesPerEU: 30
; NumVGPRsForWavesPerEU: 30
; Occupancy: 8
; WaveLimiterHint : 0
; COMPUTE_PGM_RSRC2:SCRATCH_EN: 0
; COMPUTE_PGM_RSRC2:USER_SGPR: 6
; COMPUTE_PGM_RSRC2:TRAP_HANDLER: 0
; COMPUTE_PGM_RSRC2:TGID_X_EN: 1
; COMPUTE_PGM_RSRC2:TGID_Y_EN: 1
; COMPUTE_PGM_RSRC2:TGID_Z_EN: 0
; COMPUTE_PGM_RSRC2:TIDIG_COMP_CNT: 1
	.section	.text._ZN2at6native12_GLOBAL__N_135GammaBetaBackwardCUDAKernelTemplateIddLj32ELj8ELj64ELb0ELb0ELb1EEEvllPKT_S5_PKT0_S8_PS3_S9_,"axG",@progbits,_ZN2at6native12_GLOBAL__N_135GammaBetaBackwardCUDAKernelTemplateIddLj32ELj8ELj64ELb0ELb0ELb1EEEvllPKT_S5_PKT0_S8_PS3_S9_,comdat
	.globl	_ZN2at6native12_GLOBAL__N_135GammaBetaBackwardCUDAKernelTemplateIddLj32ELj8ELj64ELb0ELb0ELb1EEEvllPKT_S5_PKT0_S8_PS3_S9_ ; -- Begin function _ZN2at6native12_GLOBAL__N_135GammaBetaBackwardCUDAKernelTemplateIddLj32ELj8ELj64ELb0ELb0ELb1EEEvllPKT_S5_PKT0_S8_PS3_S9_
	.p2align	8
	.type	_ZN2at6native12_GLOBAL__N_135GammaBetaBackwardCUDAKernelTemplateIddLj32ELj8ELj64ELb0ELb0ELb1EEEvllPKT_S5_PKT0_S8_PS3_S9_,@function
_ZN2at6native12_GLOBAL__N_135GammaBetaBackwardCUDAKernelTemplateIddLj32ELj8ELj64ELb0ELb0ELb1EEEvllPKT_S5_PKT0_S8_PS3_S9_: ; @_ZN2at6native12_GLOBAL__N_135GammaBetaBackwardCUDAKernelTemplateIddLj32ELj8ELj64ELb0ELb0ELb1EEEvllPKT_S5_PKT0_S8_PS3_S9_
; %bb.0:
	s_load_dwordx8 s[12:19], s[4:5], 0x0
	s_load_dwordx2 s[10:11], s[4:5], 0x28
	s_lshl_b32 s33, s6, 5
	s_or_b32 s0, s33, 31
	v_mov_b32_e32 v2, s0
	v_mov_b32_e32 v3, 0
	s_lshl_b32 s20, s7, 6
	s_mov_b32 s21, 0
	s_waitcnt lgkmcnt(0)
	v_cmp_le_i64_e32 vcc, s[14:15], v[2:3]
	v_mov_b32_e32 v2, s20
	v_mov_b32_e32 v3, s21
	v_cmp_gt_i64_e64 s[0:1], s[12:13], v[2:3]
	v_cndmask_b32_e64 v2, 0, 1, s[0:1]
	v_cmp_ne_u32_e64 s[0:1], 1, v2
	s_cbranch_vccz .LBB134_48
; %bb.1:
	v_mov_b32_e32 v21, 0
	v_mov_b32_e32 v22, 0
	s_and_b64 vcc, exec, s[0:1]
	s_cbranch_vccnz .LBB134_49
; %bb.2:
	v_lshlrev_b32_e32 v41, 3, v1
	v_add_co_u32_e32 v9, vcc, s20, v41
	v_addc_co_u32_e64 v10, s[2:3], 0, 0, vcc
	v_mul_lo_u32 v7, s15, v9
	v_mul_lo_u32 v8, s14, v10
	v_mad_u64_u32 v[5:6], s[2:3], s14, v9, 0
	v_mov_b32_e32 v2, 0
	s_load_dword s7, s[4:5], 0x44
	v_add_u32_e32 v3, s33, v0
	v_mov_b32_e32 v4, v2
	v_add3_u32 v6, v6, v8, v7
	v_cmp_gt_i64_e64 s[2:3], s[14:15], v[3:4]
	v_lshlrev_b64 v[19:20], 3, v[3:4]
	v_lshlrev_b64 v[3:4], 3, v[5:6]
	s_add_u32 s22, s4, 64
	v_mov_b32_e32 v7, s17
	v_add_co_u32_e32 v42, vcc, s16, v3
	s_addc_u32 s23, s5, 0
	s_waitcnt lgkmcnt(0)
	s_lshl_b32 s7, s7, 6
	v_addc_co_u32_e32 v43, vcc, v7, v4, vcc
	s_mul_i32 s8, s15, s7
	s_mul_hi_u32 s9, s14, s7
	v_add_co_u32_e32 v7, vcc, 7, v9
	s_add_i32 s9, s9, s8
	s_mul_i32 s8, s14, s7
	v_addc_co_u32_e32 v8, vcc, 0, v10, vcc
	s_lshl_b64 s[24:25], s[8:9], 3
	v_mul_lo_u32 v12, s15, v7
	v_mul_lo_u32 v13, s14, v8
	v_mad_u64_u32 v[7:8], s[8:9], s14, v7, 0
	v_mov_b32_e32 v11, s19
	v_add_co_u32_e32 v44, vcc, s18, v3
	v_add3_u32 v8, v8, v13, v12
	v_addc_co_u32_e32 v45, vcc, v11, v4, vcc
	v_lshlrev_b64 v[3:4], 3, v[7:8]
	v_mov_b32_e32 v7, s17
	v_add_co_u32_e32 v46, vcc, s16, v3
	v_addc_co_u32_e32 v47, vcc, v7, v4, vcc
	v_add_co_u32_e32 v7, vcc, 6, v9
	v_addc_co_u32_e32 v8, vcc, 0, v10, vcc
	v_mul_lo_u32 v12, s15, v7
	v_mul_lo_u32 v13, s14, v8
	v_mad_u64_u32 v[7:8], s[8:9], s14, v7, 0
	v_add_co_u32_e32 v48, vcc, s18, v3
	v_add3_u32 v8, v8, v13, v12
	v_addc_co_u32_e32 v49, vcc, v11, v4, vcc
	v_lshlrev_b64 v[3:4], 3, v[7:8]
	v_mov_b32_e32 v7, s17
	v_add_co_u32_e32 v50, vcc, s16, v3
	v_addc_co_u32_e32 v51, vcc, v7, v4, vcc
	v_add_co_u32_e32 v7, vcc, 5, v9
	v_addc_co_u32_e32 v8, vcc, 0, v10, vcc
	v_mul_lo_u32 v12, s15, v7
	v_mul_lo_u32 v13, s14, v8
	v_mad_u64_u32 v[7:8], s[8:9], s14, v7, 0
	;; [unrolled: 12-line block ×5, first 2 shown]
	v_add_co_u32_e32 v64, vcc, s18, v3
	v_add3_u32 v8, v8, v10, v9
	v_addc_co_u32_e32 v65, vcc, v11, v4, vcc
	v_lshlrev_b64 v[3:4], 3, v[7:8]
	v_mov_b32_e32 v7, s17
	v_add_co_u32_e32 v66, vcc, s16, v3
	v_addc_co_u32_e32 v67, vcc, v7, v4, vcc
	v_mov_b32_e32 v7, s19
	v_add_co_u32_e32 v68, vcc, s18, v3
	v_addc_co_u32_e32 v69, vcc, v7, v4, vcc
	;; [unrolled: 3-line block ×3, first 2 shown]
	v_lshlrev_b64 v[3:4], 3, v[3:4]
	v_mov_b32_e32 v5, s17
	v_add_co_u32_e32 v70, vcc, s16, v3
	v_addc_co_u32_e32 v71, vcc, v5, v4, vcc
	v_add_co_u32_e32 v72, vcc, s18, v3
	v_mbcnt_lo_u32_b32 v3, -1, 0
	v_mbcnt_hi_u32_b32 v3, -1, v3
	v_mov_b32_e32 v5, s19
	s_add_u32 s26, s20, 63
	v_mov_b32_e32 v21, 0
	v_lshlrev_b32_e32 v3, 2, v3
	v_addc_co_u32_e32 v73, vcc, v5, v4, vcc
	s_addc_u32 s27, 0, 0
	v_mov_b32_e32 v22, 0
	v_and_b32_e32 v74, 0x100, v3
	s_mov_b64 s[28:29], s[20:21]
	s_branch .LBB134_5
.LBB134_3:                              ;   in Loop: Header=BB134_5 Depth=1
	s_or_b64 exec, exec, s[8:9]
	s_waitcnt vmcnt(0)
	v_mul_f64 v[3:4], v[25:26], v[3:4]
	ds_bpermute_b32 v25, v74, v23
	ds_bpermute_b32 v26, v74, v24
	v_mul_f64 v[5:6], v[29:30], v[5:6]
	v_mul_f64 v[7:8], v[27:28], v[7:8]
	;; [unrolled: 1-line block ×3, first 2 shown]
	s_waitcnt lgkmcnt(0)
	v_fma_f64 v[3:4], v[3:4], v[25:26], v[21:22]
	ds_bpermute_b32 v21, v74, v23 offset:4
	ds_bpermute_b32 v22, v74, v24 offset:4
	s_waitcnt lgkmcnt(0)
	v_fma_f64 v[3:4], v[5:6], v[21:22], v[3:4]
	ds_bpermute_b32 v5, v74, v23 offset:8
	ds_bpermute_b32 v6, v74, v24 offset:8
	;; [unrolled: 4-line block ×3, first 2 shown]
	v_mul_f64 v[7:8], v[33:34], v[11:12]
	s_waitcnt lgkmcnt(0)
	v_fma_f64 v[3:4], v[9:10], v[5:6], v[3:4]
	ds_bpermute_b32 v5, v74, v23 offset:16
	ds_bpermute_b32 v6, v74, v24 offset:16
	v_mul_f64 v[9:10], v[39:40], v[13:14]
	s_waitcnt lgkmcnt(0)
	v_fma_f64 v[3:4], v[7:8], v[5:6], v[3:4]
	ds_bpermute_b32 v5, v74, v23 offset:20
	ds_bpermute_b32 v6, v74, v24 offset:20
	ds_bpermute_b32 v7, v74, v23 offset:24
	ds_bpermute_b32 v8, v74, v24 offset:24
	s_waitcnt lgkmcnt(2)
	v_fma_f64 v[3:4], v[9:10], v[5:6], v[3:4]
	v_mul_f64 v[5:6], v[37:38], v[15:16]
	s_waitcnt lgkmcnt(0)
	v_fma_f64 v[25:26], v[5:6], v[7:8], v[3:4]
	ds_bpermute_b32 v3, v74, v23 offset:28
	ds_bpermute_b32 v4, v74, v24 offset:28
.LBB134_4:                              ;   in Loop: Header=BB134_5 Depth=1
	v_mov_b32_e32 v7, s25
	v_add_co_u32_e32 v42, vcc, s24, v42
	v_addc_co_u32_e32 v43, vcc, v43, v7, vcc
	v_add_co_u32_e32 v44, vcc, s24, v44
	v_addc_co_u32_e32 v45, vcc, v45, v7, vcc
	;; [unrolled: 2-line block ×9, first 2 shown]
	v_add_co_u32_e32 v60, vcc, s24, v60
	v_mul_f64 v[5:6], v[31:32], v[17:18]
	v_addc_co_u32_e32 v61, vcc, v61, v7, vcc
	v_add_co_u32_e32 v62, vcc, s24, v62
	v_addc_co_u32_e32 v63, vcc, v63, v7, vcc
	v_add_co_u32_e32 v64, vcc, s24, v64
	;; [unrolled: 2-line block ×4, first 2 shown]
	s_waitcnt lgkmcnt(0)
	v_fma_f64 v[21:22], v[5:6], v[3:4], v[25:26]
	v_addc_co_u32_e32 v69, vcc, v69, v7, vcc
	v_add_co_u32_e32 v70, vcc, s24, v70
	v_addc_co_u32_e32 v71, vcc, v71, v7, vcc
	s_add_u32 s28, s28, s7
	v_add_co_u32_e32 v72, vcc, s24, v72
	v_mov_b32_e32 v3, s12
	s_addc_u32 s29, s29, 0
	v_addc_co_u32_e32 v73, vcc, v73, v7, vcc
	v_mov_b32_e32 v4, s13
	v_cmp_lt_i64_e32 vcc, s[28:29], v[3:4]
	s_add_u32 s26, s26, s7
	s_addc_u32 s27, s27, 0
	s_cbranch_vccz .LBB134_49
.LBB134_5:                              ; =>This Inner Loop Header: Depth=1
	v_mov_b32_e32 v3, s12
	v_mov_b32_e32 v4, s13
	v_cmp_ge_i64_e32 vcc, s[26:27], v[3:4]
	v_mov_b32_e32 v3, s27
	v_add_co_u32_e64 v75, s[8:9], s26, v41
	v_addc_co_u32_e64 v76, s[8:9], 0, v3, s[8:9]
	s_mov_b64 s[8:9], -1
	s_and_b64 vcc, exec, vcc
                                        ; implicit-def: $vgpr3_vgpr4_vgpr5_vgpr6_vgpr7_vgpr8_vgpr9_vgpr10_vgpr11_vgpr12_vgpr13_vgpr14_vgpr15_vgpr16_vgpr17_vgpr18
                                        ; implicit-def: $vgpr25_vgpr26
                                        ; implicit-def: $vgpr31_vgpr32
                                        ; implicit-def: $vgpr3
	s_cbranch_vccz .LBB134_27
; %bb.6:                                ;   in Loop: Header=BB134_5 Depth=1
	s_load_dword s8, s[22:23], 0xc
	v_mov_b32_e32 v25, 0
	v_mov_b32_e32 v23, 0
	;; [unrolled: 1-line block ×4, first 2 shown]
	s_waitcnt lgkmcnt(0)
	s_and_b32 s8, s8, 0xffff
	v_mad_u32_u24 v3, v1, s8, v0
	v_and_b32_e32 v3, 63, v3
	v_cmp_gt_u32_e32 vcc, 8, v3
	s_and_saveexec_b64 s[8:9], vcc
	s_cbranch_execz .LBB134_10
; %bb.7:                                ;   in Loop: Header=BB134_5 Depth=1
	v_add_co_u32_e32 v3, vcc, v75, v3
	v_addc_co_u32_e32 v4, vcc, 0, v76, vcc
	v_add_co_u32_e32 v3, vcc, 0xffffffc1, v3
	v_addc_co_u32_e32 v4, vcc, -1, v4, vcc
	v_cmp_gt_i64_e32 vcc, s[12:13], v[3:4]
	v_mov_b32_e32 v23, 0
	v_mov_b32_e32 v24, 0
	s_and_saveexec_b64 s[30:31], vcc
	s_cbranch_execz .LBB134_9
; %bb.8:                                ;   in Loop: Header=BB134_5 Depth=1
	v_lshlrev_b64 v[3:4], 3, v[3:4]
	v_mov_b32_e32 v5, s11
	v_add_co_u32_e32 v3, vcc, s10, v3
	v_addc_co_u32_e32 v4, vcc, v5, v4, vcc
	global_load_dwordx2 v[23:24], v[3:4], off
.LBB134_9:                              ;   in Loop: Header=BB134_5 Depth=1
	s_or_b64 exec, exec, s[30:31]
.LBB134_10:                             ;   in Loop: Header=BB134_5 Depth=1
	s_or_b64 exec, exec, s[8:9]
	v_add_co_u32_e32 v3, vcc, 0xffffffc1, v75
	v_addc_co_u32_e32 v4, vcc, -1, v76, vcc
	v_cmp_gt_i64_e32 vcc, s[12:13], v[3:4]
	v_mov_b32_e32 v3, v2
	v_mov_b32_e32 v4, v2
	;; [unrolled: 1-line block ×31, first 2 shown]
	s_and_b64 s[30:31], s[2:3], vcc
	s_and_saveexec_b64 s[8:9], s[30:31]
	s_cbranch_execz .LBB134_12
; %bb.11:                               ;   in Loop: Header=BB134_5 Depth=1
	v_add_co_u32_e32 v3, vcc, v42, v19
	v_addc_co_u32_e32 v4, vcc, v43, v20, vcc
	v_add_co_u32_e32 v5, vcc, v44, v19
	v_addc_co_u32_e32 v6, vcc, v45, v20, vcc
	global_load_dwordx2 v[3:4], v[3:4], off
	v_mov_b32_e32 v7, v2
	global_load_dwordx2 v[25:26], v[5:6], off
	v_mov_b32_e32 v5, v2
	v_mov_b32_e32 v6, v2
	;; [unrolled: 1-line block ×13, first 2 shown]
.LBB134_12:                             ;   in Loop: Header=BB134_5 Depth=1
	s_or_b64 exec, exec, s[8:9]
	v_add_co_u32_e32 v27, vcc, 0xffffffc2, v75
	v_addc_co_u32_e32 v28, vcc, -1, v76, vcc
	v_cmp_gt_i64_e32 vcc, s[12:13], v[27:28]
	v_mov_b32_e32 v27, 0
	v_mov_b32_e32 v29, 0
	v_mov_b32_e32 v28, 0
	v_mov_b32_e32 v30, 0
	s_and_b64 s[30:31], s[2:3], vcc
	s_and_saveexec_b64 s[8:9], s[30:31]
	s_cbranch_execz .LBB134_14
; %bb.13:                               ;   in Loop: Header=BB134_5 Depth=1
	v_add_co_u32_e32 v5, vcc, v70, v19
	v_addc_co_u32_e32 v6, vcc, v71, v20, vcc
	v_add_co_u32_e32 v29, vcc, v72, v19
	v_addc_co_u32_e32 v30, vcc, v73, v20, vcc
	global_load_dwordx2 v[5:6], v[5:6], off
	s_nop 0
	global_load_dwordx2 v[29:30], v[29:30], off
.LBB134_14:                             ;   in Loop: Header=BB134_5 Depth=1
	s_or_b64 exec, exec, s[8:9]
	v_add_co_u32_e32 v31, vcc, 0xffffffc3, v75
	v_addc_co_u32_e32 v32, vcc, -1, v76, vcc
	v_cmp_gt_i64_e32 vcc, s[12:13], v[31:32]
	s_and_b64 s[30:31], s[2:3], vcc
	s_and_saveexec_b64 s[8:9], s[30:31]
	s_cbranch_execz .LBB134_16
; %bb.15:                               ;   in Loop: Header=BB134_5 Depth=1
	v_add_co_u32_e32 v7, vcc, v66, v19
	v_addc_co_u32_e32 v8, vcc, v67, v20, vcc
	v_add_co_u32_e32 v27, vcc, v68, v19
	v_addc_co_u32_e32 v28, vcc, v69, v20, vcc
	global_load_dwordx2 v[7:8], v[7:8], off
	s_nop 0
	global_load_dwordx2 v[27:28], v[27:28], off
.LBB134_16:                             ;   in Loop: Header=BB134_5 Depth=1
	s_or_b64 exec, exec, s[8:9]
	v_add_co_u32_e32 v31, vcc, 0xffffffc4, v75
	v_addc_co_u32_e32 v32, vcc, -1, v76, vcc
	v_cmp_gt_i64_e32 vcc, s[12:13], v[31:32]
	v_mov_b32_e32 v33, 0
	v_mov_b32_e32 v35, 0
	v_mov_b32_e32 v34, 0
	v_mov_b32_e32 v36, 0
	s_and_b64 s[30:31], s[2:3], vcc
	s_and_saveexec_b64 s[8:9], s[30:31]
	s_cbranch_execz .LBB134_18
; %bb.17:                               ;   in Loop: Header=BB134_5 Depth=1
	v_add_co_u32_e32 v9, vcc, v62, v19
	v_addc_co_u32_e32 v10, vcc, v63, v20, vcc
	v_add_co_u32_e32 v31, vcc, v64, v19
	v_addc_co_u32_e32 v32, vcc, v65, v20, vcc
	global_load_dwordx2 v[9:10], v[9:10], off
	s_nop 0
	global_load_dwordx2 v[35:36], v[31:32], off
.LBB134_18:                             ;   in Loop: Header=BB134_5 Depth=1
	s_or_b64 exec, exec, s[8:9]
	v_add_co_u32_e32 v31, vcc, 0xffffffc5, v75
	v_addc_co_u32_e32 v32, vcc, -1, v76, vcc
	v_cmp_gt_i64_e32 vcc, s[12:13], v[31:32]
	s_and_b64 s[30:31], s[2:3], vcc
	s_and_saveexec_b64 s[8:9], s[30:31]
	s_cbranch_execz .LBB134_20
; %bb.19:                               ;   in Loop: Header=BB134_5 Depth=1
	v_add_co_u32_e32 v11, vcc, v58, v19
	v_addc_co_u32_e32 v12, vcc, v59, v20, vcc
	v_add_co_u32_e32 v31, vcc, v60, v19
	v_addc_co_u32_e32 v32, vcc, v61, v20, vcc
	global_load_dwordx2 v[11:12], v[11:12], off
	s_nop 0
	global_load_dwordx2 v[33:34], v[31:32], off
.LBB134_20:                             ;   in Loop: Header=BB134_5 Depth=1
	;; [unrolled: 36-line block ×3, first 2 shown]
	s_or_b64 exec, exec, s[8:9]
	v_add_co_u32_e32 v31, vcc, 0xffffffc8, v75
	v_addc_co_u32_e32 v32, vcc, -1, v76, vcc
	v_cmp_gt_i64_e32 vcc, s[12:13], v[31:32]
	v_mov_b32_e32 v31, 0
	v_mov_b32_e32 v32, 0
	s_and_b64 s[30:31], s[2:3], vcc
	s_and_saveexec_b64 s[8:9], s[30:31]
	s_cbranch_execz .LBB134_26
; %bb.25:                               ;   in Loop: Header=BB134_5 Depth=1
	v_add_co_u32_e32 v17, vcc, v46, v19
	v_addc_co_u32_e32 v18, vcc, v47, v20, vcc
	v_add_co_u32_e32 v31, vcc, v48, v19
	v_addc_co_u32_e32 v32, vcc, v49, v20, vcc
	global_load_dwordx2 v[17:18], v[17:18], off
	s_nop 0
	global_load_dwordx2 v[31:32], v[31:32], off
.LBB134_26:                             ;   in Loop: Header=BB134_5 Depth=1
	s_or_b64 exec, exec, s[8:9]
	s_waitcnt vmcnt(0)
	v_mul_f64 v[3:4], v[25:26], v[3:4]
	ds_bpermute_b32 v25, v74, v23
	ds_bpermute_b32 v26, v74, v24
	v_mul_f64 v[5:6], v[29:30], v[5:6]
	v_mul_f64 v[7:8], v[27:28], v[7:8]
	;; [unrolled: 1-line block ×3, first 2 shown]
	s_mov_b64 s[8:9], 0
	s_waitcnt lgkmcnt(0)
	v_fma_f64 v[3:4], v[3:4], v[25:26], v[21:22]
	ds_bpermute_b32 v25, v74, v23 offset:4
	ds_bpermute_b32 v26, v74, v24 offset:4
	s_waitcnt lgkmcnt(0)
	v_fma_f64 v[3:4], v[5:6], v[25:26], v[3:4]
	ds_bpermute_b32 v5, v74, v23 offset:8
	ds_bpermute_b32 v6, v74, v24 offset:8
	;; [unrolled: 4-line block ×3, first 2 shown]
	v_mul_f64 v[7:8], v[33:34], v[11:12]
	s_waitcnt lgkmcnt(0)
	v_fma_f64 v[3:4], v[9:10], v[5:6], v[3:4]
	ds_bpermute_b32 v5, v74, v23 offset:16
	ds_bpermute_b32 v6, v74, v24 offset:16
	v_mul_f64 v[9:10], v[39:40], v[13:14]
	s_waitcnt lgkmcnt(0)
	v_fma_f64 v[3:4], v[7:8], v[5:6], v[3:4]
	ds_bpermute_b32 v5, v74, v23 offset:20
	ds_bpermute_b32 v6, v74, v24 offset:20
	;; [unrolled: 1-line block ×4, first 2 shown]
	s_waitcnt lgkmcnt(2)
	v_fma_f64 v[3:4], v[9:10], v[5:6], v[3:4]
	v_mul_f64 v[5:6], v[37:38], v[15:16]
	s_waitcnt lgkmcnt(0)
	v_fma_f64 v[25:26], v[5:6], v[7:8], v[3:4]
	ds_bpermute_b32 v3, v74, v23 offset:28
	ds_bpermute_b32 v4, v74, v24 offset:28
.LBB134_27:                             ;   in Loop: Header=BB134_5 Depth=1
	s_and_b64 vcc, exec, s[8:9]
	s_cbranch_vccz .LBB134_4
; %bb.28:                               ;   in Loop: Header=BB134_5 Depth=1
	s_load_dword s8, s[22:23], 0x0
	v_mov_b32_e32 v25, 0
	v_mov_b32_e32 v23, 0
	;; [unrolled: 1-line block ×4, first 2 shown]
	s_waitcnt lgkmcnt(0)
	s_cmp_lt_u32 s6, s8
	s_cselect_b32 s8, 12, 18
	s_add_u32 s8, s22, s8
	s_addc_u32 s9, s23, 0
	global_load_ushort v3, v2, s[8:9]
	s_waitcnt vmcnt(0)
	v_mad_u32_u24 v3, v1, v3, v0
	v_and_b32_e32 v3, 63, v3
	v_cmp_gt_u32_e32 vcc, 8, v3
	s_and_saveexec_b64 s[8:9], vcc
	s_cbranch_execz .LBB134_32
; %bb.29:                               ;   in Loop: Header=BB134_5 Depth=1
	v_add_co_u32_e32 v3, vcc, v75, v3
	v_addc_co_u32_e32 v4, vcc, 0, v76, vcc
	v_add_co_u32_e32 v3, vcc, 0xffffffc1, v3
	v_addc_co_u32_e32 v4, vcc, -1, v4, vcc
	v_cmp_gt_i64_e32 vcc, s[12:13], v[3:4]
	v_mov_b32_e32 v23, 0
	v_mov_b32_e32 v24, 0
	s_and_saveexec_b64 s[30:31], vcc
	s_cbranch_execz .LBB134_31
; %bb.30:                               ;   in Loop: Header=BB134_5 Depth=1
	v_lshlrev_b64 v[3:4], 3, v[3:4]
	v_mov_b32_e32 v5, s11
	v_add_co_u32_e32 v3, vcc, s10, v3
	v_addc_co_u32_e32 v4, vcc, v5, v4, vcc
	global_load_dwordx2 v[23:24], v[3:4], off
.LBB134_31:                             ;   in Loop: Header=BB134_5 Depth=1
	s_or_b64 exec, exec, s[30:31]
.LBB134_32:                             ;   in Loop: Header=BB134_5 Depth=1
	s_or_b64 exec, exec, s[8:9]
	v_mov_b32_e32 v3, v2
	v_mov_b32_e32 v4, v2
	;; [unrolled: 1-line block ×31, first 2 shown]
	s_and_saveexec_b64 s[8:9], s[2:3]
	s_cbranch_execz .LBB134_34
; %bb.33:                               ;   in Loop: Header=BB134_5 Depth=1
	v_add_co_u32_e32 v3, vcc, v42, v19
	v_addc_co_u32_e32 v4, vcc, v43, v20, vcc
	v_add_co_u32_e32 v5, vcc, v44, v19
	v_addc_co_u32_e32 v6, vcc, v45, v20, vcc
	global_load_dwordx2 v[3:4], v[3:4], off
	v_mov_b32_e32 v7, v2
	global_load_dwordx2 v[25:26], v[5:6], off
	v_mov_b32_e32 v5, v2
	v_mov_b32_e32 v6, v2
	;; [unrolled: 1-line block ×13, first 2 shown]
.LBB134_34:                             ;   in Loop: Header=BB134_5 Depth=1
	s_or_b64 exec, exec, s[8:9]
	v_mov_b32_e32 v27, 0
	v_mov_b32_e32 v29, 0
	v_mov_b32_e32 v28, 0
	v_mov_b32_e32 v30, 0
	s_and_saveexec_b64 s[8:9], s[2:3]
	s_cbranch_execz .LBB134_36
; %bb.35:                               ;   in Loop: Header=BB134_5 Depth=1
	v_add_co_u32_e32 v5, vcc, v70, v19
	v_addc_co_u32_e32 v6, vcc, v71, v20, vcc
	v_add_co_u32_e32 v29, vcc, v72, v19
	v_addc_co_u32_e32 v30, vcc, v73, v20, vcc
	global_load_dwordx2 v[5:6], v[5:6], off
	s_nop 0
	global_load_dwordx2 v[29:30], v[29:30], off
.LBB134_36:                             ;   in Loop: Header=BB134_5 Depth=1
	s_or_b64 exec, exec, s[8:9]
	s_and_saveexec_b64 s[8:9], s[2:3]
	s_cbranch_execz .LBB134_38
; %bb.37:                               ;   in Loop: Header=BB134_5 Depth=1
	v_add_co_u32_e32 v7, vcc, v66, v19
	v_addc_co_u32_e32 v8, vcc, v67, v20, vcc
	v_add_co_u32_e32 v27, vcc, v68, v19
	v_addc_co_u32_e32 v28, vcc, v69, v20, vcc
	global_load_dwordx2 v[7:8], v[7:8], off
	s_nop 0
	global_load_dwordx2 v[27:28], v[27:28], off
.LBB134_38:                             ;   in Loop: Header=BB134_5 Depth=1
	s_or_b64 exec, exec, s[8:9]
	v_mov_b32_e32 v33, 0
	v_mov_b32_e32 v35, 0
	v_mov_b32_e32 v34, 0
	v_mov_b32_e32 v36, 0
	s_and_saveexec_b64 s[8:9], s[2:3]
	s_cbranch_execz .LBB134_40
; %bb.39:                               ;   in Loop: Header=BB134_5 Depth=1
	v_add_co_u32_e32 v9, vcc, v62, v19
	v_addc_co_u32_e32 v10, vcc, v63, v20, vcc
	v_add_co_u32_e32 v31, vcc, v64, v19
	v_addc_co_u32_e32 v32, vcc, v65, v20, vcc
	global_load_dwordx2 v[9:10], v[9:10], off
	s_nop 0
	global_load_dwordx2 v[35:36], v[31:32], off
.LBB134_40:                             ;   in Loop: Header=BB134_5 Depth=1
	s_or_b64 exec, exec, s[8:9]
	s_and_saveexec_b64 s[8:9], s[2:3]
	s_cbranch_execz .LBB134_42
; %bb.41:                               ;   in Loop: Header=BB134_5 Depth=1
	v_add_co_u32_e32 v11, vcc, v58, v19
	v_addc_co_u32_e32 v12, vcc, v59, v20, vcc
	v_add_co_u32_e32 v31, vcc, v60, v19
	v_addc_co_u32_e32 v32, vcc, v61, v20, vcc
	global_load_dwordx2 v[11:12], v[11:12], off
	s_nop 0
	global_load_dwordx2 v[33:34], v[31:32], off
.LBB134_42:                             ;   in Loop: Header=BB134_5 Depth=1
	;; [unrolled: 28-line block ×3, first 2 shown]
	s_or_b64 exec, exec, s[8:9]
	v_mov_b32_e32 v31, 0
	v_mov_b32_e32 v32, 0
	s_and_saveexec_b64 s[8:9], s[2:3]
	s_cbranch_execz .LBB134_3
; %bb.47:                               ;   in Loop: Header=BB134_5 Depth=1
	v_add_co_u32_e32 v17, vcc, v46, v19
	v_addc_co_u32_e32 v18, vcc, v47, v20, vcc
	v_add_co_u32_e32 v31, vcc, v48, v19
	v_addc_co_u32_e32 v32, vcc, v49, v20, vcc
	global_load_dwordx2 v[17:18], v[17:18], off
	s_nop 0
	global_load_dwordx2 v[31:32], v[31:32], off
	s_branch .LBB134_3
.LBB134_48:
                                        ; implicit-def: $vgpr21_vgpr22
	s_branch .LBB134_50
.LBB134_49:
	s_cbranch_execnz .LBB134_82
.LBB134_50:
	v_mov_b32_e32 v21, 0
	v_mov_b32_e32 v22, 0
	s_and_b64 vcc, exec, s[0:1]
	s_cbranch_vccnz .LBB134_82
; %bb.51:
	v_lshlrev_b32_e32 v69, 3, v1
	v_add_co_u32_e32 v8, vcc, s20, v69
	v_addc_co_u32_e64 v9, s[0:1], 0, 0, vcc
	s_load_dword s7, s[4:5], 0x44
	v_mul_lo_u32 v4, s15, v8
	v_mul_lo_u32 v5, s14, v9
	v_mad_u64_u32 v[2:3], s[0:1], s14, v8, 0
	s_add_u32 s2, s4, 64
	s_addc_u32 s3, s5, 0
	v_add3_u32 v3, v3, v5, v4
	s_waitcnt lgkmcnt(0)
	s_lshl_b32 s7, s7, 6
	v_lshlrev_b64 v[4:5], 3, v[2:3]
	s_mul_i32 s0, s15, s7
	s_mul_hi_u32 s1, s14, s7
	v_mov_b32_e32 v6, s17
	v_add_co_u32_e32 v70, vcc, s16, v4
	s_add_i32 s1, s1, s0
	s_mul_i32 s0, s14, s7
	v_addc_co_u32_e32 v71, vcc, v6, v5, vcc
	s_lshl_b64 s[8:9], s[0:1], 3
	v_mov_b32_e32 v6, s19
	v_add_co_u32_e32 v72, vcc, s18, v4
	s_add_u32 s22, s20, 63
	v_addc_co_u32_e32 v73, vcc, v6, v5, vcc
	s_addc_u32 s23, 0, 0
	v_lshlrev_b32_e32 v4, 6, v1
	s_lshl_b64 s[0:1], s[20:21], 3
	v_mov_b32_e32 v5, s1
	v_add_co_u32_e32 v10, vcc, s0, v4
	v_addc_co_u32_e32 v11, vcc, 0, v5, vcc
	v_add_co_u32_e32 v12, vcc, 8, v10
	v_addc_co_u32_e32 v6, vcc, 0, v11, vcc
	v_mov_b32_e32 v4, s16
	v_mul_lo_u32 v14, s14, v6
	v_mov_b32_e32 v6, s18
	v_mov_b32_e32 v5, s17
	;; [unrolled: 1-line block ×3, first 2 shown]
	v_mad_u64_u32 v[19:20], s[0:1], s14, v12, v[4:5]
	v_mul_lo_u32 v15, s15, v12
	v_mad_u64_u32 v[23:24], s[0:1], s14, v12, v[6:7]
	v_add_co_u32_e32 v12, vcc, 16, v10
	v_addc_co_u32_e32 v16, vcc, 0, v11, vcc
	v_mov_b32_e32 v13, s15
	v_add_co_u32_e32 v2, vcc, s14, v2
	v_addc_co_u32_e32 v3, vcc, v3, v13, vcc
	v_mul_lo_u32 v17, s15, v12
	v_mad_u64_u32 v[25:26], s[0:1], s14, v12, v[4:5]
	v_mad_u64_u32 v[27:28], s[0:1], s14, v12, v[6:7]
	v_add_co_u32_e32 v12, vcc, 24, v10
	v_addc_co_u32_e32 v13, vcc, 0, v11, vcc
	v_add3_u32 v20, v15, v20, v14
	v_add3_u32 v24, v15, v24, v14
	v_mul_lo_u32 v13, s14, v13
	v_mul_lo_u32 v14, s15, v12
	v_mad_u64_u32 v[29:30], s[0:1], s14, v12, v[4:5]
	v_mad_u64_u32 v[31:32], s[0:1], s14, v12, v[6:7]
	v_add_co_u32_e32 v12, vcc, 32, v10
	v_mul_lo_u32 v16, s14, v16
	v_addc_co_u32_e32 v15, vcc, 0, v11, vcc
	v_mul_lo_u32 v18, s15, v12
	v_mad_u64_u32 v[33:34], s[0:1], s14, v12, v[4:5]
	v_mad_u64_u32 v[35:36], s[0:1], s14, v12, v[6:7]
	v_add_co_u32_e32 v12, vcc, 40, v10
	v_add3_u32 v30, v14, v30, v13
	v_add3_u32 v32, v14, v32, v13
	v_addc_co_u32_e32 v13, vcc, 0, v11, vcc
	v_mul_lo_u32 v14, s15, v12
	v_mad_u64_u32 v[37:38], s[0:1], s14, v12, v[4:5]
	v_mad_u64_u32 v[39:40], s[0:1], s14, v12, v[6:7]
	v_add_co_u32_e32 v12, vcc, 48, v10
	v_add3_u32 v26, v17, v26, v16
	v_add3_u32 v28, v17, v28, v16
	v_addc_co_u32_e32 v16, vcc, 0, v11, vcc
	v_add_co_u32_e32 v10, vcc, 56, v10
	v_addc_co_u32_e32 v11, vcc, 0, v11, vcc
	v_mad_u64_u32 v[41:42], s[0:1], s14, v12, v[4:5]
	v_mad_u64_u32 v[45:46], s[0:1], s14, v10, v[4:5]
	v_add_co_u32_e32 v4, vcc, 7, v8
	v_addc_co_u32_e32 v5, vcc, 0, v9, vcc
	v_mad_u64_u32 v[43:44], s[0:1], s14, v12, v[6:7]
	v_mad_u64_u32 v[47:48], s[0:1], s14, v10, v[6:7]
	v_mul_lo_u32 v6, s15, v10
	v_mul_lo_u32 v7, s14, v5
	;; [unrolled: 1-line block ×3, first 2 shown]
	v_mad_u64_u32 v[4:5], s[0:1], s14, v4, 0
	v_mul_lo_u32 v11, s14, v11
	v_mul_lo_u32 v17, s15, v12
	v_add3_u32 v5, v5, v7, v10
	v_lshlrev_b64 v[4:5], 3, v[4:5]
	v_add3_u32 v46, v6, v46, v11
	v_add3_u32 v48, v6, v48, v11
	v_mov_b32_e32 v6, s17
	v_add_co_u32_e32 v74, vcc, s16, v4
	v_addc_co_u32_e32 v75, vcc, v6, v5, vcc
	v_add_co_u32_e32 v6, vcc, 6, v8
	v_addc_co_u32_e32 v7, vcc, 0, v9, vcc
	v_mul_lo_u32 v11, s14, v7
	v_mul_lo_u32 v12, s15, v6
	v_mad_u64_u32 v[6:7], s[0:1], s14, v6, 0
	v_mov_b32_e32 v10, s19
	v_add_co_u32_e32 v76, vcc, s18, v4
	v_add3_u32 v7, v7, v11, v12
	v_addc_co_u32_e32 v77, vcc, v10, v5, vcc
	v_lshlrev_b64 v[4:5], 3, v[6:7]
	v_mov_b32_e32 v6, s17
	v_add_co_u32_e32 v78, vcc, s16, v4
	v_addc_co_u32_e32 v79, vcc, v6, v5, vcc
	v_add_co_u32_e32 v6, vcc, 5, v8
	v_addc_co_u32_e32 v7, vcc, 0, v9, vcc
	v_mul_lo_u32 v11, s14, v7
	v_mul_lo_u32 v12, s15, v6
	v_mad_u64_u32 v[6:7], s[0:1], s14, v6, 0
	v_add_co_u32_e32 v80, vcc, s18, v4
	v_add3_u32 v7, v7, v11, v12
	v_addc_co_u32_e32 v81, vcc, v10, v5, vcc
	v_lshlrev_b64 v[4:5], 3, v[6:7]
	v_mov_b32_e32 v6, s17
	v_add_co_u32_e32 v82, vcc, s16, v4
	v_addc_co_u32_e32 v83, vcc, v6, v5, vcc
	v_add_co_u32_e32 v6, vcc, 4, v8
	v_addc_co_u32_e32 v7, vcc, 0, v9, vcc
	v_mul_lo_u32 v11, s14, v7
	v_mul_lo_u32 v12, s15, v6
	v_mad_u64_u32 v[6:7], s[0:1], s14, v6, 0
	;; [unrolled: 12-line block ×4, first 2 shown]
	v_add_co_u32_e32 v92, vcc, s18, v4
	v_add3_u32 v7, v7, v8, v9
	v_addc_co_u32_e32 v93, vcc, v10, v5, vcc
	v_lshlrev_b64 v[4:5], 3, v[6:7]
	v_mov_b32_e32 v6, s17
	v_add_co_u32_e32 v94, vcc, s16, v4
	v_addc_co_u32_e32 v95, vcc, v6, v5, vcc
	v_mov_b32_e32 v6, s19
	v_add_co_u32_e32 v96, vcc, s18, v4
	v_lshlrev_b64 v[2:3], 3, v[2:3]
	v_addc_co_u32_e32 v97, vcc, v6, v5, vcc
	v_mov_b32_e32 v4, s17
	v_add_co_u32_e32 v98, vcc, s16, v2
	v_addc_co_u32_e32 v99, vcc, v4, v3, vcc
	v_mov_b32_e32 v4, s19
	v_add_co_u32_e32 v100, vcc, s18, v2
	v_mov_b32_e32 v2, 0
	v_mul_lo_u32 v15, s14, v15
	v_mul_lo_u32 v13, s14, v13
	;; [unrolled: 1-line block ×3, first 2 shown]
	v_addc_co_u32_e32 v101, vcc, v4, v3, vcc
	v_add_u32_e32 v3, s33, v0
	v_mov_b32_e32 v4, v2
	v_lshlrev_b64 v[49:50], 3, v[3:4]
	v_mbcnt_lo_u32_b32 v3, -1, 0
	v_mbcnt_hi_u32_b32 v3, -1, v3
	v_lshlrev_b32_e32 v3, 2, v3
	v_mov_b32_e32 v51, 0
	v_add3_u32 v34, v18, v34, v15
	v_add3_u32 v36, v18, v36, v15
	;; [unrolled: 1-line block ×6, first 2 shown]
	v_mov_b32_e32 v52, 0
	v_and_b32_e32 v102, 0x100, v3
.LBB134_52:                             ; =>This Inner Loop Header: Depth=1
	v_mov_b32_e32 v3, s12
	v_mov_b32_e32 v4, s13
	v_cmp_ge_i64_e32 vcc, s[22:23], v[3:4]
	v_mov_b32_e32 v3, s23
	v_add_co_u32_e64 v103, s[0:1], s22, v69
	v_addc_co_u32_e64 v104, s[0:1], 0, v3, s[0:1]
	s_mov_b64 s[0:1], -1
                                        ; implicit-def: $vgpr21_vgpr22
	s_cbranch_vccz .LBB134_74
; %bb.53:                               ;   in Loop: Header=BB134_52 Depth=1
	s_load_dword s0, s[2:3], 0xc
	v_mov_b32_e32 v53, 0
	v_mov_b32_e32 v21, 0
	;; [unrolled: 1-line block ×4, first 2 shown]
	s_waitcnt lgkmcnt(0)
	s_and_b32 s0, s0, 0xffff
	v_mad_u32_u24 v3, v1, s0, v0
	v_and_b32_e32 v3, 63, v3
	v_cmp_gt_u32_e32 vcc, 8, v3
	s_and_saveexec_b64 s[0:1], vcc
	s_cbranch_execz .LBB134_57
; %bb.54:                               ;   in Loop: Header=BB134_52 Depth=1
	v_add_co_u32_e32 v3, vcc, v103, v3
	v_addc_co_u32_e32 v4, vcc, 0, v104, vcc
	v_add_co_u32_e32 v3, vcc, 0xffffffc1, v3
	v_addc_co_u32_e32 v4, vcc, -1, v4, vcc
	v_cmp_gt_i64_e32 vcc, s[12:13], v[3:4]
	v_mov_b32_e32 v21, 0
	v_mov_b32_e32 v22, 0
	s_and_saveexec_b64 s[16:17], vcc
	s_cbranch_execz .LBB134_56
; %bb.55:                               ;   in Loop: Header=BB134_52 Depth=1
	v_lshlrev_b64 v[3:4], 3, v[3:4]
	v_mov_b32_e32 v5, s11
	v_add_co_u32_e32 v3, vcc, s10, v3
	v_addc_co_u32_e32 v4, vcc, v5, v4, vcc
	global_load_dwordx2 v[21:22], v[3:4], off
.LBB134_56:                             ;   in Loop: Header=BB134_52 Depth=1
	s_or_b64 exec, exec, s[16:17]
.LBB134_57:                             ;   in Loop: Header=BB134_52 Depth=1
	s_or_b64 exec, exec, s[0:1]
	v_add_co_u32_e32 v3, vcc, 0xffffffc1, v103
	v_addc_co_u32_e32 v4, vcc, -1, v104, vcc
	v_cmp_gt_i64_e32 vcc, s[12:13], v[3:4]
	v_mov_b32_e32 v3, v2
	v_mov_b32_e32 v4, v2
	v_mov_b32_e32 v5, v2
	v_mov_b32_e32 v6, v2
	v_mov_b32_e32 v7, v2
	v_mov_b32_e32 v8, v2
	v_mov_b32_e32 v9, v2
	v_mov_b32_e32 v10, v2
	v_mov_b32_e32 v11, v2
	v_mov_b32_e32 v12, v2
	v_mov_b32_e32 v13, v2
	v_mov_b32_e32 v14, v2
	v_mov_b32_e32 v15, v2
	v_mov_b32_e32 v16, v2
	v_mov_b32_e32 v17, v2
	v_mov_b32_e32 v18, v17
	v_mov_b32_e32 v17, v16
	v_mov_b32_e32 v16, v15
	v_mov_b32_e32 v15, v14
	v_mov_b32_e32 v14, v13
	v_mov_b32_e32 v13, v12
	v_mov_b32_e32 v12, v11
	v_mov_b32_e32 v11, v10
	v_mov_b32_e32 v10, v9
	v_mov_b32_e32 v9, v8
	v_mov_b32_e32 v8, v7
	v_mov_b32_e32 v7, v6
	v_mov_b32_e32 v6, v5
	v_mov_b32_e32 v5, v4
	v_mov_b32_e32 v4, v3
	v_mov_b32_e32 v3, v2
	s_and_saveexec_b64 s[0:1], vcc
	s_cbranch_execz .LBB134_59
; %bb.58:                               ;   in Loop: Header=BB134_52 Depth=1
	v_add_co_u32_e32 v3, vcc, v70, v49
	v_addc_co_u32_e32 v4, vcc, v71, v50, vcc
	v_add_co_u32_e32 v5, vcc, v72, v49
	v_addc_co_u32_e32 v6, vcc, v73, v50, vcc
	global_load_dwordx2 v[3:4], v[3:4], off
	v_mov_b32_e32 v7, v2
	global_load_dwordx2 v[53:54], v[5:6], off
	v_mov_b32_e32 v5, v2
	v_mov_b32_e32 v6, v2
	;; [unrolled: 1-line block ×13, first 2 shown]
.LBB134_59:                             ;   in Loop: Header=BB134_52 Depth=1
	s_or_b64 exec, exec, s[0:1]
	v_add_co_u32_e32 v55, vcc, 0xffffffc2, v103
	v_addc_co_u32_e32 v56, vcc, -1, v104, vcc
	v_cmp_gt_i64_e32 vcc, s[12:13], v[55:56]
	v_mov_b32_e32 v55, 0
	v_mov_b32_e32 v57, 0
	v_mov_b32_e32 v56, 0
	v_mov_b32_e32 v58, 0
	s_and_saveexec_b64 s[0:1], vcc
	s_cbranch_execz .LBB134_61
; %bb.60:                               ;   in Loop: Header=BB134_52 Depth=1
	v_add_co_u32_e32 v5, vcc, v98, v49
	v_addc_co_u32_e32 v6, vcc, v99, v50, vcc
	v_add_co_u32_e32 v57, vcc, v100, v49
	v_addc_co_u32_e32 v58, vcc, v101, v50, vcc
	global_load_dwordx2 v[5:6], v[5:6], off
	s_nop 0
	global_load_dwordx2 v[57:58], v[57:58], off
.LBB134_61:                             ;   in Loop: Header=BB134_52 Depth=1
	s_or_b64 exec, exec, s[0:1]
	v_add_co_u32_e32 v59, vcc, 0xffffffc3, v103
	v_addc_co_u32_e32 v60, vcc, -1, v104, vcc
	v_cmp_gt_i64_e32 vcc, s[12:13], v[59:60]
	s_and_saveexec_b64 s[0:1], vcc
	s_cbranch_execz .LBB134_63
; %bb.62:                               ;   in Loop: Header=BB134_52 Depth=1
	v_add_co_u32_e32 v7, vcc, v94, v49
	v_addc_co_u32_e32 v8, vcc, v95, v50, vcc
	v_add_co_u32_e32 v55, vcc, v96, v49
	v_addc_co_u32_e32 v56, vcc, v97, v50, vcc
	global_load_dwordx2 v[7:8], v[7:8], off
	s_nop 0
	global_load_dwordx2 v[55:56], v[55:56], off
.LBB134_63:                             ;   in Loop: Header=BB134_52 Depth=1
	s_or_b64 exec, exec, s[0:1]
	v_add_co_u32_e32 v59, vcc, 0xffffffc4, v103
	v_addc_co_u32_e32 v60, vcc, -1, v104, vcc
	v_cmp_gt_i64_e32 vcc, s[12:13], v[59:60]
	v_mov_b32_e32 v59, 0
	v_mov_b32_e32 v61, 0
	v_mov_b32_e32 v60, 0
	v_mov_b32_e32 v62, 0
	s_and_saveexec_b64 s[0:1], vcc
	s_cbranch_execz .LBB134_65
; %bb.64:                               ;   in Loop: Header=BB134_52 Depth=1
	v_add_co_u32_e32 v9, vcc, v90, v49
	v_addc_co_u32_e32 v10, vcc, v91, v50, vcc
	v_add_co_u32_e32 v61, vcc, v92, v49
	v_addc_co_u32_e32 v62, vcc, v93, v50, vcc
	global_load_dwordx2 v[9:10], v[9:10], off
	s_nop 0
	global_load_dwordx2 v[61:62], v[61:62], off
.LBB134_65:                             ;   in Loop: Header=BB134_52 Depth=1
	s_or_b64 exec, exec, s[0:1]
	v_add_co_u32_e32 v63, vcc, 0xffffffc5, v103
	v_addc_co_u32_e32 v64, vcc, -1, v104, vcc
	v_cmp_gt_i64_e32 vcc, s[12:13], v[63:64]
	s_and_saveexec_b64 s[0:1], vcc
	s_cbranch_execz .LBB134_67
; %bb.66:                               ;   in Loop: Header=BB134_52 Depth=1
	v_add_co_u32_e32 v11, vcc, v86, v49
	v_addc_co_u32_e32 v12, vcc, v87, v50, vcc
	v_add_co_u32_e32 v59, vcc, v88, v49
	v_addc_co_u32_e32 v60, vcc, v89, v50, vcc
	global_load_dwordx2 v[11:12], v[11:12], off
	s_nop 0
	global_load_dwordx2 v[59:60], v[59:60], off
.LBB134_67:                             ;   in Loop: Header=BB134_52 Depth=1
	s_or_b64 exec, exec, s[0:1]
	v_add_co_u32_e32 v63, vcc, 0xffffffc6, v103
	v_addc_co_u32_e32 v64, vcc, -1, v104, vcc
	v_cmp_gt_i64_e32 vcc, s[12:13], v[63:64]
	v_mov_b32_e32 v63, 0
	v_mov_b32_e32 v65, 0
	v_mov_b32_e32 v64, 0
	v_mov_b32_e32 v66, 0
	s_and_saveexec_b64 s[0:1], vcc
	s_cbranch_execz .LBB134_69
; %bb.68:                               ;   in Loop: Header=BB134_52 Depth=1
	v_add_co_u32_e32 v13, vcc, v82, v49
	v_addc_co_u32_e32 v14, vcc, v83, v50, vcc
	v_add_co_u32_e32 v65, vcc, v84, v49
	v_addc_co_u32_e32 v66, vcc, v85, v50, vcc
	global_load_dwordx2 v[13:14], v[13:14], off
	s_nop 0
	global_load_dwordx2 v[65:66], v[65:66], off
.LBB134_69:                             ;   in Loop: Header=BB134_52 Depth=1
	s_or_b64 exec, exec, s[0:1]
	v_add_co_u32_e32 v67, vcc, 0xffffffc7, v103
	v_addc_co_u32_e32 v68, vcc, -1, v104, vcc
	v_cmp_gt_i64_e32 vcc, s[12:13], v[67:68]
	s_and_saveexec_b64 s[0:1], vcc
	s_cbranch_execz .LBB134_71
; %bb.70:                               ;   in Loop: Header=BB134_52 Depth=1
	v_add_co_u32_e32 v15, vcc, v78, v49
	v_addc_co_u32_e32 v16, vcc, v79, v50, vcc
	v_add_co_u32_e32 v63, vcc, v80, v49
	v_addc_co_u32_e32 v64, vcc, v81, v50, vcc
	global_load_dwordx2 v[15:16], v[15:16], off
	s_nop 0
	global_load_dwordx2 v[63:64], v[63:64], off
.LBB134_71:                             ;   in Loop: Header=BB134_52 Depth=1
	s_or_b64 exec, exec, s[0:1]
	v_add_co_u32_e32 v67, vcc, 0xffffffc8, v103
	v_addc_co_u32_e32 v68, vcc, -1, v104, vcc
	v_cmp_gt_i64_e32 vcc, s[12:13], v[67:68]
	v_mov_b32_e32 v67, 0
	v_mov_b32_e32 v68, 0
	s_and_saveexec_b64 s[0:1], vcc
	s_cbranch_execz .LBB134_73
; %bb.72:                               ;   in Loop: Header=BB134_52 Depth=1
	v_add_co_u32_e32 v17, vcc, v74, v49
	v_addc_co_u32_e32 v18, vcc, v75, v50, vcc
	v_add_co_u32_e32 v67, vcc, v76, v49
	v_addc_co_u32_e32 v68, vcc, v77, v50, vcc
	global_load_dwordx2 v[17:18], v[17:18], off
	s_nop 0
	global_load_dwordx2 v[67:68], v[67:68], off
.LBB134_73:                             ;   in Loop: Header=BB134_52 Depth=1
	s_or_b64 exec, exec, s[0:1]
	s_waitcnt vmcnt(0)
	v_mul_f64 v[3:4], v[53:54], v[3:4]
	ds_bpermute_b32 v53, v102, v21
	ds_bpermute_b32 v54, v102, v22
	v_mul_f64 v[5:6], v[57:58], v[5:6]
	v_mul_f64 v[7:8], v[55:56], v[7:8]
	;; [unrolled: 1-line block ×3, first 2 shown]
	s_mov_b64 s[0:1], 0
	s_waitcnt lgkmcnt(0)
	v_fma_f64 v[3:4], v[3:4], v[53:54], v[51:52]
	ds_bpermute_b32 v53, v102, v21 offset:4
	ds_bpermute_b32 v54, v102, v22 offset:4
	s_waitcnt lgkmcnt(0)
	v_fma_f64 v[3:4], v[5:6], v[53:54], v[3:4]
	ds_bpermute_b32 v5, v102, v21 offset:8
	ds_bpermute_b32 v6, v102, v22 offset:8
	;; [unrolled: 4-line block ×3, first 2 shown]
	v_mul_f64 v[7:8], v[59:60], v[11:12]
	s_waitcnt lgkmcnt(0)
	v_fma_f64 v[3:4], v[9:10], v[5:6], v[3:4]
	ds_bpermute_b32 v5, v102, v21 offset:16
	ds_bpermute_b32 v6, v102, v22 offset:16
	v_mul_f64 v[9:10], v[65:66], v[13:14]
	s_waitcnt lgkmcnt(0)
	v_fma_f64 v[3:4], v[7:8], v[5:6], v[3:4]
	ds_bpermute_b32 v5, v102, v21 offset:20
	ds_bpermute_b32 v6, v102, v22 offset:20
	;; [unrolled: 5-line block ×3, first 2 shown]
	s_waitcnt lgkmcnt(0)
	v_fma_f64 v[3:4], v[7:8], v[5:6], v[3:4]
	v_mul_f64 v[5:6], v[67:68], v[17:18]
	ds_bpermute_b32 v7, v102, v21 offset:28
	ds_bpermute_b32 v8, v102, v22 offset:28
	s_waitcnt lgkmcnt(0)
	v_fma_f64 v[21:22], v[5:6], v[7:8], v[3:4]
.LBB134_74:                             ;   in Loop: Header=BB134_52 Depth=1
	s_and_b64 vcc, exec, s[0:1]
	s_cbranch_vccz .LBB134_80
; %bb.75:                               ;   in Loop: Header=BB134_52 Depth=1
	s_load_dword s0, s[2:3], 0x0
	s_waitcnt lgkmcnt(0)
	s_cmp_lt_u32 s6, s0
	s_cselect_b32 s0, 12, 18
	s_add_u32 s0, s2, s0
	s_addc_u32 s1, s3, 0
	global_load_ushort v3, v2, s[0:1]
	s_waitcnt vmcnt(0)
	v_mad_u32_u24 v3, v1, v3, v0
	v_and_b32_e32 v5, 63, v3
	v_mov_b32_e32 v3, 0
	v_mov_b32_e32 v4, 0
	v_cmp_gt_u32_e32 vcc, 8, v5
	s_and_saveexec_b64 s[0:1], vcc
	s_cbranch_execz .LBB134_79
; %bb.76:                               ;   in Loop: Header=BB134_52 Depth=1
	v_add_co_u32_e32 v3, vcc, v103, v5
	v_addc_co_u32_e32 v4, vcc, 0, v104, vcc
	v_add_co_u32_e32 v5, vcc, 0xffffffc1, v3
	v_addc_co_u32_e32 v6, vcc, -1, v4, vcc
	v_cmp_gt_i64_e32 vcc, s[12:13], v[5:6]
	v_mov_b32_e32 v3, 0
	v_mov_b32_e32 v4, 0
	s_and_saveexec_b64 s[16:17], vcc
	s_cbranch_execz .LBB134_78
; %bb.77:                               ;   in Loop: Header=BB134_52 Depth=1
	v_lshlrev_b64 v[3:4], 3, v[5:6]
	v_mov_b32_e32 v5, s11
	v_add_co_u32_e32 v3, vcc, s10, v3
	v_addc_co_u32_e32 v4, vcc, v5, v4, vcc
	global_load_dwordx2 v[3:4], v[3:4], off
.LBB134_78:                             ;   in Loop: Header=BB134_52 Depth=1
	s_or_b64 exec, exec, s[16:17]
.LBB134_79:                             ;   in Loop: Header=BB134_52 Depth=1
	s_or_b64 exec, exec, s[0:1]
	v_add_co_u32_e32 v5, vcc, v70, v49
	v_addc_co_u32_e32 v6, vcc, v71, v50, vcc
	v_add_co_u32_e32 v7, vcc, v72, v49
	v_addc_co_u32_e32 v8, vcc, v73, v50, vcc
	global_load_dwordx2 v[5:6], v[5:6], off
	v_add_co_u32_e32 v9, vcc, v19, v49
	global_load_dwordx2 v[7:8], v[7:8], off
	v_addc_co_u32_e32 v10, vcc, v20, v50, vcc
	v_add_co_u32_e32 v11, vcc, v23, v49
	v_addc_co_u32_e32 v12, vcc, v24, v50, vcc
	global_load_dwordx2 v[9:10], v[9:10], off
	v_add_co_u32_e32 v13, vcc, v25, v49
	global_load_dwordx2 v[11:12], v[11:12], off
	;; [unrolled: 6-line block ×7, first 2 shown]
	v_addc_co_u32_e32 v66, vcc, v46, v50, vcc
	v_add_co_u32_e32 v67, vcc, v47, v49
	v_addc_co_u32_e32 v68, vcc, v48, v50, vcc
	global_load_dwordx2 v[65:66], v[65:66], off
	s_waitcnt vmcnt(13)
	v_mul_f64 v[5:6], v[5:6], v[7:8]
	global_load_dwordx2 v[67:68], v[67:68], off
	ds_bpermute_b32 v7, v102, v3
	ds_bpermute_b32 v8, v102, v4
	s_waitcnt lgkmcnt(0)
	v_fma_f64 v[5:6], v[5:6], v[7:8], v[51:52]
	ds_bpermute_b32 v7, v102, v3 offset:4
	s_waitcnt vmcnt(12)
	v_mul_f64 v[9:10], v[9:10], v[11:12]
	ds_bpermute_b32 v8, v102, v4 offset:4
	s_waitcnt lgkmcnt(0)
	v_fma_f64 v[5:6], v[9:10], v[7:8], v[5:6]
	ds_bpermute_b32 v7, v102, v3 offset:8
	s_waitcnt vmcnt(10)
	v_mul_f64 v[11:12], v[13:14], v[15:16]
	ds_bpermute_b32 v8, v102, v4 offset:8
	;; [unrolled: 6-line block ×6, first 2 shown]
	ds_bpermute_b32 v3, v102, v3 offset:28
	ds_bpermute_b32 v4, v102, v4 offset:28
	s_waitcnt lgkmcnt(2)
	v_fma_f64 v[5:6], v[11:12], v[7:8], v[5:6]
	s_waitcnt vmcnt(0)
	v_mul_f64 v[7:8], v[65:66], v[67:68]
	s_waitcnt lgkmcnt(0)
	v_fma_f64 v[21:22], v[7:8], v[3:4], v[5:6]
.LBB134_80:                             ;   in Loop: Header=BB134_52 Depth=1
	v_mov_b32_e32 v5, s9
	v_add_co_u32_e32 v70, vcc, s8, v70
	v_addc_co_u32_e32 v71, vcc, v71, v5, vcc
	v_add_co_u32_e32 v72, vcc, s8, v72
	v_addc_co_u32_e32 v73, vcc, v73, v5, vcc
	;; [unrolled: 2-line block ×28, first 2 shown]
	s_add_u32 s20, s20, s7
	v_add_co_u32_e32 v98, vcc, s8, v98
	v_mov_b32_e32 v3, s12
	s_addc_u32 s21, s21, 0
	v_addc_co_u32_e32 v99, vcc, v99, v5, vcc
	v_mov_b32_e32 v4, s13
	v_cmp_ge_i64_e32 vcc, s[20:21], v[3:4]
	s_add_u32 s22, s22, s7
	v_add_co_u32_e64 v100, s[0:1], s8, v100
	s_addc_u32 s23, s23, 0
	v_addc_co_u32_e64 v101, s[0:1], v101, v5, s[0:1]
	s_cbranch_vccnz .LBB134_82
; %bb.81:                               ;   in Loop: Header=BB134_52 Depth=1
	v_mov_b32_e32 v52, v22
	v_mov_b32_e32 v51, v21
	s_branch .LBB134_52
.LBB134_82:
	v_mad_u32_u24 v4, v1, 33, v0
	v_mov_b32_e32 v2, 0
	v_sub_u32_e32 v6, v4, v1
	s_movk_i32 s0, 0x800
	v_lshl_add_u32 v5, v4, 3, 0
	v_mov_b32_e32 v3, v2
	v_cmp_gt_u32_e32 vcc, s0, v6
	ds_write_b64 v5, v[21:22]
	ds_write_b64 v5, v[2:3] offset:2112
	s_waitcnt lgkmcnt(0)
	s_barrier
	s_and_saveexec_b64 s[0:1], vcc
	s_cbranch_execz .LBB134_122
; %bb.83:
	s_load_dwordx2 s[4:5], s[4:5], 0x30
	v_and_b32_e32 v1, 63, v6
	v_lshrrev_b32_e32 v4, 6, v6
	v_cmp_gt_u32_e32 vcc, 8, v1
	v_mul_u32_u24_e32 v5, 33, v1
                                        ; implicit-def: $vgpr1_vgpr2
	s_and_saveexec_b64 s[0:1], vcc
; %bb.84:
	v_lshlrev_b32_e32 v1, 3, v4
	v_lshlrev_b32_e32 v2, 3, v5
	v_add3_u32 v1, 0, v1, v2
	ds_read_b64 v[1:2], v1
; %bb.85:
	s_or_b64 exec, exec, s[0:1]
	v_mbcnt_lo_u32_b32 v3, -1, 0
	v_mbcnt_hi_u32_b32 v3, -1, v3
	v_and_b32_e32 v7, 64, v3
	v_add_u32_e32 v11, 64, v7
	v_xor_b32_e32 v7, 4, v3
	v_cmp_lt_i32_e64 s[0:1], v7, v11
	v_cndmask_b32_e64 v7, v3, v7, s[0:1]
	v_lshlrev_b32_e32 v7, 2, v7
	s_waitcnt lgkmcnt(0)
	ds_bpermute_b32 v8, v7, v1
	ds_bpermute_b32 v9, v7, v2
	s_mov_b32 s7, 0
	s_lshl_b64 s[6:7], s[6:7], 5
	s_cmp_eq_u64 s[4:5], 0
	s_cselect_b64 s[8:9], -1, 0
	s_waitcnt lgkmcnt(0)
	v_add_f64 v[1:2], v[1:2], v[8:9]
	v_xor_b32_e32 v8, 2, v3
	v_cmp_lt_i32_e64 s[0:1], v8, v11
	v_cndmask_b32_e64 v8, v3, v8, s[0:1]
	v_lshlrev_b32_e32 v8, 2, v8
	ds_bpermute_b32 v9, v8, v1
	ds_bpermute_b32 v10, v8, v2
	s_waitcnt lgkmcnt(0)
	v_add_f64 v[1:2], v[1:2], v[9:10]
	v_xor_b32_e32 v9, 1, v3
	v_cmp_lt_i32_e64 s[0:1], v9, v11
	v_cndmask_b32_e64 v3, v3, v9, s[0:1]
	v_lshlrev_b32_e32 v9, 2, v3
	v_cmp_ne_u32_e64 s[0:1], 0, v0
	v_mov_b32_e32 v3, s7
	ds_bpermute_b32 v10, v9, v1
	ds_bpermute_b32 v11, v9, v2
	s_waitcnt lgkmcnt(0)
	v_add_f64 v[0:1], v[1:2], v[10:11]
	v_or_b32_e32 v2, s6, v4
	v_cmp_le_i64_e64 s[2:3], s[14:15], v[2:3]
	s_or_b64 s[2:3], s[0:1], s[2:3]
	s_nor_b64 s[2:3], s[8:9], s[2:3]
	s_and_saveexec_b64 s[10:11], s[2:3]
	s_cbranch_execz .LBB134_87
; %bb.86:
	v_lshlrev_b64 v[2:3], 3, v[2:3]
	v_mov_b32_e32 v10, s5
	v_add_co_u32_e64 v2, s[2:3], s4, v2
	v_addc_co_u32_e64 v3, s[2:3], v10, v3, s[2:3]
	global_store_dwordx2 v[2:3], v[0:1], off
.LBB134_87:
	s_or_b64 exec, exec, s[10:11]
	s_movk_i32 s2, 0x700
	v_cmp_gt_u32_e64 s[2:3], s2, v6
	s_and_b64 exec, exec, s[2:3]
	s_cbranch_execz .LBB134_122
; %bb.88:
	s_and_saveexec_b64 s[2:3], vcc
; %bb.89:
	v_lshlrev_b32_e32 v0, 3, v4
	v_lshlrev_b32_e32 v1, 3, v5
	v_add3_u32 v0, 0, v0, v1
	ds_read_b64 v[0:1], v0 offset:32
; %bb.90:
	s_or_b64 exec, exec, s[2:3]
	s_waitcnt lgkmcnt(0)
	ds_bpermute_b32 v2, v7, v0
	ds_bpermute_b32 v3, v7, v1
	v_add_u32_e32 v10, 4, v4
	v_mov_b32_e32 v11, s7
	s_waitcnt lgkmcnt(0)
	v_add_f64 v[0:1], v[0:1], v[2:3]
	ds_bpermute_b32 v2, v8, v0
	ds_bpermute_b32 v3, v8, v1
	s_waitcnt lgkmcnt(0)
	v_add_f64 v[0:1], v[0:1], v[2:3]
	ds_bpermute_b32 v2, v9, v0
	ds_bpermute_b32 v3, v9, v1
	s_waitcnt lgkmcnt(0)
	v_add_f64 v[0:1], v[0:1], v[2:3]
	v_add_co_u32_e64 v2, s[2:3], s6, v10
	v_addc_co_u32_e64 v3, s[2:3], 0, v11, s[2:3]
	v_cmp_le_i64_e64 s[2:3], s[14:15], v[2:3]
	s_or_b64 s[2:3], s[0:1], s[2:3]
	s_nor_b64 s[2:3], s[8:9], s[2:3]
	s_and_saveexec_b64 s[10:11], s[2:3]
	s_cbranch_execz .LBB134_92
; %bb.91:
	v_mov_b32_e32 v3, s7
	v_add_co_u32_e64 v2, s[2:3], s6, v4
	v_addc_co_u32_e64 v3, s[2:3], 0, v3, s[2:3]
	v_lshlrev_b64 v[2:3], 3, v[2:3]
	v_mov_b32_e32 v10, s5
	v_add_co_u32_e64 v2, s[2:3], s4, v2
	v_addc_co_u32_e64 v3, s[2:3], v10, v3, s[2:3]
	global_store_dwordx2 v[2:3], v[0:1], off offset:32
.LBB134_92:
	s_or_b64 exec, exec, s[10:11]
	s_movk_i32 s2, 0x600
	v_cmp_gt_u32_e64 s[2:3], s2, v6
	s_and_b64 exec, exec, s[2:3]
	s_cbranch_execz .LBB134_122
; %bb.93:
	s_and_saveexec_b64 s[2:3], vcc
; %bb.94:
	v_lshlrev_b32_e32 v0, 3, v4
	v_lshlrev_b32_e32 v1, 3, v5
	v_add3_u32 v0, 0, v0, v1
	ds_read_b64 v[0:1], v0 offset:64
; %bb.95:
	s_or_b64 exec, exec, s[2:3]
	s_waitcnt lgkmcnt(0)
	ds_bpermute_b32 v2, v7, v0
	ds_bpermute_b32 v3, v7, v1
	v_add_u32_e32 v10, 8, v4
	v_mov_b32_e32 v11, s7
	s_waitcnt lgkmcnt(0)
	v_add_f64 v[0:1], v[0:1], v[2:3]
	ds_bpermute_b32 v2, v8, v0
	ds_bpermute_b32 v3, v8, v1
	s_waitcnt lgkmcnt(0)
	v_add_f64 v[0:1], v[0:1], v[2:3]
	ds_bpermute_b32 v2, v9, v0
	ds_bpermute_b32 v3, v9, v1
	s_waitcnt lgkmcnt(0)
	v_add_f64 v[0:1], v[0:1], v[2:3]
	v_add_co_u32_e64 v2, s[2:3], s6, v10
	v_addc_co_u32_e64 v3, s[2:3], 0, v11, s[2:3]
	v_cmp_le_i64_e64 s[2:3], s[14:15], v[2:3]
	s_or_b64 s[2:3], s[0:1], s[2:3]
	s_nor_b64 s[2:3], s[8:9], s[2:3]
	s_and_saveexec_b64 s[10:11], s[2:3]
	s_cbranch_execz .LBB134_97
; %bb.96:
	v_mov_b32_e32 v3, s7
	v_add_co_u32_e64 v2, s[2:3], s6, v4
	v_addc_co_u32_e64 v3, s[2:3], 0, v3, s[2:3]
	v_lshlrev_b64 v[2:3], 3, v[2:3]
	v_mov_b32_e32 v10, s5
	v_add_co_u32_e64 v2, s[2:3], s4, v2
	v_addc_co_u32_e64 v3, s[2:3], v10, v3, s[2:3]
	global_store_dwordx2 v[2:3], v[0:1], off offset:64
.LBB134_97:
	;; [unrolled: 46-line block ×3, first 2 shown]
	s_or_b64 exec, exec, s[10:11]
	s_movk_i32 s2, 0x400
	v_cmp_gt_u32_e64 s[2:3], s2, v6
	s_and_b64 exec, exec, s[2:3]
	s_cbranch_execz .LBB134_122
; %bb.103:
	s_and_saveexec_b64 s[2:3], vcc
; %bb.104:
	v_lshlrev_b32_e32 v0, 3, v4
	v_lshlrev_b32_e32 v1, 3, v5
	v_add3_u32 v0, 0, v0, v1
	ds_read_b64 v[0:1], v0 offset:128
; %bb.105:
	s_or_b64 exec, exec, s[2:3]
	s_waitcnt lgkmcnt(0)
	ds_bpermute_b32 v2, v7, v0
	ds_bpermute_b32 v3, v7, v1
	s_waitcnt lgkmcnt(0)
	v_add_f64 v[0:1], v[0:1], v[2:3]
	ds_bpermute_b32 v2, v8, v0
	ds_bpermute_b32 v3, v8, v1
	s_waitcnt lgkmcnt(0)
	v_add_f64 v[0:1], v[0:1], v[2:3]
	;; [unrolled: 4-line block ×3, first 2 shown]
	v_add_u32_e32 v2, 16, v4
	v_or_b32_e32 v2, s6, v2
	v_mov_b32_e32 v3, s7
	v_cmp_le_i64_e64 s[2:3], s[14:15], v[2:3]
	s_or_b64 s[2:3], s[0:1], s[2:3]
	s_nor_b64 s[2:3], s[8:9], s[2:3]
	s_and_saveexec_b64 s[10:11], s[2:3]
	s_cbranch_execz .LBB134_107
; %bb.106:
	v_mov_b32_e32 v3, s7
	v_add_co_u32_e64 v2, s[2:3], s6, v4
	v_addc_co_u32_e64 v3, s[2:3], 0, v3, s[2:3]
	v_lshlrev_b64 v[2:3], 3, v[2:3]
	v_mov_b32_e32 v10, s5
	v_add_co_u32_e64 v2, s[2:3], s4, v2
	v_addc_co_u32_e64 v3, s[2:3], v10, v3, s[2:3]
	global_store_dwordx2 v[2:3], v[0:1], off offset:128
.LBB134_107:
	s_or_b64 exec, exec, s[10:11]
	s_movk_i32 s2, 0x300
	v_cmp_gt_u32_e64 s[2:3], s2, v6
	s_and_b64 exec, exec, s[2:3]
	s_cbranch_execz .LBB134_122
; %bb.108:
	s_and_saveexec_b64 s[2:3], vcc
; %bb.109:
	v_lshlrev_b32_e32 v0, 3, v4
	v_lshlrev_b32_e32 v1, 3, v5
	v_add3_u32 v0, 0, v0, v1
	ds_read_b64 v[0:1], v0 offset:160
; %bb.110:
	s_or_b64 exec, exec, s[2:3]
	s_waitcnt lgkmcnt(0)
	ds_bpermute_b32 v2, v7, v0
	ds_bpermute_b32 v3, v7, v1
	v_add_u32_e32 v10, 20, v4
	v_mov_b32_e32 v11, s7
	s_waitcnt lgkmcnt(0)
	v_add_f64 v[0:1], v[0:1], v[2:3]
	ds_bpermute_b32 v2, v8, v0
	ds_bpermute_b32 v3, v8, v1
	s_waitcnt lgkmcnt(0)
	v_add_f64 v[0:1], v[0:1], v[2:3]
	ds_bpermute_b32 v2, v9, v0
	ds_bpermute_b32 v3, v9, v1
	s_waitcnt lgkmcnt(0)
	v_add_f64 v[0:1], v[0:1], v[2:3]
	v_add_co_u32_e64 v2, s[2:3], s6, v10
	v_addc_co_u32_e64 v3, s[2:3], 0, v11, s[2:3]
	v_cmp_le_i64_e64 s[2:3], s[14:15], v[2:3]
	s_or_b64 s[2:3], s[0:1], s[2:3]
	s_nor_b64 s[2:3], s[8:9], s[2:3]
	s_and_saveexec_b64 s[10:11], s[2:3]
	s_cbranch_execz .LBB134_112
; %bb.111:
	v_mov_b32_e32 v3, s7
	v_add_co_u32_e64 v2, s[2:3], s6, v4
	v_addc_co_u32_e64 v3, s[2:3], 0, v3, s[2:3]
	v_lshlrev_b64 v[2:3], 3, v[2:3]
	v_mov_b32_e32 v10, s5
	v_add_co_u32_e64 v2, s[2:3], s4, v2
	v_addc_co_u32_e64 v3, s[2:3], v10, v3, s[2:3]
	global_store_dwordx2 v[2:3], v[0:1], off offset:160
.LBB134_112:
	s_or_b64 exec, exec, s[10:11]
	s_movk_i32 s2, 0x200
	v_cmp_gt_u32_e64 s[2:3], s2, v6
	s_and_b64 exec, exec, s[2:3]
	s_cbranch_execz .LBB134_122
; %bb.113:
	s_and_saveexec_b64 s[2:3], vcc
; %bb.114:
	v_lshlrev_b32_e32 v0, 3, v4
	v_lshlrev_b32_e32 v1, 3, v5
	v_add3_u32 v0, 0, v0, v1
	ds_read_b64 v[0:1], v0 offset:192
; %bb.115:
	s_or_b64 exec, exec, s[2:3]
	s_waitcnt lgkmcnt(0)
	ds_bpermute_b32 v2, v7, v0
	ds_bpermute_b32 v3, v7, v1
	s_waitcnt lgkmcnt(0)
	v_add_f64 v[0:1], v[0:1], v[2:3]
	ds_bpermute_b32 v2, v8, v0
	ds_bpermute_b32 v3, v8, v1
	s_waitcnt lgkmcnt(0)
	v_add_f64 v[0:1], v[0:1], v[2:3]
	;; [unrolled: 4-line block ×3, first 2 shown]
	v_add_u32_e32 v2, 24, v4
	v_or_b32_e32 v2, s6, v2
	v_mov_b32_e32 v3, s7
	v_cmp_le_i64_e64 s[2:3], s[14:15], v[2:3]
	s_or_b64 s[2:3], s[0:1], s[2:3]
	s_nor_b64 s[2:3], s[8:9], s[2:3]
	s_and_saveexec_b64 s[10:11], s[2:3]
	s_cbranch_execz .LBB134_117
; %bb.116:
	v_mov_b32_e32 v3, s7
	v_add_co_u32_e64 v2, s[2:3], s6, v4
	v_addc_co_u32_e64 v3, s[2:3], 0, v3, s[2:3]
	v_lshlrev_b64 v[2:3], 3, v[2:3]
	v_mov_b32_e32 v10, s5
	v_add_co_u32_e64 v2, s[2:3], s4, v2
	v_addc_co_u32_e64 v3, s[2:3], v10, v3, s[2:3]
	global_store_dwordx2 v[2:3], v[0:1], off offset:192
.LBB134_117:
	s_or_b64 exec, exec, s[10:11]
	s_movk_i32 s2, 0x100
	v_cmp_gt_u32_e64 s[2:3], s2, v6
	s_and_b64 exec, exec, s[2:3]
	s_cbranch_execz .LBB134_122
; %bb.118:
	s_and_saveexec_b64 s[2:3], vcc
; %bb.119:
	v_lshlrev_b32_e32 v0, 3, v4
	v_lshlrev_b32_e32 v1, 3, v5
	v_add3_u32 v0, 0, v0, v1
	ds_read_b64 v[0:1], v0 offset:224
; %bb.120:
	s_or_b64 exec, exec, s[2:3]
	s_waitcnt lgkmcnt(0)
	ds_bpermute_b32 v2, v7, v0
	ds_bpermute_b32 v3, v7, v1
	v_mov_b32_e32 v6, s7
	s_waitcnt lgkmcnt(0)
	v_add_f64 v[0:1], v[0:1], v[2:3]
	ds_bpermute_b32 v2, v8, v0
	ds_bpermute_b32 v3, v8, v1
	s_waitcnt lgkmcnt(0)
	v_add_f64 v[0:1], v[0:1], v[2:3]
	v_add_u32_e32 v2, 28, v4
	v_or_b32_e32 v5, s6, v2
	v_cmp_le_i64_e32 vcc, s[14:15], v[5:6]
	s_or_b64 s[0:1], s[0:1], vcc
	s_nor_b64 s[0:1], s[8:9], s[0:1]
	ds_bpermute_b32 v2, v9, v0
	ds_bpermute_b32 v3, v9, v1
	s_and_saveexec_b64 s[2:3], s[0:1]
	s_xor_b64 s[2:3], exec, s[2:3]
	s_cbranch_execz .LBB134_122
; %bb.121:
	s_waitcnt lgkmcnt(0)
	v_add_f64 v[0:1], v[0:1], v[2:3]
	v_mov_b32_e32 v3, s7
	v_add_co_u32_e32 v2, vcc, s6, v4
	v_addc_co_u32_e32 v3, vcc, 0, v3, vcc
	v_lshlrev_b64 v[2:3], 3, v[2:3]
	v_mov_b32_e32 v4, s5
	v_add_co_u32_e32 v2, vcc, s4, v2
	v_addc_co_u32_e32 v3, vcc, v4, v3, vcc
	global_store_dwordx2 v[2:3], v[0:1], off offset:224
.LBB134_122:
	s_endpgm
	.section	.rodata,"a",@progbits
	.p2align	6, 0x0
	.amdhsa_kernel _ZN2at6native12_GLOBAL__N_135GammaBetaBackwardCUDAKernelTemplateIddLj32ELj8ELj64ELb0ELb0ELb1EEEvllPKT_S5_PKT0_S8_PS3_S9_
		.amdhsa_group_segment_fixed_size 0
		.amdhsa_private_segment_fixed_size 0
		.amdhsa_kernarg_size 320
		.amdhsa_user_sgpr_count 6
		.amdhsa_user_sgpr_private_segment_buffer 1
		.amdhsa_user_sgpr_dispatch_ptr 0
		.amdhsa_user_sgpr_queue_ptr 0
		.amdhsa_user_sgpr_kernarg_segment_ptr 1
		.amdhsa_user_sgpr_dispatch_id 0
		.amdhsa_user_sgpr_flat_scratch_init 0
		.amdhsa_user_sgpr_private_segment_size 0
		.amdhsa_uses_dynamic_stack 0
		.amdhsa_system_sgpr_private_segment_wavefront_offset 0
		.amdhsa_system_sgpr_workgroup_id_x 1
		.amdhsa_system_sgpr_workgroup_id_y 1
		.amdhsa_system_sgpr_workgroup_id_z 0
		.amdhsa_system_sgpr_workgroup_info 0
		.amdhsa_system_vgpr_workitem_id 1
		.amdhsa_next_free_vgpr 105
		.amdhsa_next_free_sgpr 34
		.amdhsa_reserve_vcc 1
		.amdhsa_reserve_flat_scratch 0
		.amdhsa_float_round_mode_32 0
		.amdhsa_float_round_mode_16_64 0
		.amdhsa_float_denorm_mode_32 3
		.amdhsa_float_denorm_mode_16_64 3
		.amdhsa_dx10_clamp 1
		.amdhsa_ieee_mode 1
		.amdhsa_fp16_overflow 0
		.amdhsa_exception_fp_ieee_invalid_op 0
		.amdhsa_exception_fp_denorm_src 0
		.amdhsa_exception_fp_ieee_div_zero 0
		.amdhsa_exception_fp_ieee_overflow 0
		.amdhsa_exception_fp_ieee_underflow 0
		.amdhsa_exception_fp_ieee_inexact 0
		.amdhsa_exception_int_div_zero 0
	.end_amdhsa_kernel
	.section	.text._ZN2at6native12_GLOBAL__N_135GammaBetaBackwardCUDAKernelTemplateIddLj32ELj8ELj64ELb0ELb0ELb1EEEvllPKT_S5_PKT0_S8_PS3_S9_,"axG",@progbits,_ZN2at6native12_GLOBAL__N_135GammaBetaBackwardCUDAKernelTemplateIddLj32ELj8ELj64ELb0ELb0ELb1EEEvllPKT_S5_PKT0_S8_PS3_S9_,comdat
.Lfunc_end134:
	.size	_ZN2at6native12_GLOBAL__N_135GammaBetaBackwardCUDAKernelTemplateIddLj32ELj8ELj64ELb0ELb0ELb1EEEvllPKT_S5_PKT0_S8_PS3_S9_, .Lfunc_end134-_ZN2at6native12_GLOBAL__N_135GammaBetaBackwardCUDAKernelTemplateIddLj32ELj8ELj64ELb0ELb0ELb1EEEvllPKT_S5_PKT0_S8_PS3_S9_
                                        ; -- End function
	.set _ZN2at6native12_GLOBAL__N_135GammaBetaBackwardCUDAKernelTemplateIddLj32ELj8ELj64ELb0ELb0ELb1EEEvllPKT_S5_PKT0_S8_PS3_S9_.num_vgpr, 105
	.set _ZN2at6native12_GLOBAL__N_135GammaBetaBackwardCUDAKernelTemplateIddLj32ELj8ELj64ELb0ELb0ELb1EEEvllPKT_S5_PKT0_S8_PS3_S9_.num_agpr, 0
	.set _ZN2at6native12_GLOBAL__N_135GammaBetaBackwardCUDAKernelTemplateIddLj32ELj8ELj64ELb0ELb0ELb1EEEvllPKT_S5_PKT0_S8_PS3_S9_.numbered_sgpr, 34
	.set _ZN2at6native12_GLOBAL__N_135GammaBetaBackwardCUDAKernelTemplateIddLj32ELj8ELj64ELb0ELb0ELb1EEEvllPKT_S5_PKT0_S8_PS3_S9_.num_named_barrier, 0
	.set _ZN2at6native12_GLOBAL__N_135GammaBetaBackwardCUDAKernelTemplateIddLj32ELj8ELj64ELb0ELb0ELb1EEEvllPKT_S5_PKT0_S8_PS3_S9_.private_seg_size, 0
	.set _ZN2at6native12_GLOBAL__N_135GammaBetaBackwardCUDAKernelTemplateIddLj32ELj8ELj64ELb0ELb0ELb1EEEvllPKT_S5_PKT0_S8_PS3_S9_.uses_vcc, 1
	.set _ZN2at6native12_GLOBAL__N_135GammaBetaBackwardCUDAKernelTemplateIddLj32ELj8ELj64ELb0ELb0ELb1EEEvllPKT_S5_PKT0_S8_PS3_S9_.uses_flat_scratch, 0
	.set _ZN2at6native12_GLOBAL__N_135GammaBetaBackwardCUDAKernelTemplateIddLj32ELj8ELj64ELb0ELb0ELb1EEEvllPKT_S5_PKT0_S8_PS3_S9_.has_dyn_sized_stack, 0
	.set _ZN2at6native12_GLOBAL__N_135GammaBetaBackwardCUDAKernelTemplateIddLj32ELj8ELj64ELb0ELb0ELb1EEEvllPKT_S5_PKT0_S8_PS3_S9_.has_recursion, 0
	.set _ZN2at6native12_GLOBAL__N_135GammaBetaBackwardCUDAKernelTemplateIddLj32ELj8ELj64ELb0ELb0ELb1EEEvllPKT_S5_PKT0_S8_PS3_S9_.has_indirect_call, 0
	.section	.AMDGPU.csdata,"",@progbits
; Kernel info:
; codeLenInByte = 8664
; TotalNumSgprs: 38
; NumVgprs: 105
; ScratchSize: 0
; MemoryBound: 0
; FloatMode: 240
; IeeeMode: 1
; LDSByteSize: 0 bytes/workgroup (compile time only)
; SGPRBlocks: 4
; VGPRBlocks: 26
; NumSGPRsForWavesPerEU: 38
; NumVGPRsForWavesPerEU: 105
; Occupancy: 2
; WaveLimiterHint : 0
; COMPUTE_PGM_RSRC2:SCRATCH_EN: 0
; COMPUTE_PGM_RSRC2:USER_SGPR: 6
; COMPUTE_PGM_RSRC2:TRAP_HANDLER: 0
; COMPUTE_PGM_RSRC2:TGID_X_EN: 1
; COMPUTE_PGM_RSRC2:TGID_Y_EN: 1
; COMPUTE_PGM_RSRC2:TGID_Z_EN: 0
; COMPUTE_PGM_RSRC2:TIDIG_COMP_CNT: 1
	.section	.text._ZN2at6native12_GLOBAL__N_135GammaBetaBackwardCUDAKernelTemplateIddLj32ELj16ELj128ELb0ELb1ELb1EEEvllPKT_S5_PKT0_S8_PS3_S9_,"axG",@progbits,_ZN2at6native12_GLOBAL__N_135GammaBetaBackwardCUDAKernelTemplateIddLj32ELj16ELj128ELb0ELb1ELb1EEEvllPKT_S5_PKT0_S8_PS3_S9_,comdat
	.globl	_ZN2at6native12_GLOBAL__N_135GammaBetaBackwardCUDAKernelTemplateIddLj32ELj16ELj128ELb0ELb1ELb1EEEvllPKT_S5_PKT0_S8_PS3_S9_ ; -- Begin function _ZN2at6native12_GLOBAL__N_135GammaBetaBackwardCUDAKernelTemplateIddLj32ELj16ELj128ELb0ELb1ELb1EEEvllPKT_S5_PKT0_S8_PS3_S9_
	.p2align	8
	.type	_ZN2at6native12_GLOBAL__N_135GammaBetaBackwardCUDAKernelTemplateIddLj32ELj16ELj128ELb0ELb1ELb1EEEvllPKT_S5_PKT0_S8_PS3_S9_,@function
_ZN2at6native12_GLOBAL__N_135GammaBetaBackwardCUDAKernelTemplateIddLj32ELj16ELj128ELb0ELb1ELb1EEEvllPKT_S5_PKT0_S8_PS3_S9_: ; @_ZN2at6native12_GLOBAL__N_135GammaBetaBackwardCUDAKernelTemplateIddLj32ELj16ELj128ELb0ELb1ELb1EEEvllPKT_S5_PKT0_S8_PS3_S9_
; %bb.0:
	s_load_dwordx4 s[8:11], s[4:5], 0x0
	s_lshl_b32 s18, s7, 7
	s_mov_b32 s19, 0
	v_mov_b32_e32 v2, s18
	v_mov_b32_e32 v3, s19
	s_waitcnt lgkmcnt(0)
	v_cmp_gt_i64_e32 vcc, s[8:9], v[2:3]
	s_cbranch_vccnz .LBB135_2
; %bb.1:
	s_mov_b64 s[0:1], 0
	s_branch .LBB135_3
.LBB135_2:
	s_mov_b64 s[0:1], -1
.LBB135_3:
	s_load_dwordx2 s[16:17], s[4:5], 0x30
	v_mov_b32_e32 v8, 0
	v_mov_b32_e32 v9, 0
	s_andn2_b64 vcc, exec, s[0:1]
	v_mbcnt_lo_u32_b32 v10, -1, 0
	s_cbranch_vccnz .LBB135_10
; %bb.4:
	s_load_dword s0, s[4:5], 0x4c
	s_load_dword s7, s[4:5], 0x44
	s_load_dwordx4 s[12:15], s[4:5], 0x10
	s_load_dwordx2 s[2:3], s[4:5], 0x28
	v_lshlrev_b32_e32 v2, 3, v1
	s_waitcnt lgkmcnt(0)
	s_and_b32 s0, s0, 0xffff
	v_mad_u32_u24 v3, v1, s0, v0
	v_and_b32_e32 v3, 63, v3
	v_add_co_u32_e32 v8, vcc, s18, v2
	v_mbcnt_hi_u32_b32 v4, -1, v10
	v_addc_co_u32_e64 v9, s[4:5], 0, 0, vcc
	v_add_co_u32_e32 v2, vcc, v8, v3
	v_cmp_gt_u32_e64 s[0:1], 8, v3
	v_lshlrev_b32_e32 v4, 2, v4
	v_addc_co_u32_e32 v3, vcc, 0, v9, vcc
	v_and_b32_e32 v11, 0x100, v4
	v_lshlrev_b64 v[4:5], 3, v[2:3]
	v_mov_b32_e32 v15, s3
	v_add_co_u32_e32 v4, vcc, s2, v4
	v_mul_lo_u32 v18, s11, v8
	v_mul_lo_u32 v19, s10, v9
	v_mad_u64_u32 v[8:9], s[2:3], s10, v8, 0
	v_mov_b32_e32 v7, 0
	v_lshl_add_u32 v6, s6, 5, v0
	v_add3_u32 v9, v9, v19, v18
	v_lshlrev_b64 v[8:9], 3, v[8:9]
	v_lshlrev_b64 v[6:7], 3, v[6:7]
	v_addc_co_u32_e32 v5, vcc, v15, v5, vcc
	s_lshl_b32 s20, s7, 7
	v_add_co_u32_e32 v19, vcc, v8, v6
	s_mul_i32 s2, s11, s20
	s_mul_hi_u32 s3, s10, s20
	s_mov_b32 s21, 0
	v_addc_co_u32_e32 v20, vcc, v9, v7, vcc
	s_add_i32 s3, s3, s2
	s_mul_i32 s2, s10, s20
	v_mov_b32_e32 v8, 0
	v_or_b32_e32 v12, 4, v11
	v_or_b32_e32 v13, 8, v11
	;; [unrolled: 1-line block ×7, first 2 shown]
	s_lshl_b64 s[22:23], s[20:21], 3
	s_lshl_b64 s[24:25], s[2:3], 3
	v_mov_b32_e32 v9, 0
	s_lshl_b64 s[10:11], s[10:11], 3
	s_branch .LBB135_7
.LBB135_5:                              ;   in Loop: Header=BB135_7 Depth=1
	s_or_b64 exec, exec, s[4:5]
.LBB135_6:                              ;   in Loop: Header=BB135_7 Depth=1
	s_or_b64 exec, exec, s[2:3]
	v_mov_b32_e32 v22, s13
	v_add_co_u32_e32 v21, vcc, s12, v19
	v_addc_co_u32_e32 v22, vcc, v22, v20, vcc
	v_mov_b32_e32 v24, s15
	v_add_co_u32_e32 v23, vcc, s14, v19
	v_addc_co_u32_e32 v24, vcc, v24, v20, vcc
	global_load_dwordx2 v[25:26], v[21:22], off
	global_load_dwordx2 v[27:28], v[23:24], off
	v_mov_b32_e32 v29, s11
	v_add_co_u32_e32 v21, vcc, s10, v21
	v_addc_co_u32_e32 v22, vcc, v22, v29, vcc
	v_add_co_u32_e32 v23, vcc, s10, v23
	v_addc_co_u32_e32 v24, vcc, v24, v29, vcc
	s_add_u32 s18, s18, s20
	s_addc_u32 s19, s19, 0
	v_add_co_u32_e64 v2, s[2:3], s20, v2
	v_add_co_u32_e64 v4, s[4:5], s22, v4
	v_addc_co_u32_e64 v3, s[2:3], 0, v3, s[2:3]
	s_waitcnt vmcnt(0)
	v_mul_f64 v[25:26], v[25:26], v[27:28]
	ds_bpermute_b32 v27, v11, v6
	ds_bpermute_b32 v28, v11, v7
	s_waitcnt lgkmcnt(0)
	v_fma_f64 v[8:9], v[25:26], v[27:28], v[8:9]
	global_load_dwordx2 v[25:26], v[21:22], off
	global_load_dwordx2 v[27:28], v[23:24], off
	v_add_co_u32_e32 v21, vcc, s10, v21
	v_addc_co_u32_e32 v22, vcc, v22, v29, vcc
	v_add_co_u32_e32 v23, vcc, s10, v23
	v_addc_co_u32_e32 v24, vcc, v24, v29, vcc
	s_waitcnt vmcnt(0)
	v_mul_f64 v[25:26], v[25:26], v[27:28]
	ds_bpermute_b32 v27, v12, v6
	ds_bpermute_b32 v28, v12, v7
	s_waitcnt lgkmcnt(0)
	v_fma_f64 v[8:9], v[25:26], v[27:28], v[8:9]
	global_load_dwordx2 v[25:26], v[21:22], off
	global_load_dwordx2 v[27:28], v[23:24], off
	v_add_co_u32_e32 v21, vcc, s10, v21
	v_addc_co_u32_e32 v22, vcc, v22, v29, vcc
	v_add_co_u32_e32 v23, vcc, s10, v23
	v_addc_co_u32_e32 v24, vcc, v24, v29, vcc
	s_waitcnt vmcnt(0)
	v_mul_f64 v[25:26], v[25:26], v[27:28]
	ds_bpermute_b32 v27, v13, v6
	ds_bpermute_b32 v28, v13, v7
	s_waitcnt lgkmcnt(0)
	v_fma_f64 v[8:9], v[25:26], v[27:28], v[8:9]
	global_load_dwordx2 v[25:26], v[21:22], off
	global_load_dwordx2 v[27:28], v[23:24], off
	v_add_co_u32_e32 v21, vcc, s10, v21
	v_addc_co_u32_e32 v22, vcc, v22, v29, vcc
	v_add_co_u32_e32 v23, vcc, s10, v23
	v_addc_co_u32_e32 v24, vcc, v24, v29, vcc
	s_waitcnt vmcnt(0)
	v_mul_f64 v[25:26], v[25:26], v[27:28]
	ds_bpermute_b32 v27, v14, v6
	ds_bpermute_b32 v28, v14, v7
	s_waitcnt lgkmcnt(0)
	v_fma_f64 v[8:9], v[25:26], v[27:28], v[8:9]
	global_load_dwordx2 v[25:26], v[21:22], off
	global_load_dwordx2 v[27:28], v[23:24], off
	v_add_co_u32_e32 v21, vcc, s10, v21
	v_addc_co_u32_e32 v22, vcc, v22, v29, vcc
	v_add_co_u32_e32 v23, vcc, s10, v23
	v_addc_co_u32_e32 v24, vcc, v24, v29, vcc
	s_waitcnt vmcnt(0)
	v_mul_f64 v[25:26], v[25:26], v[27:28]
	ds_bpermute_b32 v27, v15, v6
	ds_bpermute_b32 v28, v15, v7
	s_waitcnt lgkmcnt(0)
	v_fma_f64 v[8:9], v[25:26], v[27:28], v[8:9]
	global_load_dwordx2 v[25:26], v[21:22], off
	global_load_dwordx2 v[27:28], v[23:24], off
	v_add_co_u32_e32 v21, vcc, s10, v21
	v_addc_co_u32_e32 v22, vcc, v22, v29, vcc
	v_add_co_u32_e32 v23, vcc, s10, v23
	v_addc_co_u32_e32 v24, vcc, v24, v29, vcc
	s_waitcnt vmcnt(0)
	v_mul_f64 v[25:26], v[25:26], v[27:28]
	ds_bpermute_b32 v27, v16, v6
	ds_bpermute_b32 v28, v16, v7
	s_waitcnt lgkmcnt(0)
	v_fma_f64 v[8:9], v[25:26], v[27:28], v[8:9]
	global_load_dwordx2 v[25:26], v[21:22], off
	global_load_dwordx2 v[27:28], v[23:24], off
	v_add_co_u32_e32 v21, vcc, s10, v21
	v_addc_co_u32_e32 v22, vcc, v22, v29, vcc
	v_add_co_u32_e32 v23, vcc, s10, v23
	v_addc_co_u32_e32 v24, vcc, v24, v29, vcc
	s_waitcnt vmcnt(0)
	v_mul_f64 v[25:26], v[25:26], v[27:28]
	ds_bpermute_b32 v27, v17, v6
	ds_bpermute_b32 v28, v17, v7
	;; [unrolled: 1-line block ×4, first 2 shown]
	s_waitcnt lgkmcnt(2)
	v_fma_f64 v[8:9], v[25:26], v[27:28], v[8:9]
	global_load_dwordx2 v[25:26], v[21:22], off
	global_load_dwordx2 v[27:28], v[23:24], off
	s_waitcnt vmcnt(0)
	v_mul_f64 v[21:22], v[25:26], v[27:28]
	s_waitcnt lgkmcnt(0)
	v_fma_f64 v[8:9], v[21:22], v[6:7], v[8:9]
	v_mov_b32_e32 v6, s8
	v_mov_b32_e32 v7, s9
	v_cmp_lt_i64_e32 vcc, s[18:19], v[6:7]
	v_mov_b32_e32 v6, s23
	v_addc_co_u32_e64 v5, s[2:3], v5, v6, s[4:5]
	v_mov_b32_e32 v6, s25
	v_add_co_u32_e64 v19, s[2:3], s24, v19
	v_addc_co_u32_e64 v20, s[2:3], v20, v6, s[2:3]
	s_cbranch_vccz .LBB135_10
.LBB135_7:                              ; =>This Inner Loop Header: Depth=1
	v_mov_b32_e32 v6, 0
	v_mov_b32_e32 v7, 0
	s_and_saveexec_b64 s[2:3], s[0:1]
	s_cbranch_execz .LBB135_6
; %bb.8:                                ;   in Loop: Header=BB135_7 Depth=1
	v_cmp_gt_i64_e32 vcc, s[8:9], v[2:3]
	v_mov_b32_e32 v6, 0
	v_mov_b32_e32 v7, 0
	s_and_saveexec_b64 s[4:5], vcc
	s_cbranch_execz .LBB135_5
; %bb.9:                                ;   in Loop: Header=BB135_7 Depth=1
	global_load_dwordx2 v[6:7], v[4:5], off
	s_branch .LBB135_5
.LBB135_10:
	v_mad_u32_u24 v4, v1, 33, v0
	v_mov_b32_e32 v2, 0
	v_lshl_add_u32 v5, v4, 3, 0
	v_mov_b32_e32 v3, v2
	ds_write_b64 v5, v[8:9]
	ds_write_b64 v5, v[2:3] offset:4224
	v_sub_u32_e32 v5, v4, v1
	s_movk_i32 s0, 0x800
	v_cmp_gt_u32_e32 vcc, s0, v5
	s_waitcnt lgkmcnt(0)
	s_barrier
	s_and_saveexec_b64 s[0:1], vcc
	s_cbranch_execz .LBB135_30
; %bb.11:
	v_lshrrev_b32_e32 v1, 6, v5
	v_and_b32_e32 v2, 63, v5
	v_cmp_gt_u32_e32 vcc, 16, v2
	v_mul_u32_u24_e32 v3, 33, v2
	v_lshlrev_b32_e32 v4, 3, v1
                                        ; implicit-def: $vgpr1_vgpr2
	s_and_saveexec_b64 s[0:1], vcc
; %bb.12:
	v_lshlrev_b32_e32 v1, 3, v3
	v_add3_u32 v1, 0, v4, v1
	ds_read_b64 v[1:2], v1
; %bb.13:
	s_or_b64 exec, exec, s[0:1]
	v_mbcnt_hi_u32_b32 v11, -1, v10
	v_and_b32_e32 v6, 64, v11
	v_add_u32_e32 v12, 64, v6
	v_xor_b32_e32 v6, 8, v11
	v_cmp_lt_i32_e64 s[0:1], v6, v12
	v_cndmask_b32_e64 v6, v11, v6, s[0:1]
	v_lshlrev_b32_e32 v6, 2, v6
	s_waitcnt lgkmcnt(0)
	ds_bpermute_b32 v7, v6, v1
	ds_bpermute_b32 v8, v6, v2
	s_cmp_lg_u64 s[16:17], 0
	s_mov_b32 s7, 0
	s_cselect_b64 s[2:3], -1, 0
	s_waitcnt lgkmcnt(0)
	v_add_f64 v[1:2], v[1:2], v[7:8]
	v_xor_b32_e32 v7, 4, v11
	v_cmp_lt_i32_e64 s[0:1], v7, v12
	v_cndmask_b32_e64 v7, v11, v7, s[0:1]
	v_lshlrev_b32_e32 v7, 2, v7
	ds_bpermute_b32 v8, v7, v1
	ds_bpermute_b32 v9, v7, v2
	s_waitcnt lgkmcnt(0)
	v_add_f64 v[1:2], v[1:2], v[8:9]
	v_xor_b32_e32 v8, 2, v11
	v_cmp_lt_i32_e64 s[0:1], v8, v12
	v_cndmask_b32_e64 v8, v11, v8, s[0:1]
	v_lshlrev_b32_e32 v8, 2, v8
	ds_bpermute_b32 v9, v8, v1
	ds_bpermute_b32 v10, v8, v2
	s_waitcnt lgkmcnt(0)
	v_add_f64 v[1:2], v[1:2], v[9:10]
	v_xor_b32_e32 v9, 1, v11
	v_cmp_lt_i32_e64 s[0:1], v9, v12
	v_cndmask_b32_e64 v9, v11, v9, s[0:1]
	v_lshlrev_b32_e32 v9, 2, v9
	v_cmp_eq_u32_e64 s[0:1], 0, v0
	s_and_b64 s[4:5], s[0:1], s[2:3]
	s_lshl_b64 s[0:1], s[6:7], 8
	ds_bpermute_b32 v10, v9, v1
	ds_bpermute_b32 v11, v9, v2
	s_add_u32 s2, s16, s0
	s_addc_u32 s3, s17, s1
	s_waitcnt lgkmcnt(0)
	v_add_f64 v[1:2], v[1:2], v[10:11]
	s_and_saveexec_b64 s[0:1], s[4:5]
	s_cbranch_execz .LBB135_15
; %bb.14:
	global_store_dwordx2 v4, v[1:2], s[2:3]
.LBB135_15:
	s_or_b64 exec, exec, s[0:1]
	s_movk_i32 s0, 0x600
	v_cmp_gt_u32_e64 s[0:1], s0, v5
	s_and_b64 exec, exec, s[0:1]
	s_cbranch_execz .LBB135_30
; %bb.16:
	s_and_saveexec_b64 s[0:1], vcc
; %bb.17:
	v_lshlrev_b32_e32 v0, 3, v3
	v_add3_u32 v0, 0, v4, v0
	ds_read_b64 v[1:2], v0 offset:64
; %bb.18:
	s_or_b64 exec, exec, s[0:1]
	s_waitcnt lgkmcnt(0)
	ds_bpermute_b32 v10, v6, v1
	ds_bpermute_b32 v11, v6, v2
	s_waitcnt lgkmcnt(0)
	v_add_f64 v[0:1], v[1:2], v[10:11]
	ds_bpermute_b32 v10, v7, v0
	ds_bpermute_b32 v11, v7, v1
	s_waitcnt lgkmcnt(0)
	v_add_f64 v[0:1], v[0:1], v[10:11]
	;; [unrolled: 4-line block ×4, first 2 shown]
	s_and_saveexec_b64 s[0:1], s[4:5]
	s_cbranch_execz .LBB135_20
; %bb.19:
	global_store_dwordx2 v4, v[0:1], s[2:3] offset:64
.LBB135_20:
	s_or_b64 exec, exec, s[0:1]
	s_movk_i32 s0, 0x400
	v_cmp_gt_u32_e64 s[0:1], s0, v5
	s_and_b64 exec, exec, s[0:1]
	s_cbranch_execz .LBB135_30
; %bb.21:
	s_and_saveexec_b64 s[0:1], vcc
; %bb.22:
	v_lshlrev_b32_e32 v0, 3, v3
	v_add3_u32 v0, 0, v4, v0
	ds_read_b64 v[0:1], v0 offset:128
; %bb.23:
	s_or_b64 exec, exec, s[0:1]
	s_waitcnt lgkmcnt(0)
	ds_bpermute_b32 v10, v6, v0
	ds_bpermute_b32 v11, v6, v1
	s_waitcnt lgkmcnt(0)
	v_add_f64 v[0:1], v[0:1], v[10:11]
	ds_bpermute_b32 v10, v7, v0
	ds_bpermute_b32 v11, v7, v1
	s_waitcnt lgkmcnt(0)
	v_add_f64 v[0:1], v[0:1], v[10:11]
	;; [unrolled: 4-line block ×4, first 2 shown]
	s_and_saveexec_b64 s[0:1], s[4:5]
	s_cbranch_execz .LBB135_25
; %bb.24:
	global_store_dwordx2 v4, v[0:1], s[2:3] offset:128
.LBB135_25:
	s_or_b64 exec, exec, s[0:1]
	s_movk_i32 s0, 0x200
	v_cmp_gt_u32_e64 s[0:1], s0, v5
	s_and_b64 exec, exec, s[0:1]
	s_cbranch_execz .LBB135_30
; %bb.26:
	s_and_saveexec_b64 s[0:1], vcc
; %bb.27:
	v_lshlrev_b32_e32 v0, 3, v3
	v_add3_u32 v0, 0, v4, v0
	ds_read_b64 v[0:1], v0 offset:192
; %bb.28:
	s_or_b64 exec, exec, s[0:1]
	s_waitcnt lgkmcnt(0)
	ds_bpermute_b32 v2, v6, v0
	ds_bpermute_b32 v3, v6, v1
	s_waitcnt lgkmcnt(0)
	v_add_f64 v[0:1], v[0:1], v[2:3]
	ds_bpermute_b32 v2, v7, v0
	ds_bpermute_b32 v3, v7, v1
	s_waitcnt lgkmcnt(0)
	v_add_f64 v[0:1], v[0:1], v[2:3]
	;; [unrolled: 4-line block ×3, first 2 shown]
	ds_bpermute_b32 v2, v9, v0
	ds_bpermute_b32 v3, v9, v1
	s_and_saveexec_b64 s[0:1], s[4:5]
	s_xor_b64 s[0:1], exec, s[0:1]
	s_cbranch_execz .LBB135_30
; %bb.29:
	s_waitcnt lgkmcnt(0)
	v_add_f64 v[0:1], v[0:1], v[2:3]
	global_store_dwordx2 v4, v[0:1], s[2:3] offset:192
.LBB135_30:
	s_endpgm
	.section	.rodata,"a",@progbits
	.p2align	6, 0x0
	.amdhsa_kernel _ZN2at6native12_GLOBAL__N_135GammaBetaBackwardCUDAKernelTemplateIddLj32ELj16ELj128ELb0ELb1ELb1EEEvllPKT_S5_PKT0_S8_PS3_S9_
		.amdhsa_group_segment_fixed_size 0
		.amdhsa_private_segment_fixed_size 0
		.amdhsa_kernarg_size 320
		.amdhsa_user_sgpr_count 6
		.amdhsa_user_sgpr_private_segment_buffer 1
		.amdhsa_user_sgpr_dispatch_ptr 0
		.amdhsa_user_sgpr_queue_ptr 0
		.amdhsa_user_sgpr_kernarg_segment_ptr 1
		.amdhsa_user_sgpr_dispatch_id 0
		.amdhsa_user_sgpr_flat_scratch_init 0
		.amdhsa_user_sgpr_private_segment_size 0
		.amdhsa_uses_dynamic_stack 0
		.amdhsa_system_sgpr_private_segment_wavefront_offset 0
		.amdhsa_system_sgpr_workgroup_id_x 1
		.amdhsa_system_sgpr_workgroup_id_y 1
		.amdhsa_system_sgpr_workgroup_id_z 0
		.amdhsa_system_sgpr_workgroup_info 0
		.amdhsa_system_vgpr_workitem_id 1
		.amdhsa_next_free_vgpr 30
		.amdhsa_next_free_sgpr 26
		.amdhsa_reserve_vcc 1
		.amdhsa_reserve_flat_scratch 0
		.amdhsa_float_round_mode_32 0
		.amdhsa_float_round_mode_16_64 0
		.amdhsa_float_denorm_mode_32 3
		.amdhsa_float_denorm_mode_16_64 3
		.amdhsa_dx10_clamp 1
		.amdhsa_ieee_mode 1
		.amdhsa_fp16_overflow 0
		.amdhsa_exception_fp_ieee_invalid_op 0
		.amdhsa_exception_fp_denorm_src 0
		.amdhsa_exception_fp_ieee_div_zero 0
		.amdhsa_exception_fp_ieee_overflow 0
		.amdhsa_exception_fp_ieee_underflow 0
		.amdhsa_exception_fp_ieee_inexact 0
		.amdhsa_exception_int_div_zero 0
	.end_amdhsa_kernel
	.section	.text._ZN2at6native12_GLOBAL__N_135GammaBetaBackwardCUDAKernelTemplateIddLj32ELj16ELj128ELb0ELb1ELb1EEEvllPKT_S5_PKT0_S8_PS3_S9_,"axG",@progbits,_ZN2at6native12_GLOBAL__N_135GammaBetaBackwardCUDAKernelTemplateIddLj32ELj16ELj128ELb0ELb1ELb1EEEvllPKT_S5_PKT0_S8_PS3_S9_,comdat
.Lfunc_end135:
	.size	_ZN2at6native12_GLOBAL__N_135GammaBetaBackwardCUDAKernelTemplateIddLj32ELj16ELj128ELb0ELb1ELb1EEEvllPKT_S5_PKT0_S8_PS3_S9_, .Lfunc_end135-_ZN2at6native12_GLOBAL__N_135GammaBetaBackwardCUDAKernelTemplateIddLj32ELj16ELj128ELb0ELb1ELb1EEEvllPKT_S5_PKT0_S8_PS3_S9_
                                        ; -- End function
	.set _ZN2at6native12_GLOBAL__N_135GammaBetaBackwardCUDAKernelTemplateIddLj32ELj16ELj128ELb0ELb1ELb1EEEvllPKT_S5_PKT0_S8_PS3_S9_.num_vgpr, 30
	.set _ZN2at6native12_GLOBAL__N_135GammaBetaBackwardCUDAKernelTemplateIddLj32ELj16ELj128ELb0ELb1ELb1EEEvllPKT_S5_PKT0_S8_PS3_S9_.num_agpr, 0
	.set _ZN2at6native12_GLOBAL__N_135GammaBetaBackwardCUDAKernelTemplateIddLj32ELj16ELj128ELb0ELb1ELb1EEEvllPKT_S5_PKT0_S8_PS3_S9_.numbered_sgpr, 26
	.set _ZN2at6native12_GLOBAL__N_135GammaBetaBackwardCUDAKernelTemplateIddLj32ELj16ELj128ELb0ELb1ELb1EEEvllPKT_S5_PKT0_S8_PS3_S9_.num_named_barrier, 0
	.set _ZN2at6native12_GLOBAL__N_135GammaBetaBackwardCUDAKernelTemplateIddLj32ELj16ELj128ELb0ELb1ELb1EEEvllPKT_S5_PKT0_S8_PS3_S9_.private_seg_size, 0
	.set _ZN2at6native12_GLOBAL__N_135GammaBetaBackwardCUDAKernelTemplateIddLj32ELj16ELj128ELb0ELb1ELb1EEEvllPKT_S5_PKT0_S8_PS3_S9_.uses_vcc, 1
	.set _ZN2at6native12_GLOBAL__N_135GammaBetaBackwardCUDAKernelTemplateIddLj32ELj16ELj128ELb0ELb1ELb1EEEvllPKT_S5_PKT0_S8_PS3_S9_.uses_flat_scratch, 0
	.set _ZN2at6native12_GLOBAL__N_135GammaBetaBackwardCUDAKernelTemplateIddLj32ELj16ELj128ELb0ELb1ELb1EEEvllPKT_S5_PKT0_S8_PS3_S9_.has_dyn_sized_stack, 0
	.set _ZN2at6native12_GLOBAL__N_135GammaBetaBackwardCUDAKernelTemplateIddLj32ELj16ELj128ELb0ELb1ELb1EEEvllPKT_S5_PKT0_S8_PS3_S9_.has_recursion, 0
	.set _ZN2at6native12_GLOBAL__N_135GammaBetaBackwardCUDAKernelTemplateIddLj32ELj16ELj128ELb0ELb1ELb1EEEvllPKT_S5_PKT0_S8_PS3_S9_.has_indirect_call, 0
	.section	.AMDGPU.csdata,"",@progbits
; Kernel info:
; codeLenInByte = 2032
; TotalNumSgprs: 30
; NumVgprs: 30
; ScratchSize: 0
; MemoryBound: 0
; FloatMode: 240
; IeeeMode: 1
; LDSByteSize: 0 bytes/workgroup (compile time only)
; SGPRBlocks: 3
; VGPRBlocks: 7
; NumSGPRsForWavesPerEU: 30
; NumVGPRsForWavesPerEU: 30
; Occupancy: 8
; WaveLimiterHint : 0
; COMPUTE_PGM_RSRC2:SCRATCH_EN: 0
; COMPUTE_PGM_RSRC2:USER_SGPR: 6
; COMPUTE_PGM_RSRC2:TRAP_HANDLER: 0
; COMPUTE_PGM_RSRC2:TGID_X_EN: 1
; COMPUTE_PGM_RSRC2:TGID_Y_EN: 1
; COMPUTE_PGM_RSRC2:TGID_Z_EN: 0
; COMPUTE_PGM_RSRC2:TIDIG_COMP_CNT: 1
	.section	.text._ZN2at6native12_GLOBAL__N_135GammaBetaBackwardCUDAKernelTemplateIddLj32ELj16ELj128ELb0ELb0ELb1EEEvllPKT_S5_PKT0_S8_PS3_S9_,"axG",@progbits,_ZN2at6native12_GLOBAL__N_135GammaBetaBackwardCUDAKernelTemplateIddLj32ELj16ELj128ELb0ELb0ELb1EEEvllPKT_S5_PKT0_S8_PS3_S9_,comdat
	.globl	_ZN2at6native12_GLOBAL__N_135GammaBetaBackwardCUDAKernelTemplateIddLj32ELj16ELj128ELb0ELb0ELb1EEEvllPKT_S5_PKT0_S8_PS3_S9_ ; -- Begin function _ZN2at6native12_GLOBAL__N_135GammaBetaBackwardCUDAKernelTemplateIddLj32ELj16ELj128ELb0ELb0ELb1EEEvllPKT_S5_PKT0_S8_PS3_S9_
	.p2align	8
	.type	_ZN2at6native12_GLOBAL__N_135GammaBetaBackwardCUDAKernelTemplateIddLj32ELj16ELj128ELb0ELb0ELb1EEEvllPKT_S5_PKT0_S8_PS3_S9_,@function
_ZN2at6native12_GLOBAL__N_135GammaBetaBackwardCUDAKernelTemplateIddLj32ELj16ELj128ELb0ELb0ELb1EEEvllPKT_S5_PKT0_S8_PS3_S9_: ; @_ZN2at6native12_GLOBAL__N_135GammaBetaBackwardCUDAKernelTemplateIddLj32ELj16ELj128ELb0ELb0ELb1EEEvllPKT_S5_PKT0_S8_PS3_S9_
; %bb.0:
	s_load_dwordx8 s[12:19], s[4:5], 0x0
	s_load_dwordx2 s[10:11], s[4:5], 0x28
	s_lshl_b32 s33, s6, 5
	s_or_b32 s0, s33, 31
	v_mov_b32_e32 v2, s0
	v_mov_b32_e32 v3, 0
	s_lshl_b32 s20, s7, 7
	s_mov_b32 s21, 0
	s_waitcnt lgkmcnt(0)
	v_cmp_le_i64_e32 vcc, s[14:15], v[2:3]
	v_mov_b32_e32 v2, s20
	v_mov_b32_e32 v3, s21
	v_cmp_gt_i64_e64 s[0:1], s[12:13], v[2:3]
	v_cndmask_b32_e64 v2, 0, 1, s[0:1]
	v_cmp_ne_u32_e64 s[0:1], 1, v2
	s_cbranch_vccz .LBB136_48
; %bb.1:
	v_mov_b32_e32 v21, 0
	v_mov_b32_e32 v22, 0
	s_and_b64 vcc, exec, s[0:1]
	s_cbranch_vccnz .LBB136_49
; %bb.2:
	v_lshlrev_b32_e32 v41, 3, v1
	v_add_co_u32_e32 v9, vcc, s20, v41
	v_addc_co_u32_e64 v10, s[2:3], 0, 0, vcc
	v_mul_lo_u32 v7, s15, v9
	v_mul_lo_u32 v8, s14, v10
	v_mad_u64_u32 v[5:6], s[2:3], s14, v9, 0
	v_mov_b32_e32 v2, 0
	s_load_dword s7, s[4:5], 0x44
	v_add_u32_e32 v3, s33, v0
	v_mov_b32_e32 v4, v2
	v_add3_u32 v6, v6, v8, v7
	v_cmp_gt_i64_e64 s[2:3], s[14:15], v[3:4]
	v_lshlrev_b64 v[19:20], 3, v[3:4]
	v_lshlrev_b64 v[3:4], 3, v[5:6]
	s_add_u32 s22, s4, 64
	v_mov_b32_e32 v7, s17
	v_add_co_u32_e32 v42, vcc, s16, v3
	s_addc_u32 s23, s5, 0
	s_waitcnt lgkmcnt(0)
	s_lshl_b32 s7, s7, 7
	v_addc_co_u32_e32 v43, vcc, v7, v4, vcc
	s_mul_i32 s8, s15, s7
	s_mul_hi_u32 s9, s14, s7
	v_add_co_u32_e32 v7, vcc, 7, v9
	s_add_i32 s9, s9, s8
	s_mul_i32 s8, s14, s7
	v_addc_co_u32_e32 v8, vcc, 0, v10, vcc
	s_lshl_b64 s[24:25], s[8:9], 3
	v_mul_lo_u32 v12, s15, v7
	v_mul_lo_u32 v13, s14, v8
	v_mad_u64_u32 v[7:8], s[8:9], s14, v7, 0
	v_mov_b32_e32 v11, s19
	v_add_co_u32_e32 v44, vcc, s18, v3
	v_add3_u32 v8, v8, v13, v12
	v_addc_co_u32_e32 v45, vcc, v11, v4, vcc
	v_lshlrev_b64 v[3:4], 3, v[7:8]
	v_mov_b32_e32 v7, s17
	v_add_co_u32_e32 v46, vcc, s16, v3
	v_addc_co_u32_e32 v47, vcc, v7, v4, vcc
	v_add_co_u32_e32 v7, vcc, 6, v9
	v_addc_co_u32_e32 v8, vcc, 0, v10, vcc
	v_mul_lo_u32 v12, s15, v7
	v_mul_lo_u32 v13, s14, v8
	v_mad_u64_u32 v[7:8], s[8:9], s14, v7, 0
	v_add_co_u32_e32 v48, vcc, s18, v3
	v_add3_u32 v8, v8, v13, v12
	v_addc_co_u32_e32 v49, vcc, v11, v4, vcc
	v_lshlrev_b64 v[3:4], 3, v[7:8]
	v_mov_b32_e32 v7, s17
	v_add_co_u32_e32 v50, vcc, s16, v3
	v_addc_co_u32_e32 v51, vcc, v7, v4, vcc
	v_add_co_u32_e32 v7, vcc, 5, v9
	v_addc_co_u32_e32 v8, vcc, 0, v10, vcc
	v_mul_lo_u32 v12, s15, v7
	v_mul_lo_u32 v13, s14, v8
	v_mad_u64_u32 v[7:8], s[8:9], s14, v7, 0
	;; [unrolled: 12-line block ×5, first 2 shown]
	v_add_co_u32_e32 v64, vcc, s18, v3
	v_add3_u32 v8, v8, v10, v9
	v_addc_co_u32_e32 v65, vcc, v11, v4, vcc
	v_lshlrev_b64 v[3:4], 3, v[7:8]
	v_mov_b32_e32 v7, s17
	v_add_co_u32_e32 v66, vcc, s16, v3
	v_addc_co_u32_e32 v67, vcc, v7, v4, vcc
	v_mov_b32_e32 v7, s19
	v_add_co_u32_e32 v68, vcc, s18, v3
	v_addc_co_u32_e32 v69, vcc, v7, v4, vcc
	;; [unrolled: 3-line block ×3, first 2 shown]
	v_lshlrev_b64 v[3:4], 3, v[3:4]
	v_mov_b32_e32 v5, s17
	v_add_co_u32_e32 v70, vcc, s16, v3
	v_addc_co_u32_e32 v71, vcc, v5, v4, vcc
	v_add_co_u32_e32 v72, vcc, s18, v3
	v_mbcnt_lo_u32_b32 v3, -1, 0
	v_mbcnt_hi_u32_b32 v3, -1, v3
	v_mov_b32_e32 v5, s19
	s_add_u32 s26, s20, 0x7f
	v_mov_b32_e32 v21, 0
	v_lshlrev_b32_e32 v3, 2, v3
	v_addc_co_u32_e32 v73, vcc, v5, v4, vcc
	s_addc_u32 s27, 0, 0
	v_mov_b32_e32 v22, 0
	v_and_b32_e32 v74, 0x100, v3
	s_mov_b64 s[28:29], s[20:21]
	s_branch .LBB136_5
.LBB136_3:                              ;   in Loop: Header=BB136_5 Depth=1
	s_or_b64 exec, exec, s[8:9]
	s_waitcnt vmcnt(0)
	v_mul_f64 v[3:4], v[25:26], v[3:4]
	ds_bpermute_b32 v25, v74, v23
	ds_bpermute_b32 v26, v74, v24
	v_mul_f64 v[5:6], v[29:30], v[5:6]
	v_mul_f64 v[7:8], v[27:28], v[7:8]
	;; [unrolled: 1-line block ×3, first 2 shown]
	s_waitcnt lgkmcnt(0)
	v_fma_f64 v[3:4], v[3:4], v[25:26], v[21:22]
	ds_bpermute_b32 v21, v74, v23 offset:4
	ds_bpermute_b32 v22, v74, v24 offset:4
	s_waitcnt lgkmcnt(0)
	v_fma_f64 v[3:4], v[5:6], v[21:22], v[3:4]
	ds_bpermute_b32 v5, v74, v23 offset:8
	ds_bpermute_b32 v6, v74, v24 offset:8
	;; [unrolled: 4-line block ×3, first 2 shown]
	v_mul_f64 v[7:8], v[33:34], v[11:12]
	s_waitcnt lgkmcnt(0)
	v_fma_f64 v[3:4], v[9:10], v[5:6], v[3:4]
	ds_bpermute_b32 v5, v74, v23 offset:16
	ds_bpermute_b32 v6, v74, v24 offset:16
	v_mul_f64 v[9:10], v[39:40], v[13:14]
	s_waitcnt lgkmcnt(0)
	v_fma_f64 v[3:4], v[7:8], v[5:6], v[3:4]
	ds_bpermute_b32 v5, v74, v23 offset:20
	ds_bpermute_b32 v6, v74, v24 offset:20
	;; [unrolled: 1-line block ×4, first 2 shown]
	s_waitcnt lgkmcnt(2)
	v_fma_f64 v[3:4], v[9:10], v[5:6], v[3:4]
	v_mul_f64 v[5:6], v[37:38], v[15:16]
	s_waitcnt lgkmcnt(0)
	v_fma_f64 v[25:26], v[5:6], v[7:8], v[3:4]
	ds_bpermute_b32 v3, v74, v23 offset:28
	ds_bpermute_b32 v4, v74, v24 offset:28
.LBB136_4:                              ;   in Loop: Header=BB136_5 Depth=1
	v_mov_b32_e32 v7, s25
	v_add_co_u32_e32 v42, vcc, s24, v42
	v_addc_co_u32_e32 v43, vcc, v43, v7, vcc
	v_add_co_u32_e32 v44, vcc, s24, v44
	v_addc_co_u32_e32 v45, vcc, v45, v7, vcc
	;; [unrolled: 2-line block ×9, first 2 shown]
	v_add_co_u32_e32 v60, vcc, s24, v60
	v_mul_f64 v[5:6], v[31:32], v[17:18]
	v_addc_co_u32_e32 v61, vcc, v61, v7, vcc
	v_add_co_u32_e32 v62, vcc, s24, v62
	v_addc_co_u32_e32 v63, vcc, v63, v7, vcc
	v_add_co_u32_e32 v64, vcc, s24, v64
	;; [unrolled: 2-line block ×4, first 2 shown]
	s_waitcnt lgkmcnt(0)
	v_fma_f64 v[21:22], v[5:6], v[3:4], v[25:26]
	v_addc_co_u32_e32 v69, vcc, v69, v7, vcc
	v_add_co_u32_e32 v70, vcc, s24, v70
	v_addc_co_u32_e32 v71, vcc, v71, v7, vcc
	s_add_u32 s28, s28, s7
	v_add_co_u32_e32 v72, vcc, s24, v72
	v_mov_b32_e32 v3, s12
	s_addc_u32 s29, s29, 0
	v_addc_co_u32_e32 v73, vcc, v73, v7, vcc
	v_mov_b32_e32 v4, s13
	v_cmp_lt_i64_e32 vcc, s[28:29], v[3:4]
	s_add_u32 s26, s26, s7
	s_addc_u32 s27, s27, 0
	s_cbranch_vccz .LBB136_49
.LBB136_5:                              ; =>This Inner Loop Header: Depth=1
	v_mov_b32_e32 v3, s12
	v_mov_b32_e32 v4, s13
	v_cmp_ge_i64_e32 vcc, s[26:27], v[3:4]
	v_mov_b32_e32 v3, s27
	v_add_co_u32_e64 v75, s[8:9], s26, v41
	v_addc_co_u32_e64 v76, s[8:9], 0, v3, s[8:9]
	s_mov_b64 s[8:9], -1
	s_and_b64 vcc, exec, vcc
                                        ; implicit-def: $vgpr3_vgpr4_vgpr5_vgpr6_vgpr7_vgpr8_vgpr9_vgpr10_vgpr11_vgpr12_vgpr13_vgpr14_vgpr15_vgpr16_vgpr17_vgpr18
                                        ; implicit-def: $vgpr25_vgpr26
                                        ; implicit-def: $vgpr31_vgpr32
                                        ; implicit-def: $vgpr3
	s_cbranch_vccz .LBB136_27
; %bb.6:                                ;   in Loop: Header=BB136_5 Depth=1
	s_load_dword s8, s[22:23], 0xc
	v_mov_b32_e32 v25, 0
	v_mov_b32_e32 v23, 0
	;; [unrolled: 1-line block ×4, first 2 shown]
	s_waitcnt lgkmcnt(0)
	s_and_b32 s8, s8, 0xffff
	v_mad_u32_u24 v3, v1, s8, v0
	v_and_b32_e32 v3, 63, v3
	v_cmp_gt_u32_e32 vcc, 8, v3
	s_and_saveexec_b64 s[8:9], vcc
	s_cbranch_execz .LBB136_10
; %bb.7:                                ;   in Loop: Header=BB136_5 Depth=1
	v_add_co_u32_e32 v3, vcc, v75, v3
	v_addc_co_u32_e32 v4, vcc, 0, v76, vcc
	v_add_co_u32_e32 v3, vcc, 0xffffff81, v3
	v_addc_co_u32_e32 v4, vcc, -1, v4, vcc
	v_cmp_gt_i64_e32 vcc, s[12:13], v[3:4]
	v_mov_b32_e32 v23, 0
	v_mov_b32_e32 v24, 0
	s_and_saveexec_b64 s[30:31], vcc
	s_cbranch_execz .LBB136_9
; %bb.8:                                ;   in Loop: Header=BB136_5 Depth=1
	v_lshlrev_b64 v[3:4], 3, v[3:4]
	v_mov_b32_e32 v5, s11
	v_add_co_u32_e32 v3, vcc, s10, v3
	v_addc_co_u32_e32 v4, vcc, v5, v4, vcc
	global_load_dwordx2 v[23:24], v[3:4], off
.LBB136_9:                              ;   in Loop: Header=BB136_5 Depth=1
	s_or_b64 exec, exec, s[30:31]
.LBB136_10:                             ;   in Loop: Header=BB136_5 Depth=1
	s_or_b64 exec, exec, s[8:9]
	v_add_co_u32_e32 v3, vcc, 0xffffff81, v75
	v_addc_co_u32_e32 v4, vcc, -1, v76, vcc
	v_cmp_gt_i64_e32 vcc, s[12:13], v[3:4]
	v_mov_b32_e32 v3, v2
	v_mov_b32_e32 v4, v2
	;; [unrolled: 1-line block ×31, first 2 shown]
	s_and_b64 s[30:31], s[2:3], vcc
	s_and_saveexec_b64 s[8:9], s[30:31]
	s_cbranch_execz .LBB136_12
; %bb.11:                               ;   in Loop: Header=BB136_5 Depth=1
	v_add_co_u32_e32 v3, vcc, v42, v19
	v_addc_co_u32_e32 v4, vcc, v43, v20, vcc
	v_add_co_u32_e32 v5, vcc, v44, v19
	v_addc_co_u32_e32 v6, vcc, v45, v20, vcc
	global_load_dwordx2 v[3:4], v[3:4], off
	v_mov_b32_e32 v7, v2
	global_load_dwordx2 v[25:26], v[5:6], off
	v_mov_b32_e32 v5, v2
	v_mov_b32_e32 v6, v2
	;; [unrolled: 1-line block ×13, first 2 shown]
.LBB136_12:                             ;   in Loop: Header=BB136_5 Depth=1
	s_or_b64 exec, exec, s[8:9]
	v_add_co_u32_e32 v27, vcc, 0xffffff82, v75
	v_addc_co_u32_e32 v28, vcc, -1, v76, vcc
	v_cmp_gt_i64_e32 vcc, s[12:13], v[27:28]
	v_mov_b32_e32 v27, 0
	v_mov_b32_e32 v29, 0
	v_mov_b32_e32 v28, 0
	v_mov_b32_e32 v30, 0
	s_and_b64 s[30:31], s[2:3], vcc
	s_and_saveexec_b64 s[8:9], s[30:31]
	s_cbranch_execz .LBB136_14
; %bb.13:                               ;   in Loop: Header=BB136_5 Depth=1
	v_add_co_u32_e32 v5, vcc, v70, v19
	v_addc_co_u32_e32 v6, vcc, v71, v20, vcc
	v_add_co_u32_e32 v29, vcc, v72, v19
	v_addc_co_u32_e32 v30, vcc, v73, v20, vcc
	global_load_dwordx2 v[5:6], v[5:6], off
	s_nop 0
	global_load_dwordx2 v[29:30], v[29:30], off
.LBB136_14:                             ;   in Loop: Header=BB136_5 Depth=1
	s_or_b64 exec, exec, s[8:9]
	v_add_co_u32_e32 v31, vcc, 0xffffff83, v75
	v_addc_co_u32_e32 v32, vcc, -1, v76, vcc
	v_cmp_gt_i64_e32 vcc, s[12:13], v[31:32]
	s_and_b64 s[30:31], s[2:3], vcc
	s_and_saveexec_b64 s[8:9], s[30:31]
	s_cbranch_execz .LBB136_16
; %bb.15:                               ;   in Loop: Header=BB136_5 Depth=1
	v_add_co_u32_e32 v7, vcc, v66, v19
	v_addc_co_u32_e32 v8, vcc, v67, v20, vcc
	v_add_co_u32_e32 v27, vcc, v68, v19
	v_addc_co_u32_e32 v28, vcc, v69, v20, vcc
	global_load_dwordx2 v[7:8], v[7:8], off
	s_nop 0
	global_load_dwordx2 v[27:28], v[27:28], off
.LBB136_16:                             ;   in Loop: Header=BB136_5 Depth=1
	s_or_b64 exec, exec, s[8:9]
	v_add_co_u32_e32 v31, vcc, 0xffffff84, v75
	v_addc_co_u32_e32 v32, vcc, -1, v76, vcc
	v_cmp_gt_i64_e32 vcc, s[12:13], v[31:32]
	v_mov_b32_e32 v33, 0
	v_mov_b32_e32 v35, 0
	v_mov_b32_e32 v34, 0
	v_mov_b32_e32 v36, 0
	s_and_b64 s[30:31], s[2:3], vcc
	s_and_saveexec_b64 s[8:9], s[30:31]
	s_cbranch_execz .LBB136_18
; %bb.17:                               ;   in Loop: Header=BB136_5 Depth=1
	v_add_co_u32_e32 v9, vcc, v62, v19
	v_addc_co_u32_e32 v10, vcc, v63, v20, vcc
	v_add_co_u32_e32 v31, vcc, v64, v19
	v_addc_co_u32_e32 v32, vcc, v65, v20, vcc
	global_load_dwordx2 v[9:10], v[9:10], off
	s_nop 0
	global_load_dwordx2 v[35:36], v[31:32], off
.LBB136_18:                             ;   in Loop: Header=BB136_5 Depth=1
	s_or_b64 exec, exec, s[8:9]
	v_add_co_u32_e32 v31, vcc, 0xffffff85, v75
	v_addc_co_u32_e32 v32, vcc, -1, v76, vcc
	v_cmp_gt_i64_e32 vcc, s[12:13], v[31:32]
	s_and_b64 s[30:31], s[2:3], vcc
	s_and_saveexec_b64 s[8:9], s[30:31]
	s_cbranch_execz .LBB136_20
; %bb.19:                               ;   in Loop: Header=BB136_5 Depth=1
	v_add_co_u32_e32 v11, vcc, v58, v19
	v_addc_co_u32_e32 v12, vcc, v59, v20, vcc
	v_add_co_u32_e32 v31, vcc, v60, v19
	v_addc_co_u32_e32 v32, vcc, v61, v20, vcc
	global_load_dwordx2 v[11:12], v[11:12], off
	s_nop 0
	global_load_dwordx2 v[33:34], v[31:32], off
.LBB136_20:                             ;   in Loop: Header=BB136_5 Depth=1
	;; [unrolled: 36-line block ×3, first 2 shown]
	s_or_b64 exec, exec, s[8:9]
	v_add_co_u32_e32 v31, vcc, 0xffffff88, v75
	v_addc_co_u32_e32 v32, vcc, -1, v76, vcc
	v_cmp_gt_i64_e32 vcc, s[12:13], v[31:32]
	v_mov_b32_e32 v31, 0
	v_mov_b32_e32 v32, 0
	s_and_b64 s[30:31], s[2:3], vcc
	s_and_saveexec_b64 s[8:9], s[30:31]
	s_cbranch_execz .LBB136_26
; %bb.25:                               ;   in Loop: Header=BB136_5 Depth=1
	v_add_co_u32_e32 v17, vcc, v46, v19
	v_addc_co_u32_e32 v18, vcc, v47, v20, vcc
	v_add_co_u32_e32 v31, vcc, v48, v19
	v_addc_co_u32_e32 v32, vcc, v49, v20, vcc
	global_load_dwordx2 v[17:18], v[17:18], off
	s_nop 0
	global_load_dwordx2 v[31:32], v[31:32], off
.LBB136_26:                             ;   in Loop: Header=BB136_5 Depth=1
	s_or_b64 exec, exec, s[8:9]
	s_waitcnt vmcnt(0)
	v_mul_f64 v[3:4], v[25:26], v[3:4]
	ds_bpermute_b32 v25, v74, v23
	ds_bpermute_b32 v26, v74, v24
	v_mul_f64 v[5:6], v[29:30], v[5:6]
	v_mul_f64 v[7:8], v[27:28], v[7:8]
	;; [unrolled: 1-line block ×3, first 2 shown]
	s_mov_b64 s[8:9], 0
	s_waitcnt lgkmcnt(0)
	v_fma_f64 v[3:4], v[3:4], v[25:26], v[21:22]
	ds_bpermute_b32 v25, v74, v23 offset:4
	ds_bpermute_b32 v26, v74, v24 offset:4
	s_waitcnt lgkmcnt(0)
	v_fma_f64 v[3:4], v[5:6], v[25:26], v[3:4]
	ds_bpermute_b32 v5, v74, v23 offset:8
	ds_bpermute_b32 v6, v74, v24 offset:8
	;; [unrolled: 4-line block ×3, first 2 shown]
	v_mul_f64 v[7:8], v[33:34], v[11:12]
	s_waitcnt lgkmcnt(0)
	v_fma_f64 v[3:4], v[9:10], v[5:6], v[3:4]
	ds_bpermute_b32 v5, v74, v23 offset:16
	ds_bpermute_b32 v6, v74, v24 offset:16
	v_mul_f64 v[9:10], v[39:40], v[13:14]
	s_waitcnt lgkmcnt(0)
	v_fma_f64 v[3:4], v[7:8], v[5:6], v[3:4]
	ds_bpermute_b32 v5, v74, v23 offset:20
	ds_bpermute_b32 v6, v74, v24 offset:20
	ds_bpermute_b32 v7, v74, v23 offset:24
	ds_bpermute_b32 v8, v74, v24 offset:24
	s_waitcnt lgkmcnt(2)
	v_fma_f64 v[3:4], v[9:10], v[5:6], v[3:4]
	v_mul_f64 v[5:6], v[37:38], v[15:16]
	s_waitcnt lgkmcnt(0)
	v_fma_f64 v[25:26], v[5:6], v[7:8], v[3:4]
	ds_bpermute_b32 v3, v74, v23 offset:28
	ds_bpermute_b32 v4, v74, v24 offset:28
.LBB136_27:                             ;   in Loop: Header=BB136_5 Depth=1
	s_and_b64 vcc, exec, s[8:9]
	s_cbranch_vccz .LBB136_4
; %bb.28:                               ;   in Loop: Header=BB136_5 Depth=1
	s_load_dword s8, s[22:23], 0x0
	v_mov_b32_e32 v25, 0
	v_mov_b32_e32 v23, 0
	;; [unrolled: 1-line block ×4, first 2 shown]
	s_waitcnt lgkmcnt(0)
	s_cmp_lt_u32 s6, s8
	s_cselect_b32 s8, 12, 18
	s_add_u32 s8, s22, s8
	s_addc_u32 s9, s23, 0
	global_load_ushort v3, v2, s[8:9]
	s_waitcnt vmcnt(0)
	v_mad_u32_u24 v3, v1, v3, v0
	v_and_b32_e32 v3, 63, v3
	v_cmp_gt_u32_e32 vcc, 8, v3
	s_and_saveexec_b64 s[8:9], vcc
	s_cbranch_execz .LBB136_32
; %bb.29:                               ;   in Loop: Header=BB136_5 Depth=1
	v_add_co_u32_e32 v3, vcc, v75, v3
	v_addc_co_u32_e32 v4, vcc, 0, v76, vcc
	v_add_co_u32_e32 v3, vcc, 0xffffff81, v3
	v_addc_co_u32_e32 v4, vcc, -1, v4, vcc
	v_cmp_gt_i64_e32 vcc, s[12:13], v[3:4]
	v_mov_b32_e32 v23, 0
	v_mov_b32_e32 v24, 0
	s_and_saveexec_b64 s[30:31], vcc
	s_cbranch_execz .LBB136_31
; %bb.30:                               ;   in Loop: Header=BB136_5 Depth=1
	v_lshlrev_b64 v[3:4], 3, v[3:4]
	v_mov_b32_e32 v5, s11
	v_add_co_u32_e32 v3, vcc, s10, v3
	v_addc_co_u32_e32 v4, vcc, v5, v4, vcc
	global_load_dwordx2 v[23:24], v[3:4], off
.LBB136_31:                             ;   in Loop: Header=BB136_5 Depth=1
	s_or_b64 exec, exec, s[30:31]
.LBB136_32:                             ;   in Loop: Header=BB136_5 Depth=1
	s_or_b64 exec, exec, s[8:9]
	v_mov_b32_e32 v3, v2
	v_mov_b32_e32 v4, v2
	;; [unrolled: 1-line block ×31, first 2 shown]
	s_and_saveexec_b64 s[8:9], s[2:3]
	s_cbranch_execz .LBB136_34
; %bb.33:                               ;   in Loop: Header=BB136_5 Depth=1
	v_add_co_u32_e32 v3, vcc, v42, v19
	v_addc_co_u32_e32 v4, vcc, v43, v20, vcc
	v_add_co_u32_e32 v5, vcc, v44, v19
	v_addc_co_u32_e32 v6, vcc, v45, v20, vcc
	global_load_dwordx2 v[3:4], v[3:4], off
	v_mov_b32_e32 v7, v2
	global_load_dwordx2 v[25:26], v[5:6], off
	v_mov_b32_e32 v5, v2
	v_mov_b32_e32 v6, v2
	;; [unrolled: 1-line block ×13, first 2 shown]
.LBB136_34:                             ;   in Loop: Header=BB136_5 Depth=1
	s_or_b64 exec, exec, s[8:9]
	v_mov_b32_e32 v27, 0
	v_mov_b32_e32 v29, 0
	v_mov_b32_e32 v28, 0
	v_mov_b32_e32 v30, 0
	s_and_saveexec_b64 s[8:9], s[2:3]
	s_cbranch_execz .LBB136_36
; %bb.35:                               ;   in Loop: Header=BB136_5 Depth=1
	v_add_co_u32_e32 v5, vcc, v70, v19
	v_addc_co_u32_e32 v6, vcc, v71, v20, vcc
	v_add_co_u32_e32 v29, vcc, v72, v19
	v_addc_co_u32_e32 v30, vcc, v73, v20, vcc
	global_load_dwordx2 v[5:6], v[5:6], off
	s_nop 0
	global_load_dwordx2 v[29:30], v[29:30], off
.LBB136_36:                             ;   in Loop: Header=BB136_5 Depth=1
	s_or_b64 exec, exec, s[8:9]
	s_and_saveexec_b64 s[8:9], s[2:3]
	s_cbranch_execz .LBB136_38
; %bb.37:                               ;   in Loop: Header=BB136_5 Depth=1
	v_add_co_u32_e32 v7, vcc, v66, v19
	v_addc_co_u32_e32 v8, vcc, v67, v20, vcc
	v_add_co_u32_e32 v27, vcc, v68, v19
	v_addc_co_u32_e32 v28, vcc, v69, v20, vcc
	global_load_dwordx2 v[7:8], v[7:8], off
	s_nop 0
	global_load_dwordx2 v[27:28], v[27:28], off
.LBB136_38:                             ;   in Loop: Header=BB136_5 Depth=1
	s_or_b64 exec, exec, s[8:9]
	v_mov_b32_e32 v33, 0
	v_mov_b32_e32 v35, 0
	v_mov_b32_e32 v34, 0
	v_mov_b32_e32 v36, 0
	s_and_saveexec_b64 s[8:9], s[2:3]
	s_cbranch_execz .LBB136_40
; %bb.39:                               ;   in Loop: Header=BB136_5 Depth=1
	v_add_co_u32_e32 v9, vcc, v62, v19
	v_addc_co_u32_e32 v10, vcc, v63, v20, vcc
	v_add_co_u32_e32 v31, vcc, v64, v19
	v_addc_co_u32_e32 v32, vcc, v65, v20, vcc
	global_load_dwordx2 v[9:10], v[9:10], off
	s_nop 0
	global_load_dwordx2 v[35:36], v[31:32], off
.LBB136_40:                             ;   in Loop: Header=BB136_5 Depth=1
	s_or_b64 exec, exec, s[8:9]
	s_and_saveexec_b64 s[8:9], s[2:3]
	s_cbranch_execz .LBB136_42
; %bb.41:                               ;   in Loop: Header=BB136_5 Depth=1
	v_add_co_u32_e32 v11, vcc, v58, v19
	v_addc_co_u32_e32 v12, vcc, v59, v20, vcc
	v_add_co_u32_e32 v31, vcc, v60, v19
	v_addc_co_u32_e32 v32, vcc, v61, v20, vcc
	global_load_dwordx2 v[11:12], v[11:12], off
	s_nop 0
	global_load_dwordx2 v[33:34], v[31:32], off
.LBB136_42:                             ;   in Loop: Header=BB136_5 Depth=1
	;; [unrolled: 28-line block ×3, first 2 shown]
	s_or_b64 exec, exec, s[8:9]
	v_mov_b32_e32 v31, 0
	v_mov_b32_e32 v32, 0
	s_and_saveexec_b64 s[8:9], s[2:3]
	s_cbranch_execz .LBB136_3
; %bb.47:                               ;   in Loop: Header=BB136_5 Depth=1
	v_add_co_u32_e32 v17, vcc, v46, v19
	v_addc_co_u32_e32 v18, vcc, v47, v20, vcc
	v_add_co_u32_e32 v31, vcc, v48, v19
	v_addc_co_u32_e32 v32, vcc, v49, v20, vcc
	global_load_dwordx2 v[17:18], v[17:18], off
	s_nop 0
	global_load_dwordx2 v[31:32], v[31:32], off
	s_branch .LBB136_3
.LBB136_48:
                                        ; implicit-def: $vgpr21_vgpr22
	s_branch .LBB136_50
.LBB136_49:
	s_cbranch_execnz .LBB136_82
.LBB136_50:
	v_mov_b32_e32 v21, 0
	v_mov_b32_e32 v22, 0
	s_and_b64 vcc, exec, s[0:1]
	s_cbranch_vccnz .LBB136_82
; %bb.51:
	v_lshlrev_b32_e32 v69, 3, v1
	v_add_co_u32_e32 v6, vcc, s20, v69
	v_addc_co_u32_e64 v7, s[0:1], 0, 0, vcc
	s_load_dword s7, s[4:5], 0x44
	v_mul_lo_u32 v2, s15, v6
	v_mul_lo_u32 v3, s14, v7
	v_mad_u64_u32 v[4:5], s[0:1], s14, v6, 0
	s_add_u32 s2, s4, 64
	s_addc_u32 s3, s5, 0
	v_add3_u32 v5, v5, v3, v2
	s_waitcnt lgkmcnt(0)
	s_lshl_b32 s7, s7, 7
	v_lshlrev_b64 v[2:3], 3, v[4:5]
	s_mul_i32 s0, s15, s7
	s_mul_hi_u32 s1, s14, s7
	v_mov_b32_e32 v8, s17
	v_add_co_u32_e32 v70, vcc, s16, v2
	s_add_i32 s1, s1, s0
	s_mul_i32 s0, s14, s7
	v_addc_co_u32_e32 v71, vcc, v8, v3, vcc
	s_lshl_b64 s[8:9], s[0:1], 3
	v_mov_b32_e32 v8, s19
	v_add_co_u32_e32 v72, vcc, s18, v2
	s_add_u32 s22, s20, 0x7f
	v_addc_co_u32_e32 v73, vcc, v8, v3, vcc
	s_addc_u32 s23, 0, 0
	v_lshlrev_b32_e32 v2, 6, v1
	s_lshl_b64 s[0:1], s[20:21], 3
	v_mov_b32_e32 v3, s1
	v_add_co_u32_e32 v8, vcc, s0, v2
	v_addc_co_u32_e32 v9, vcc, 0, v3, vcc
	v_add_co_u32_e32 v12, vcc, 8, v8
	v_addc_co_u32_e32 v10, vcc, 0, v9, vcc
	v_mov_b32_e32 v2, s16
	v_mul_lo_u32 v14, s14, v10
	v_mov_b32_e32 v10, s18
	v_mov_b32_e32 v3, s17
	;; [unrolled: 1-line block ×3, first 2 shown]
	v_mad_u64_u32 v[19:20], s[0:1], s14, v12, v[2:3]
	v_mul_lo_u32 v15, s15, v12
	v_mad_u64_u32 v[23:24], s[0:1], s14, v12, v[10:11]
	v_add_co_u32_e32 v12, vcc, 16, v8
	v_addc_co_u32_e32 v16, vcc, 0, v9, vcc
	v_mov_b32_e32 v13, s15
	v_add_co_u32_e32 v4, vcc, s14, v4
	v_addc_co_u32_e32 v5, vcc, v5, v13, vcc
	v_mul_lo_u32 v17, s15, v12
	v_mad_u64_u32 v[25:26], s[0:1], s14, v12, v[2:3]
	v_mad_u64_u32 v[27:28], s[0:1], s14, v12, v[10:11]
	v_add_co_u32_e32 v12, vcc, 24, v8
	v_addc_co_u32_e32 v13, vcc, 0, v9, vcc
	v_add3_u32 v20, v15, v20, v14
	v_add3_u32 v24, v15, v24, v14
	v_mul_lo_u32 v13, s14, v13
	v_mul_lo_u32 v14, s15, v12
	v_mad_u64_u32 v[29:30], s[0:1], s14, v12, v[2:3]
	v_mad_u64_u32 v[31:32], s[0:1], s14, v12, v[10:11]
	v_add_co_u32_e32 v12, vcc, 32, v8
	v_mul_lo_u32 v16, s14, v16
	v_addc_co_u32_e32 v15, vcc, 0, v9, vcc
	v_mul_lo_u32 v18, s15, v12
	v_mad_u64_u32 v[33:34], s[0:1], s14, v12, v[2:3]
	v_mad_u64_u32 v[35:36], s[0:1], s14, v12, v[10:11]
	v_add_co_u32_e32 v12, vcc, 40, v8
	v_add3_u32 v30, v14, v30, v13
	v_add3_u32 v32, v14, v32, v13
	v_addc_co_u32_e32 v13, vcc, 0, v9, vcc
	v_mul_lo_u32 v14, s15, v12
	v_mad_u64_u32 v[37:38], s[0:1], s14, v12, v[2:3]
	v_mad_u64_u32 v[39:40], s[0:1], s14, v12, v[10:11]
	v_add_co_u32_e32 v12, vcc, 48, v8
	v_add3_u32 v26, v17, v26, v16
	v_add3_u32 v28, v17, v28, v16
	v_addc_co_u32_e32 v16, vcc, 0, v9, vcc
	v_add_co_u32_e32 v8, vcc, 56, v8
	v_addc_co_u32_e32 v9, vcc, 0, v9, vcc
	v_mad_u64_u32 v[41:42], s[0:1], s14, v12, v[2:3]
	v_mad_u64_u32 v[45:46], s[0:1], s14, v8, v[2:3]
	v_add_co_u32_e32 v2, vcc, 7, v6
	v_addc_co_u32_e32 v3, vcc, 0, v7, vcc
	v_mad_u64_u32 v[43:44], s[0:1], s14, v12, v[10:11]
	v_mad_u64_u32 v[47:48], s[0:1], s14, v8, v[10:11]
	v_mul_lo_u32 v10, s14, v3
	v_mul_lo_u32 v11, s15, v2
	v_mad_u64_u32 v[2:3], s[0:1], s14, v2, 0
	v_mul_lo_u32 v9, s14, v9
	v_mul_lo_u32 v8, s15, v8
	v_add3_u32 v3, v3, v10, v11
	v_lshlrev_b64 v[2:3], 3, v[2:3]
	v_mul_lo_u32 v17, s15, v12
	v_add3_u32 v46, v8, v46, v9
	v_add3_u32 v48, v8, v48, v9
	v_mov_b32_e32 v8, s17
	v_add_co_u32_e32 v74, vcc, s16, v2
	v_addc_co_u32_e32 v75, vcc, v8, v3, vcc
	v_add_co_u32_e32 v8, vcc, 6, v6
	v_addc_co_u32_e32 v9, vcc, 0, v7, vcc
	v_mul_lo_u32 v11, s14, v9
	v_mul_lo_u32 v12, s15, v8
	v_mad_u64_u32 v[8:9], s[0:1], s14, v8, 0
	v_mov_b32_e32 v10, s19
	v_add_co_u32_e32 v76, vcc, s18, v2
	v_add3_u32 v9, v9, v11, v12
	v_addc_co_u32_e32 v77, vcc, v10, v3, vcc
	v_lshlrev_b64 v[2:3], 3, v[8:9]
	v_mov_b32_e32 v8, s17
	v_add_co_u32_e32 v78, vcc, s16, v2
	v_addc_co_u32_e32 v79, vcc, v8, v3, vcc
	v_add_co_u32_e32 v8, vcc, 5, v6
	v_addc_co_u32_e32 v9, vcc, 0, v7, vcc
	v_mul_lo_u32 v11, s14, v9
	v_mul_lo_u32 v12, s15, v8
	v_mad_u64_u32 v[8:9], s[0:1], s14, v8, 0
	v_add_co_u32_e32 v80, vcc, s18, v2
	v_add3_u32 v9, v9, v11, v12
	v_addc_co_u32_e32 v81, vcc, v10, v3, vcc
	v_lshlrev_b64 v[2:3], 3, v[8:9]
	v_mov_b32_e32 v8, s17
	v_add_co_u32_e32 v82, vcc, s16, v2
	v_addc_co_u32_e32 v83, vcc, v8, v3, vcc
	v_add_co_u32_e32 v8, vcc, 4, v6
	v_addc_co_u32_e32 v9, vcc, 0, v7, vcc
	v_mul_lo_u32 v11, s14, v9
	v_mul_lo_u32 v12, s15, v8
	v_mad_u64_u32 v[8:9], s[0:1], s14, v8, 0
	;; [unrolled: 12-line block ×4, first 2 shown]
	v_mov_b32_e32 v8, s19
	v_add_co_u32_e32 v92, vcc, s18, v2
	v_add3_u32 v7, v7, v9, v10
	v_addc_co_u32_e32 v93, vcc, v8, v3, vcc
	v_lshlrev_b64 v[2:3], 3, v[6:7]
	v_mov_b32_e32 v6, s17
	v_add_co_u32_e32 v94, vcc, s16, v2
	v_addc_co_u32_e32 v95, vcc, v6, v3, vcc
	v_mov_b32_e32 v6, s19
	v_add_co_u32_e32 v96, vcc, s18, v2
	v_addc_co_u32_e32 v97, vcc, v6, v3, vcc
	v_lshlrev_b64 v[2:3], 3, v[4:5]
	v_mov_b32_e32 v4, s17
	v_add_co_u32_e32 v98, vcc, s16, v2
	v_addc_co_u32_e32 v99, vcc, v4, v3, vcc
	v_mov_b32_e32 v4, s19
	v_add_co_u32_e32 v100, vcc, s18, v2
	v_mov_b32_e32 v2, 0
	v_mul_lo_u32 v15, s14, v15
	v_mul_lo_u32 v13, s14, v13
	;; [unrolled: 1-line block ×3, first 2 shown]
	v_addc_co_u32_e32 v101, vcc, v4, v3, vcc
	v_add_u32_e32 v3, s33, v0
	v_mov_b32_e32 v4, v2
	v_lshlrev_b64 v[49:50], 3, v[3:4]
	v_mbcnt_lo_u32_b32 v3, -1, 0
	v_mbcnt_hi_u32_b32 v3, -1, v3
	v_lshlrev_b32_e32 v3, 2, v3
	v_mov_b32_e32 v51, 0
	v_add3_u32 v34, v18, v34, v15
	v_add3_u32 v36, v18, v36, v15
	;; [unrolled: 1-line block ×6, first 2 shown]
	v_mov_b32_e32 v52, 0
	v_and_b32_e32 v102, 0x100, v3
.LBB136_52:                             ; =>This Inner Loop Header: Depth=1
	v_mov_b32_e32 v3, s12
	v_mov_b32_e32 v4, s13
	v_cmp_ge_i64_e32 vcc, s[22:23], v[3:4]
	v_mov_b32_e32 v3, s23
	v_add_co_u32_e64 v103, s[0:1], s22, v69
	v_addc_co_u32_e64 v104, s[0:1], 0, v3, s[0:1]
	s_mov_b64 s[0:1], -1
                                        ; implicit-def: $vgpr21_vgpr22
	s_cbranch_vccz .LBB136_74
; %bb.53:                               ;   in Loop: Header=BB136_52 Depth=1
	s_load_dword s0, s[2:3], 0xc
	v_mov_b32_e32 v53, 0
	v_mov_b32_e32 v21, 0
	;; [unrolled: 1-line block ×4, first 2 shown]
	s_waitcnt lgkmcnt(0)
	s_and_b32 s0, s0, 0xffff
	v_mad_u32_u24 v3, v1, s0, v0
	v_and_b32_e32 v3, 63, v3
	v_cmp_gt_u32_e32 vcc, 8, v3
	s_and_saveexec_b64 s[0:1], vcc
	s_cbranch_execz .LBB136_57
; %bb.54:                               ;   in Loop: Header=BB136_52 Depth=1
	v_add_co_u32_e32 v3, vcc, v103, v3
	v_addc_co_u32_e32 v4, vcc, 0, v104, vcc
	v_add_co_u32_e32 v3, vcc, 0xffffff81, v3
	v_addc_co_u32_e32 v4, vcc, -1, v4, vcc
	v_cmp_gt_i64_e32 vcc, s[12:13], v[3:4]
	v_mov_b32_e32 v21, 0
	v_mov_b32_e32 v22, 0
	s_and_saveexec_b64 s[16:17], vcc
	s_cbranch_execz .LBB136_56
; %bb.55:                               ;   in Loop: Header=BB136_52 Depth=1
	v_lshlrev_b64 v[3:4], 3, v[3:4]
	v_mov_b32_e32 v5, s11
	v_add_co_u32_e32 v3, vcc, s10, v3
	v_addc_co_u32_e32 v4, vcc, v5, v4, vcc
	global_load_dwordx2 v[21:22], v[3:4], off
.LBB136_56:                             ;   in Loop: Header=BB136_52 Depth=1
	s_or_b64 exec, exec, s[16:17]
.LBB136_57:                             ;   in Loop: Header=BB136_52 Depth=1
	s_or_b64 exec, exec, s[0:1]
	v_add_co_u32_e32 v3, vcc, 0xffffff81, v103
	v_addc_co_u32_e32 v4, vcc, -1, v104, vcc
	v_cmp_gt_i64_e32 vcc, s[12:13], v[3:4]
	v_mov_b32_e32 v3, v2
	v_mov_b32_e32 v4, v2
	;; [unrolled: 1-line block ×31, first 2 shown]
	s_and_saveexec_b64 s[0:1], vcc
	s_cbranch_execz .LBB136_59
; %bb.58:                               ;   in Loop: Header=BB136_52 Depth=1
	v_add_co_u32_e32 v3, vcc, v70, v49
	v_addc_co_u32_e32 v4, vcc, v71, v50, vcc
	v_add_co_u32_e32 v5, vcc, v72, v49
	v_addc_co_u32_e32 v6, vcc, v73, v50, vcc
	global_load_dwordx2 v[3:4], v[3:4], off
	v_mov_b32_e32 v7, v2
	global_load_dwordx2 v[53:54], v[5:6], off
	v_mov_b32_e32 v5, v2
	v_mov_b32_e32 v6, v2
	;; [unrolled: 1-line block ×13, first 2 shown]
.LBB136_59:                             ;   in Loop: Header=BB136_52 Depth=1
	s_or_b64 exec, exec, s[0:1]
	v_add_co_u32_e32 v55, vcc, 0xffffff82, v103
	v_addc_co_u32_e32 v56, vcc, -1, v104, vcc
	v_cmp_gt_i64_e32 vcc, s[12:13], v[55:56]
	v_mov_b32_e32 v55, 0
	v_mov_b32_e32 v57, 0
	v_mov_b32_e32 v56, 0
	v_mov_b32_e32 v58, 0
	s_and_saveexec_b64 s[0:1], vcc
	s_cbranch_execz .LBB136_61
; %bb.60:                               ;   in Loop: Header=BB136_52 Depth=1
	v_add_co_u32_e32 v5, vcc, v98, v49
	v_addc_co_u32_e32 v6, vcc, v99, v50, vcc
	v_add_co_u32_e32 v57, vcc, v100, v49
	v_addc_co_u32_e32 v58, vcc, v101, v50, vcc
	global_load_dwordx2 v[5:6], v[5:6], off
	s_nop 0
	global_load_dwordx2 v[57:58], v[57:58], off
.LBB136_61:                             ;   in Loop: Header=BB136_52 Depth=1
	s_or_b64 exec, exec, s[0:1]
	v_add_co_u32_e32 v59, vcc, 0xffffff83, v103
	v_addc_co_u32_e32 v60, vcc, -1, v104, vcc
	v_cmp_gt_i64_e32 vcc, s[12:13], v[59:60]
	s_and_saveexec_b64 s[0:1], vcc
	s_cbranch_execz .LBB136_63
; %bb.62:                               ;   in Loop: Header=BB136_52 Depth=1
	v_add_co_u32_e32 v7, vcc, v94, v49
	v_addc_co_u32_e32 v8, vcc, v95, v50, vcc
	v_add_co_u32_e32 v55, vcc, v96, v49
	v_addc_co_u32_e32 v56, vcc, v97, v50, vcc
	global_load_dwordx2 v[7:8], v[7:8], off
	s_nop 0
	global_load_dwordx2 v[55:56], v[55:56], off
.LBB136_63:                             ;   in Loop: Header=BB136_52 Depth=1
	s_or_b64 exec, exec, s[0:1]
	v_add_co_u32_e32 v59, vcc, 0xffffff84, v103
	v_addc_co_u32_e32 v60, vcc, -1, v104, vcc
	v_cmp_gt_i64_e32 vcc, s[12:13], v[59:60]
	v_mov_b32_e32 v59, 0
	v_mov_b32_e32 v61, 0
	v_mov_b32_e32 v60, 0
	v_mov_b32_e32 v62, 0
	s_and_saveexec_b64 s[0:1], vcc
	s_cbranch_execz .LBB136_65
; %bb.64:                               ;   in Loop: Header=BB136_52 Depth=1
	v_add_co_u32_e32 v9, vcc, v90, v49
	v_addc_co_u32_e32 v10, vcc, v91, v50, vcc
	v_add_co_u32_e32 v61, vcc, v92, v49
	v_addc_co_u32_e32 v62, vcc, v93, v50, vcc
	global_load_dwordx2 v[9:10], v[9:10], off
	s_nop 0
	global_load_dwordx2 v[61:62], v[61:62], off
.LBB136_65:                             ;   in Loop: Header=BB136_52 Depth=1
	s_or_b64 exec, exec, s[0:1]
	v_add_co_u32_e32 v63, vcc, 0xffffff85, v103
	v_addc_co_u32_e32 v64, vcc, -1, v104, vcc
	v_cmp_gt_i64_e32 vcc, s[12:13], v[63:64]
	s_and_saveexec_b64 s[0:1], vcc
	s_cbranch_execz .LBB136_67
; %bb.66:                               ;   in Loop: Header=BB136_52 Depth=1
	v_add_co_u32_e32 v11, vcc, v86, v49
	v_addc_co_u32_e32 v12, vcc, v87, v50, vcc
	v_add_co_u32_e32 v59, vcc, v88, v49
	v_addc_co_u32_e32 v60, vcc, v89, v50, vcc
	global_load_dwordx2 v[11:12], v[11:12], off
	s_nop 0
	global_load_dwordx2 v[59:60], v[59:60], off
.LBB136_67:                             ;   in Loop: Header=BB136_52 Depth=1
	;; [unrolled: 34-line block ×3, first 2 shown]
	s_or_b64 exec, exec, s[0:1]
	v_add_co_u32_e32 v67, vcc, 0xffffff88, v103
	v_addc_co_u32_e32 v68, vcc, -1, v104, vcc
	v_cmp_gt_i64_e32 vcc, s[12:13], v[67:68]
	v_mov_b32_e32 v67, 0
	v_mov_b32_e32 v68, 0
	s_and_saveexec_b64 s[0:1], vcc
	s_cbranch_execz .LBB136_73
; %bb.72:                               ;   in Loop: Header=BB136_52 Depth=1
	v_add_co_u32_e32 v17, vcc, v74, v49
	v_addc_co_u32_e32 v18, vcc, v75, v50, vcc
	v_add_co_u32_e32 v67, vcc, v76, v49
	v_addc_co_u32_e32 v68, vcc, v77, v50, vcc
	global_load_dwordx2 v[17:18], v[17:18], off
	s_nop 0
	global_load_dwordx2 v[67:68], v[67:68], off
.LBB136_73:                             ;   in Loop: Header=BB136_52 Depth=1
	s_or_b64 exec, exec, s[0:1]
	s_waitcnt vmcnt(0)
	v_mul_f64 v[3:4], v[53:54], v[3:4]
	ds_bpermute_b32 v53, v102, v21
	ds_bpermute_b32 v54, v102, v22
	v_mul_f64 v[5:6], v[57:58], v[5:6]
	v_mul_f64 v[7:8], v[55:56], v[7:8]
	;; [unrolled: 1-line block ×3, first 2 shown]
	s_mov_b64 s[0:1], 0
	s_waitcnt lgkmcnt(0)
	v_fma_f64 v[3:4], v[3:4], v[53:54], v[51:52]
	ds_bpermute_b32 v53, v102, v21 offset:4
	ds_bpermute_b32 v54, v102, v22 offset:4
	s_waitcnt lgkmcnt(0)
	v_fma_f64 v[3:4], v[5:6], v[53:54], v[3:4]
	ds_bpermute_b32 v5, v102, v21 offset:8
	ds_bpermute_b32 v6, v102, v22 offset:8
	;; [unrolled: 4-line block ×3, first 2 shown]
	v_mul_f64 v[7:8], v[59:60], v[11:12]
	s_waitcnt lgkmcnt(0)
	v_fma_f64 v[3:4], v[9:10], v[5:6], v[3:4]
	ds_bpermute_b32 v5, v102, v21 offset:16
	ds_bpermute_b32 v6, v102, v22 offset:16
	v_mul_f64 v[9:10], v[65:66], v[13:14]
	s_waitcnt lgkmcnt(0)
	v_fma_f64 v[3:4], v[7:8], v[5:6], v[3:4]
	ds_bpermute_b32 v5, v102, v21 offset:20
	ds_bpermute_b32 v6, v102, v22 offset:20
	;; [unrolled: 5-line block ×3, first 2 shown]
	s_waitcnt lgkmcnt(0)
	v_fma_f64 v[3:4], v[7:8], v[5:6], v[3:4]
	v_mul_f64 v[5:6], v[67:68], v[17:18]
	ds_bpermute_b32 v7, v102, v21 offset:28
	ds_bpermute_b32 v8, v102, v22 offset:28
	s_waitcnt lgkmcnt(0)
	v_fma_f64 v[21:22], v[5:6], v[7:8], v[3:4]
.LBB136_74:                             ;   in Loop: Header=BB136_52 Depth=1
	s_and_b64 vcc, exec, s[0:1]
	s_cbranch_vccz .LBB136_80
; %bb.75:                               ;   in Loop: Header=BB136_52 Depth=1
	s_load_dword s0, s[2:3], 0x0
	s_waitcnt lgkmcnt(0)
	s_cmp_lt_u32 s6, s0
	s_cselect_b32 s0, 12, 18
	s_add_u32 s0, s2, s0
	s_addc_u32 s1, s3, 0
	global_load_ushort v3, v2, s[0:1]
	s_waitcnt vmcnt(0)
	v_mad_u32_u24 v3, v1, v3, v0
	v_and_b32_e32 v5, 63, v3
	v_mov_b32_e32 v3, 0
	v_mov_b32_e32 v4, 0
	v_cmp_gt_u32_e32 vcc, 8, v5
	s_and_saveexec_b64 s[0:1], vcc
	s_cbranch_execz .LBB136_79
; %bb.76:                               ;   in Loop: Header=BB136_52 Depth=1
	v_add_co_u32_e32 v3, vcc, v103, v5
	v_addc_co_u32_e32 v4, vcc, 0, v104, vcc
	v_add_co_u32_e32 v5, vcc, 0xffffff81, v3
	v_addc_co_u32_e32 v6, vcc, -1, v4, vcc
	v_cmp_gt_i64_e32 vcc, s[12:13], v[5:6]
	v_mov_b32_e32 v3, 0
	v_mov_b32_e32 v4, 0
	s_and_saveexec_b64 s[16:17], vcc
	s_cbranch_execz .LBB136_78
; %bb.77:                               ;   in Loop: Header=BB136_52 Depth=1
	v_lshlrev_b64 v[3:4], 3, v[5:6]
	v_mov_b32_e32 v5, s11
	v_add_co_u32_e32 v3, vcc, s10, v3
	v_addc_co_u32_e32 v4, vcc, v5, v4, vcc
	global_load_dwordx2 v[3:4], v[3:4], off
.LBB136_78:                             ;   in Loop: Header=BB136_52 Depth=1
	s_or_b64 exec, exec, s[16:17]
.LBB136_79:                             ;   in Loop: Header=BB136_52 Depth=1
	s_or_b64 exec, exec, s[0:1]
	v_add_co_u32_e32 v5, vcc, v70, v49
	v_addc_co_u32_e32 v6, vcc, v71, v50, vcc
	v_add_co_u32_e32 v7, vcc, v72, v49
	v_addc_co_u32_e32 v8, vcc, v73, v50, vcc
	global_load_dwordx2 v[5:6], v[5:6], off
	v_add_co_u32_e32 v9, vcc, v19, v49
	global_load_dwordx2 v[7:8], v[7:8], off
	v_addc_co_u32_e32 v10, vcc, v20, v50, vcc
	v_add_co_u32_e32 v11, vcc, v23, v49
	v_addc_co_u32_e32 v12, vcc, v24, v50, vcc
	global_load_dwordx2 v[9:10], v[9:10], off
	v_add_co_u32_e32 v13, vcc, v25, v49
	global_load_dwordx2 v[11:12], v[11:12], off
	;; [unrolled: 6-line block ×7, first 2 shown]
	v_addc_co_u32_e32 v66, vcc, v46, v50, vcc
	v_add_co_u32_e32 v67, vcc, v47, v49
	v_addc_co_u32_e32 v68, vcc, v48, v50, vcc
	global_load_dwordx2 v[65:66], v[65:66], off
	s_waitcnt vmcnt(13)
	v_mul_f64 v[5:6], v[5:6], v[7:8]
	global_load_dwordx2 v[67:68], v[67:68], off
	ds_bpermute_b32 v7, v102, v3
	ds_bpermute_b32 v8, v102, v4
	s_waitcnt lgkmcnt(0)
	v_fma_f64 v[5:6], v[5:6], v[7:8], v[51:52]
	ds_bpermute_b32 v7, v102, v3 offset:4
	s_waitcnt vmcnt(12)
	v_mul_f64 v[9:10], v[9:10], v[11:12]
	ds_bpermute_b32 v8, v102, v4 offset:4
	s_waitcnt lgkmcnt(0)
	v_fma_f64 v[5:6], v[9:10], v[7:8], v[5:6]
	ds_bpermute_b32 v7, v102, v3 offset:8
	s_waitcnt vmcnt(10)
	v_mul_f64 v[11:12], v[13:14], v[15:16]
	ds_bpermute_b32 v8, v102, v4 offset:8
	s_waitcnt lgkmcnt(0)
	v_fma_f64 v[5:6], v[11:12], v[7:8], v[5:6]
	ds_bpermute_b32 v7, v102, v3 offset:12
	s_waitcnt vmcnt(8)
	v_mul_f64 v[9:10], v[17:18], v[21:22]
	ds_bpermute_b32 v8, v102, v4 offset:12
	s_waitcnt lgkmcnt(0)
	v_fma_f64 v[5:6], v[9:10], v[7:8], v[5:6]
	ds_bpermute_b32 v7, v102, v3 offset:16
	s_waitcnt vmcnt(6)
	v_mul_f64 v[11:12], v[53:54], v[55:56]
	ds_bpermute_b32 v8, v102, v4 offset:16
	s_waitcnt lgkmcnt(0)
	v_fma_f64 v[5:6], v[11:12], v[7:8], v[5:6]
	ds_bpermute_b32 v7, v102, v3 offset:20
	s_waitcnt vmcnt(4)
	v_mul_f64 v[9:10], v[57:58], v[59:60]
	ds_bpermute_b32 v8, v102, v4 offset:20
	s_waitcnt lgkmcnt(0)
	v_fma_f64 v[5:6], v[9:10], v[7:8], v[5:6]
	ds_bpermute_b32 v7, v102, v3 offset:24
	s_waitcnt vmcnt(2)
	v_mul_f64 v[11:12], v[61:62], v[63:64]
	ds_bpermute_b32 v8, v102, v4 offset:24
	ds_bpermute_b32 v3, v102, v3 offset:28
	ds_bpermute_b32 v4, v102, v4 offset:28
	s_waitcnt lgkmcnt(2)
	v_fma_f64 v[5:6], v[11:12], v[7:8], v[5:6]
	s_waitcnt vmcnt(0)
	v_mul_f64 v[7:8], v[65:66], v[67:68]
	s_waitcnt lgkmcnt(0)
	v_fma_f64 v[21:22], v[7:8], v[3:4], v[5:6]
.LBB136_80:                             ;   in Loop: Header=BB136_52 Depth=1
	v_mov_b32_e32 v5, s9
	v_add_co_u32_e32 v70, vcc, s8, v70
	v_addc_co_u32_e32 v71, vcc, v71, v5, vcc
	v_add_co_u32_e32 v72, vcc, s8, v72
	v_addc_co_u32_e32 v73, vcc, v73, v5, vcc
	;; [unrolled: 2-line block ×28, first 2 shown]
	s_add_u32 s20, s20, s7
	v_add_co_u32_e32 v98, vcc, s8, v98
	v_mov_b32_e32 v3, s12
	s_addc_u32 s21, s21, 0
	v_addc_co_u32_e32 v99, vcc, v99, v5, vcc
	v_mov_b32_e32 v4, s13
	v_cmp_ge_i64_e32 vcc, s[20:21], v[3:4]
	s_add_u32 s22, s22, s7
	v_add_co_u32_e64 v100, s[0:1], s8, v100
	s_addc_u32 s23, s23, 0
	v_addc_co_u32_e64 v101, s[0:1], v101, v5, s[0:1]
	s_cbranch_vccnz .LBB136_82
; %bb.81:                               ;   in Loop: Header=BB136_52 Depth=1
	v_mov_b32_e32 v52, v22
	v_mov_b32_e32 v51, v21
	s_branch .LBB136_52
.LBB136_82:
	v_mad_u32_u24 v4, v1, 33, v0
	v_mov_b32_e32 v2, 0
	v_sub_u32_e32 v6, v4, v1
	s_movk_i32 s0, 0x800
	v_lshl_add_u32 v5, v4, 3, 0
	v_mov_b32_e32 v3, v2
	v_cmp_gt_u32_e32 vcc, s0, v6
	ds_write_b64 v5, v[21:22]
	ds_write_b64 v5, v[2:3] offset:4224
	s_waitcnt lgkmcnt(0)
	s_barrier
	s_and_saveexec_b64 s[0:1], vcc
	s_cbranch_execz .LBB136_102
; %bb.83:
	s_load_dwordx2 s[4:5], s[4:5], 0x30
	v_and_b32_e32 v1, 63, v6
	v_lshrrev_b32_e32 v4, 6, v6
	v_cmp_gt_u32_e32 vcc, 16, v1
	v_mul_u32_u24_e32 v5, 33, v1
                                        ; implicit-def: $vgpr1_vgpr2
	s_and_saveexec_b64 s[0:1], vcc
; %bb.84:
	v_lshlrev_b32_e32 v1, 3, v4
	v_lshlrev_b32_e32 v2, 3, v5
	v_add3_u32 v1, 0, v1, v2
	ds_read_b64 v[1:2], v1
; %bb.85:
	s_or_b64 exec, exec, s[0:1]
	v_mbcnt_lo_u32_b32 v3, -1, 0
	v_mbcnt_hi_u32_b32 v3, -1, v3
	v_and_b32_e32 v7, 64, v3
	v_add_u32_e32 v12, 64, v7
	v_xor_b32_e32 v7, 8, v3
	v_cmp_lt_i32_e64 s[0:1], v7, v12
	v_cndmask_b32_e64 v7, v3, v7, s[0:1]
	v_lshlrev_b32_e32 v7, 2, v7
	s_waitcnt lgkmcnt(0)
	ds_bpermute_b32 v8, v7, v1
	ds_bpermute_b32 v9, v7, v2
	s_mov_b32 s7, 0
	s_lshl_b64 s[6:7], s[6:7], 5
	s_cmp_eq_u64 s[4:5], 0
	s_cselect_b64 s[8:9], -1, 0
	s_waitcnt lgkmcnt(0)
	v_add_f64 v[1:2], v[1:2], v[8:9]
	v_xor_b32_e32 v8, 4, v3
	v_cmp_lt_i32_e64 s[0:1], v8, v12
	v_cndmask_b32_e64 v8, v3, v8, s[0:1]
	v_lshlrev_b32_e32 v8, 2, v8
	ds_bpermute_b32 v9, v8, v1
	ds_bpermute_b32 v10, v8, v2
	s_waitcnt lgkmcnt(0)
	v_add_f64 v[1:2], v[1:2], v[9:10]
	v_xor_b32_e32 v9, 2, v3
	v_cmp_lt_i32_e64 s[0:1], v9, v12
	v_cndmask_b32_e64 v9, v3, v9, s[0:1]
	v_lshlrev_b32_e32 v9, 2, v9
	ds_bpermute_b32 v10, v9, v1
	ds_bpermute_b32 v11, v9, v2
	s_waitcnt lgkmcnt(0)
	v_add_f64 v[1:2], v[1:2], v[10:11]
	v_xor_b32_e32 v10, 1, v3
	v_cmp_lt_i32_e64 s[0:1], v10, v12
	v_cndmask_b32_e64 v3, v3, v10, s[0:1]
	v_lshlrev_b32_e32 v10, 2, v3
	v_cmp_ne_u32_e64 s[0:1], 0, v0
	v_mov_b32_e32 v3, s7
	ds_bpermute_b32 v11, v10, v1
	ds_bpermute_b32 v12, v10, v2
	s_waitcnt lgkmcnt(0)
	v_add_f64 v[0:1], v[1:2], v[11:12]
	v_or_b32_e32 v2, s6, v4
	v_cmp_le_i64_e64 s[2:3], s[14:15], v[2:3]
	s_or_b64 s[2:3], s[0:1], s[2:3]
	s_nor_b64 s[2:3], s[8:9], s[2:3]
	s_and_saveexec_b64 s[10:11], s[2:3]
	s_cbranch_execz .LBB136_87
; %bb.86:
	v_lshlrev_b64 v[2:3], 3, v[2:3]
	v_mov_b32_e32 v11, s5
	v_add_co_u32_e64 v2, s[2:3], s4, v2
	v_addc_co_u32_e64 v3, s[2:3], v11, v3, s[2:3]
	global_store_dwordx2 v[2:3], v[0:1], off
.LBB136_87:
	s_or_b64 exec, exec, s[10:11]
	s_movk_i32 s2, 0x600
	v_cmp_gt_u32_e64 s[2:3], s2, v6
	s_and_b64 exec, exec, s[2:3]
	s_cbranch_execz .LBB136_102
; %bb.88:
	s_and_saveexec_b64 s[2:3], vcc
; %bb.89:
	v_lshlrev_b32_e32 v0, 3, v4
	v_lshlrev_b32_e32 v1, 3, v5
	v_add3_u32 v0, 0, v0, v1
	ds_read_b64 v[0:1], v0 offset:64
; %bb.90:
	s_or_b64 exec, exec, s[2:3]
	s_waitcnt lgkmcnt(0)
	ds_bpermute_b32 v2, v7, v0
	ds_bpermute_b32 v3, v7, v1
	v_add_u32_e32 v11, 8, v4
	v_mov_b32_e32 v12, s7
	s_waitcnt lgkmcnt(0)
	v_add_f64 v[0:1], v[0:1], v[2:3]
	ds_bpermute_b32 v2, v8, v0
	ds_bpermute_b32 v3, v8, v1
	s_waitcnt lgkmcnt(0)
	v_add_f64 v[0:1], v[0:1], v[2:3]
	ds_bpermute_b32 v2, v9, v0
	ds_bpermute_b32 v3, v9, v1
	;; [unrolled: 4-line block ×3, first 2 shown]
	s_waitcnt lgkmcnt(0)
	v_add_f64 v[0:1], v[0:1], v[2:3]
	v_add_co_u32_e64 v2, s[2:3], s6, v11
	v_addc_co_u32_e64 v3, s[2:3], 0, v12, s[2:3]
	v_cmp_le_i64_e64 s[2:3], s[14:15], v[2:3]
	s_or_b64 s[2:3], s[0:1], s[2:3]
	s_nor_b64 s[2:3], s[8:9], s[2:3]
	s_and_saveexec_b64 s[10:11], s[2:3]
	s_cbranch_execz .LBB136_92
; %bb.91:
	v_mov_b32_e32 v3, s7
	v_add_co_u32_e64 v2, s[2:3], s6, v4
	v_addc_co_u32_e64 v3, s[2:3], 0, v3, s[2:3]
	v_lshlrev_b64 v[2:3], 3, v[2:3]
	v_mov_b32_e32 v11, s5
	v_add_co_u32_e64 v2, s[2:3], s4, v2
	v_addc_co_u32_e64 v3, s[2:3], v11, v3, s[2:3]
	global_store_dwordx2 v[2:3], v[0:1], off offset:64
.LBB136_92:
	s_or_b64 exec, exec, s[10:11]
	s_movk_i32 s2, 0x400
	v_cmp_gt_u32_e64 s[2:3], s2, v6
	s_and_b64 exec, exec, s[2:3]
	s_cbranch_execz .LBB136_102
; %bb.93:
	s_and_saveexec_b64 s[2:3], vcc
; %bb.94:
	v_lshlrev_b32_e32 v0, 3, v4
	v_lshlrev_b32_e32 v1, 3, v5
	v_add3_u32 v0, 0, v0, v1
	ds_read_b64 v[0:1], v0 offset:128
; %bb.95:
	s_or_b64 exec, exec, s[2:3]
	s_waitcnt lgkmcnt(0)
	ds_bpermute_b32 v2, v7, v0
	ds_bpermute_b32 v3, v7, v1
	s_waitcnt lgkmcnt(0)
	v_add_f64 v[0:1], v[0:1], v[2:3]
	ds_bpermute_b32 v2, v8, v0
	ds_bpermute_b32 v3, v8, v1
	s_waitcnt lgkmcnt(0)
	v_add_f64 v[0:1], v[0:1], v[2:3]
	;; [unrolled: 4-line block ×4, first 2 shown]
	v_add_u32_e32 v2, 16, v4
	v_or_b32_e32 v2, s6, v2
	v_mov_b32_e32 v3, s7
	v_cmp_le_i64_e64 s[2:3], s[14:15], v[2:3]
	s_or_b64 s[2:3], s[0:1], s[2:3]
	s_nor_b64 s[2:3], s[8:9], s[2:3]
	s_and_saveexec_b64 s[10:11], s[2:3]
	s_cbranch_execz .LBB136_97
; %bb.96:
	v_mov_b32_e32 v3, s7
	v_add_co_u32_e64 v2, s[2:3], s6, v4
	v_addc_co_u32_e64 v3, s[2:3], 0, v3, s[2:3]
	v_lshlrev_b64 v[2:3], 3, v[2:3]
	v_mov_b32_e32 v11, s5
	v_add_co_u32_e64 v2, s[2:3], s4, v2
	v_addc_co_u32_e64 v3, s[2:3], v11, v3, s[2:3]
	global_store_dwordx2 v[2:3], v[0:1], off offset:128
.LBB136_97:
	s_or_b64 exec, exec, s[10:11]
	s_movk_i32 s2, 0x200
	v_cmp_gt_u32_e64 s[2:3], s2, v6
	s_and_b64 exec, exec, s[2:3]
	s_cbranch_execz .LBB136_102
; %bb.98:
	s_and_saveexec_b64 s[2:3], vcc
; %bb.99:
	v_lshlrev_b32_e32 v0, 3, v4
	v_lshlrev_b32_e32 v1, 3, v5
	v_add3_u32 v0, 0, v0, v1
	ds_read_b64 v[0:1], v0 offset:192
; %bb.100:
	s_or_b64 exec, exec, s[2:3]
	s_waitcnt lgkmcnt(0)
	ds_bpermute_b32 v2, v7, v0
	ds_bpermute_b32 v3, v7, v1
	v_mov_b32_e32 v6, s7
	s_waitcnt lgkmcnt(0)
	v_add_f64 v[0:1], v[0:1], v[2:3]
	ds_bpermute_b32 v2, v8, v0
	ds_bpermute_b32 v3, v8, v1
	s_waitcnt lgkmcnt(0)
	v_add_f64 v[0:1], v[0:1], v[2:3]
	ds_bpermute_b32 v2, v9, v0
	ds_bpermute_b32 v3, v9, v1
	s_waitcnt lgkmcnt(0)
	v_add_f64 v[0:1], v[0:1], v[2:3]
	v_add_u32_e32 v2, 24, v4
	v_or_b32_e32 v5, s6, v2
	v_cmp_le_i64_e32 vcc, s[14:15], v[5:6]
	s_or_b64 s[0:1], s[0:1], vcc
	s_nor_b64 s[0:1], s[8:9], s[0:1]
	ds_bpermute_b32 v2, v10, v0
	ds_bpermute_b32 v3, v10, v1
	s_and_saveexec_b64 s[2:3], s[0:1]
	s_xor_b64 s[2:3], exec, s[2:3]
	s_cbranch_execz .LBB136_102
; %bb.101:
	s_waitcnt lgkmcnt(0)
	v_add_f64 v[0:1], v[0:1], v[2:3]
	v_mov_b32_e32 v3, s7
	v_add_co_u32_e32 v2, vcc, s6, v4
	v_addc_co_u32_e32 v3, vcc, 0, v3, vcc
	v_lshlrev_b64 v[2:3], 3, v[2:3]
	v_mov_b32_e32 v4, s5
	v_add_co_u32_e32 v2, vcc, s4, v2
	v_addc_co_u32_e32 v3, vcc, v4, v3, vcc
	global_store_dwordx2 v[2:3], v[0:1], off offset:192
.LBB136_102:
	s_endpgm
	.section	.rodata,"a",@progbits
	.p2align	6, 0x0
	.amdhsa_kernel _ZN2at6native12_GLOBAL__N_135GammaBetaBackwardCUDAKernelTemplateIddLj32ELj16ELj128ELb0ELb0ELb1EEEvllPKT_S5_PKT0_S8_PS3_S9_
		.amdhsa_group_segment_fixed_size 0
		.amdhsa_private_segment_fixed_size 0
		.amdhsa_kernarg_size 320
		.amdhsa_user_sgpr_count 6
		.amdhsa_user_sgpr_private_segment_buffer 1
		.amdhsa_user_sgpr_dispatch_ptr 0
		.amdhsa_user_sgpr_queue_ptr 0
		.amdhsa_user_sgpr_kernarg_segment_ptr 1
		.amdhsa_user_sgpr_dispatch_id 0
		.amdhsa_user_sgpr_flat_scratch_init 0
		.amdhsa_user_sgpr_private_segment_size 0
		.amdhsa_uses_dynamic_stack 0
		.amdhsa_system_sgpr_private_segment_wavefront_offset 0
		.amdhsa_system_sgpr_workgroup_id_x 1
		.amdhsa_system_sgpr_workgroup_id_y 1
		.amdhsa_system_sgpr_workgroup_id_z 0
		.amdhsa_system_sgpr_workgroup_info 0
		.amdhsa_system_vgpr_workitem_id 1
		.amdhsa_next_free_vgpr 105
		.amdhsa_next_free_sgpr 34
		.amdhsa_reserve_vcc 1
		.amdhsa_reserve_flat_scratch 0
		.amdhsa_float_round_mode_32 0
		.amdhsa_float_round_mode_16_64 0
		.amdhsa_float_denorm_mode_32 3
		.amdhsa_float_denorm_mode_16_64 3
		.amdhsa_dx10_clamp 1
		.amdhsa_ieee_mode 1
		.amdhsa_fp16_overflow 0
		.amdhsa_exception_fp_ieee_invalid_op 0
		.amdhsa_exception_fp_denorm_src 0
		.amdhsa_exception_fp_ieee_div_zero 0
		.amdhsa_exception_fp_ieee_overflow 0
		.amdhsa_exception_fp_ieee_underflow 0
		.amdhsa_exception_fp_ieee_inexact 0
		.amdhsa_exception_int_div_zero 0
	.end_amdhsa_kernel
	.section	.text._ZN2at6native12_GLOBAL__N_135GammaBetaBackwardCUDAKernelTemplateIddLj32ELj16ELj128ELb0ELb0ELb1EEEvllPKT_S5_PKT0_S8_PS3_S9_,"axG",@progbits,_ZN2at6native12_GLOBAL__N_135GammaBetaBackwardCUDAKernelTemplateIddLj32ELj16ELj128ELb0ELb0ELb1EEEvllPKT_S5_PKT0_S8_PS3_S9_,comdat
.Lfunc_end136:
	.size	_ZN2at6native12_GLOBAL__N_135GammaBetaBackwardCUDAKernelTemplateIddLj32ELj16ELj128ELb0ELb0ELb1EEEvllPKT_S5_PKT0_S8_PS3_S9_, .Lfunc_end136-_ZN2at6native12_GLOBAL__N_135GammaBetaBackwardCUDAKernelTemplateIddLj32ELj16ELj128ELb0ELb0ELb1EEEvllPKT_S5_PKT0_S8_PS3_S9_
                                        ; -- End function
	.set _ZN2at6native12_GLOBAL__N_135GammaBetaBackwardCUDAKernelTemplateIddLj32ELj16ELj128ELb0ELb0ELb1EEEvllPKT_S5_PKT0_S8_PS3_S9_.num_vgpr, 105
	.set _ZN2at6native12_GLOBAL__N_135GammaBetaBackwardCUDAKernelTemplateIddLj32ELj16ELj128ELb0ELb0ELb1EEEvllPKT_S5_PKT0_S8_PS3_S9_.num_agpr, 0
	.set _ZN2at6native12_GLOBAL__N_135GammaBetaBackwardCUDAKernelTemplateIddLj32ELj16ELj128ELb0ELb0ELb1EEEvllPKT_S5_PKT0_S8_PS3_S9_.numbered_sgpr, 34
	.set _ZN2at6native12_GLOBAL__N_135GammaBetaBackwardCUDAKernelTemplateIddLj32ELj16ELj128ELb0ELb0ELb1EEEvllPKT_S5_PKT0_S8_PS3_S9_.num_named_barrier, 0
	.set _ZN2at6native12_GLOBAL__N_135GammaBetaBackwardCUDAKernelTemplateIddLj32ELj16ELj128ELb0ELb0ELb1EEEvllPKT_S5_PKT0_S8_PS3_S9_.private_seg_size, 0
	.set _ZN2at6native12_GLOBAL__N_135GammaBetaBackwardCUDAKernelTemplateIddLj32ELj16ELj128ELb0ELb0ELb1EEEvllPKT_S5_PKT0_S8_PS3_S9_.uses_vcc, 1
	.set _ZN2at6native12_GLOBAL__N_135GammaBetaBackwardCUDAKernelTemplateIddLj32ELj16ELj128ELb0ELb0ELb1EEEvllPKT_S5_PKT0_S8_PS3_S9_.uses_flat_scratch, 0
	.set _ZN2at6native12_GLOBAL__N_135GammaBetaBackwardCUDAKernelTemplateIddLj32ELj16ELj128ELb0ELb0ELb1EEEvllPKT_S5_PKT0_S8_PS3_S9_.has_dyn_sized_stack, 0
	.set _ZN2at6native12_GLOBAL__N_135GammaBetaBackwardCUDAKernelTemplateIddLj32ELj16ELj128ELb0ELb0ELb1EEEvllPKT_S5_PKT0_S8_PS3_S9_.has_recursion, 0
	.set _ZN2at6native12_GLOBAL__N_135GammaBetaBackwardCUDAKernelTemplateIddLj32ELj16ELj128ELb0ELb0ELb1EEEvllPKT_S5_PKT0_S8_PS3_S9_.has_indirect_call, 0
	.section	.AMDGPU.csdata,"",@progbits
; Kernel info:
; codeLenInByte = 7832
; TotalNumSgprs: 38
; NumVgprs: 105
; ScratchSize: 0
; MemoryBound: 0
; FloatMode: 240
; IeeeMode: 1
; LDSByteSize: 0 bytes/workgroup (compile time only)
; SGPRBlocks: 4
; VGPRBlocks: 26
; NumSGPRsForWavesPerEU: 38
; NumVGPRsForWavesPerEU: 105
; Occupancy: 2
; WaveLimiterHint : 0
; COMPUTE_PGM_RSRC2:SCRATCH_EN: 0
; COMPUTE_PGM_RSRC2:USER_SGPR: 6
; COMPUTE_PGM_RSRC2:TRAP_HANDLER: 0
; COMPUTE_PGM_RSRC2:TGID_X_EN: 1
; COMPUTE_PGM_RSRC2:TGID_Y_EN: 1
; COMPUTE_PGM_RSRC2:TGID_Z_EN: 0
; COMPUTE_PGM_RSRC2:TIDIG_COMP_CNT: 1
	.section	.text._ZN2at6native12_GLOBAL__N_135GammaBetaBackwardCUDAKernelTemplateIddLj32ELj32ELj256ELb0ELb1ELb1EEEvllPKT_S5_PKT0_S8_PS3_S9_,"axG",@progbits,_ZN2at6native12_GLOBAL__N_135GammaBetaBackwardCUDAKernelTemplateIddLj32ELj32ELj256ELb0ELb1ELb1EEEvllPKT_S5_PKT0_S8_PS3_S9_,comdat
	.globl	_ZN2at6native12_GLOBAL__N_135GammaBetaBackwardCUDAKernelTemplateIddLj32ELj32ELj256ELb0ELb1ELb1EEEvllPKT_S5_PKT0_S8_PS3_S9_ ; -- Begin function _ZN2at6native12_GLOBAL__N_135GammaBetaBackwardCUDAKernelTemplateIddLj32ELj32ELj256ELb0ELb1ELb1EEEvllPKT_S5_PKT0_S8_PS3_S9_
	.p2align	8
	.type	_ZN2at6native12_GLOBAL__N_135GammaBetaBackwardCUDAKernelTemplateIddLj32ELj32ELj256ELb0ELb1ELb1EEEvllPKT_S5_PKT0_S8_PS3_S9_,@function
_ZN2at6native12_GLOBAL__N_135GammaBetaBackwardCUDAKernelTemplateIddLj32ELj32ELj256ELb0ELb1ELb1EEEvllPKT_S5_PKT0_S8_PS3_S9_: ; @_ZN2at6native12_GLOBAL__N_135GammaBetaBackwardCUDAKernelTemplateIddLj32ELj32ELj256ELb0ELb1ELb1EEEvllPKT_S5_PKT0_S8_PS3_S9_
; %bb.0:
	s_load_dwordx4 s[8:11], s[4:5], 0x0
	s_lshl_b32 s18, s7, 8
	s_mov_b32 s19, 0
	v_mov_b32_e32 v2, s18
	v_mov_b32_e32 v3, s19
	s_waitcnt lgkmcnt(0)
	v_cmp_gt_i64_e32 vcc, s[8:9], v[2:3]
	s_cbranch_vccnz .LBB137_2
; %bb.1:
	s_mov_b64 s[0:1], 0
	s_branch .LBB137_3
.LBB137_2:
	s_mov_b64 s[0:1], -1
.LBB137_3:
	s_load_dwordx2 s[16:17], s[4:5], 0x30
	v_mov_b32_e32 v8, 0
	v_mov_b32_e32 v9, 0
	s_andn2_b64 vcc, exec, s[0:1]
	v_mbcnt_lo_u32_b32 v10, -1, 0
	s_cbranch_vccnz .LBB137_10
; %bb.4:
	s_load_dword s0, s[4:5], 0x4c
	s_load_dword s7, s[4:5], 0x44
	s_load_dwordx4 s[12:15], s[4:5], 0x10
	s_load_dwordx2 s[2:3], s[4:5], 0x28
	v_lshlrev_b32_e32 v2, 3, v1
	s_waitcnt lgkmcnt(0)
	s_and_b32 s0, s0, 0xffff
	v_mad_u32_u24 v3, v1, s0, v0
	v_and_b32_e32 v3, 63, v3
	v_add_co_u32_e32 v8, vcc, s18, v2
	v_mbcnt_hi_u32_b32 v4, -1, v10
	v_addc_co_u32_e64 v9, s[4:5], 0, 0, vcc
	v_add_co_u32_e32 v2, vcc, v8, v3
	v_cmp_gt_u32_e64 s[0:1], 8, v3
	v_lshlrev_b32_e32 v4, 2, v4
	v_addc_co_u32_e32 v3, vcc, 0, v9, vcc
	v_and_b32_e32 v11, 0x100, v4
	v_lshlrev_b64 v[4:5], 3, v[2:3]
	v_mov_b32_e32 v15, s3
	v_add_co_u32_e32 v4, vcc, s2, v4
	v_mul_lo_u32 v18, s11, v8
	v_mul_lo_u32 v19, s10, v9
	v_mad_u64_u32 v[8:9], s[2:3], s10, v8, 0
	v_mov_b32_e32 v7, 0
	v_lshl_add_u32 v6, s6, 5, v0
	v_add3_u32 v9, v9, v19, v18
	v_lshlrev_b64 v[8:9], 3, v[8:9]
	v_lshlrev_b64 v[6:7], 3, v[6:7]
	v_addc_co_u32_e32 v5, vcc, v15, v5, vcc
	s_lshl_b32 s20, s7, 8
	v_add_co_u32_e32 v19, vcc, v8, v6
	s_mul_i32 s2, s11, s20
	s_mul_hi_u32 s3, s10, s20
	s_mov_b32 s21, 0
	v_addc_co_u32_e32 v20, vcc, v9, v7, vcc
	s_add_i32 s3, s3, s2
	s_mul_i32 s2, s10, s20
	v_mov_b32_e32 v8, 0
	v_or_b32_e32 v12, 4, v11
	v_or_b32_e32 v13, 8, v11
	;; [unrolled: 1-line block ×7, first 2 shown]
	s_lshl_b64 s[22:23], s[20:21], 3
	s_lshl_b64 s[24:25], s[2:3], 3
	v_mov_b32_e32 v9, 0
	s_lshl_b64 s[10:11], s[10:11], 3
	s_branch .LBB137_7
.LBB137_5:                              ;   in Loop: Header=BB137_7 Depth=1
	s_or_b64 exec, exec, s[4:5]
.LBB137_6:                              ;   in Loop: Header=BB137_7 Depth=1
	s_or_b64 exec, exec, s[2:3]
	v_mov_b32_e32 v22, s13
	v_add_co_u32_e32 v21, vcc, s12, v19
	v_addc_co_u32_e32 v22, vcc, v22, v20, vcc
	v_mov_b32_e32 v24, s15
	v_add_co_u32_e32 v23, vcc, s14, v19
	v_addc_co_u32_e32 v24, vcc, v24, v20, vcc
	global_load_dwordx2 v[25:26], v[21:22], off
	global_load_dwordx2 v[27:28], v[23:24], off
	v_add_co_u32_e32 v21, vcc, s10, v21
	s_add_u32 s18, s18, s20
	s_addc_u32 s19, s19, 0
	v_add_co_u32_e64 v2, s[2:3], s20, v2
	v_add_co_u32_e64 v4, s[4:5], s22, v4
	v_addc_co_u32_e64 v3, s[2:3], 0, v3, s[2:3]
	s_waitcnt vmcnt(0)
	v_mul_f64 v[25:26], v[25:26], v[27:28]
	ds_bpermute_b32 v27, v11, v6
	ds_bpermute_b32 v28, v11, v7
	s_waitcnt lgkmcnt(0)
	v_fma_f64 v[25:26], v[25:26], v[27:28], v[8:9]
	v_mov_b32_e32 v8, s11
	v_addc_co_u32_e32 v22, vcc, v22, v8, vcc
	v_add_co_u32_e32 v23, vcc, s10, v23
	v_addc_co_u32_e32 v24, vcc, v24, v8, vcc
	global_load_dwordx2 v[27:28], v[21:22], off
	global_load_dwordx2 v[29:30], v[23:24], off
	v_add_co_u32_e32 v21, vcc, s10, v21
	v_addc_co_u32_e32 v22, vcc, v22, v8, vcc
	v_add_co_u32_e32 v23, vcc, s10, v23
	v_addc_co_u32_e32 v24, vcc, v24, v8, vcc
	s_waitcnt vmcnt(0)
	v_mul_f64 v[27:28], v[27:28], v[29:30]
	ds_bpermute_b32 v29, v12, v6
	ds_bpermute_b32 v30, v12, v7
	s_waitcnt lgkmcnt(0)
	v_fma_f64 v[25:26], v[27:28], v[29:30], v[25:26]
	global_load_dwordx2 v[27:28], v[21:22], off
	global_load_dwordx2 v[29:30], v[23:24], off
	v_add_co_u32_e32 v21, vcc, s10, v21
	v_addc_co_u32_e32 v22, vcc, v22, v8, vcc
	v_add_co_u32_e32 v23, vcc, s10, v23
	v_addc_co_u32_e32 v24, vcc, v24, v8, vcc
	s_waitcnt vmcnt(0)
	v_mul_f64 v[27:28], v[27:28], v[29:30]
	ds_bpermute_b32 v29, v13, v6
	ds_bpermute_b32 v30, v13, v7
	s_waitcnt lgkmcnt(0)
	v_fma_f64 v[25:26], v[27:28], v[29:30], v[25:26]
	;; [unrolled: 12-line block ×5, first 2 shown]
	global_load_dwordx2 v[27:28], v[21:22], off
	global_load_dwordx2 v[29:30], v[23:24], off
	v_add_co_u32_e32 v21, vcc, s10, v21
	v_addc_co_u32_e32 v22, vcc, v22, v8, vcc
	v_add_co_u32_e32 v23, vcc, s10, v23
	v_addc_co_u32_e32 v24, vcc, v24, v8, vcc
	s_waitcnt vmcnt(0)
	v_mul_f64 v[27:28], v[27:28], v[29:30]
	ds_bpermute_b32 v29, v17, v6
	ds_bpermute_b32 v30, v17, v7
	;; [unrolled: 1-line block ×4, first 2 shown]
	s_waitcnt lgkmcnt(2)
	v_fma_f64 v[25:26], v[27:28], v[29:30], v[25:26]
	global_load_dwordx2 v[8:9], v[21:22], off
	global_load_dwordx2 v[27:28], v[23:24], off
	s_waitcnt vmcnt(0)
	v_mul_f64 v[8:9], v[8:9], v[27:28]
	s_waitcnt lgkmcnt(0)
	v_fma_f64 v[8:9], v[8:9], v[6:7], v[25:26]
	v_mov_b32_e32 v6, s8
	v_mov_b32_e32 v7, s9
	v_cmp_lt_i64_e32 vcc, s[18:19], v[6:7]
	v_mov_b32_e32 v6, s23
	v_addc_co_u32_e64 v5, s[2:3], v5, v6, s[4:5]
	v_mov_b32_e32 v6, s25
	v_add_co_u32_e64 v19, s[2:3], s24, v19
	v_addc_co_u32_e64 v20, s[2:3], v20, v6, s[2:3]
	s_cbranch_vccz .LBB137_10
.LBB137_7:                              ; =>This Inner Loop Header: Depth=1
	v_mov_b32_e32 v6, 0
	v_mov_b32_e32 v7, 0
	s_and_saveexec_b64 s[2:3], s[0:1]
	s_cbranch_execz .LBB137_6
; %bb.8:                                ;   in Loop: Header=BB137_7 Depth=1
	v_cmp_gt_i64_e32 vcc, s[8:9], v[2:3]
	v_mov_b32_e32 v6, 0
	v_mov_b32_e32 v7, 0
	s_and_saveexec_b64 s[4:5], vcc
	s_cbranch_execz .LBB137_5
; %bb.9:                                ;   in Loop: Header=BB137_7 Depth=1
	global_load_dwordx2 v[6:7], v[4:5], off
	s_branch .LBB137_5
.LBB137_10:
	v_mad_u32_u24 v4, v1, 33, v0
	v_mov_b32_e32 v2, 0
	v_lshl_add_u32 v5, v4, 3, 0
	v_mov_b32_e32 v3, v2
	ds_write_b64 v5, v[8:9]
	ds_write_b64 v5, v[2:3] offset:8448
	v_sub_u32_e32 v5, v4, v1
	s_movk_i32 s0, 0x800
	v_cmp_gt_u32_e32 vcc, s0, v5
	s_waitcnt lgkmcnt(0)
	s_barrier
	s_and_saveexec_b64 s[0:1], vcc
	s_cbranch_execz .LBB137_20
; %bb.11:
	v_lshrrev_b32_e32 v1, 6, v5
	v_and_b32_e32 v2, 63, v5
	v_cmp_gt_u32_e32 vcc, 32, v2
	v_mul_u32_u24_e32 v3, 33, v2
	v_lshlrev_b32_e32 v4, 3, v1
                                        ; implicit-def: $vgpr1_vgpr2
	s_and_saveexec_b64 s[0:1], vcc
; %bb.12:
	v_lshlrev_b32_e32 v1, 3, v3
	v_add3_u32 v1, 0, v4, v1
	ds_read_b64 v[1:2], v1
; %bb.13:
	s_or_b64 exec, exec, s[0:1]
	v_mbcnt_hi_u32_b32 v12, -1, v10
	v_and_b32_e32 v6, 64, v12
	v_add_u32_e32 v13, 64, v6
	v_xor_b32_e32 v6, 16, v12
	v_cmp_lt_i32_e64 s[0:1], v6, v13
	v_cndmask_b32_e64 v6, v12, v6, s[0:1]
	v_lshlrev_b32_e32 v6, 2, v6
	s_waitcnt lgkmcnt(0)
	ds_bpermute_b32 v7, v6, v1
	ds_bpermute_b32 v8, v6, v2
	s_cmp_lg_u64 s[16:17], 0
	s_mov_b32 s7, 0
	s_cselect_b64 s[2:3], -1, 0
	s_waitcnt lgkmcnt(0)
	v_add_f64 v[1:2], v[1:2], v[7:8]
	v_xor_b32_e32 v7, 8, v12
	v_cmp_lt_i32_e64 s[0:1], v7, v13
	v_cndmask_b32_e64 v7, v12, v7, s[0:1]
	v_lshlrev_b32_e32 v7, 2, v7
	ds_bpermute_b32 v8, v7, v1
	ds_bpermute_b32 v9, v7, v2
	s_waitcnt lgkmcnt(0)
	v_add_f64 v[1:2], v[1:2], v[8:9]
	v_xor_b32_e32 v8, 4, v12
	v_cmp_lt_i32_e64 s[0:1], v8, v13
	v_cndmask_b32_e64 v8, v12, v8, s[0:1]
	v_lshlrev_b32_e32 v8, 2, v8
	ds_bpermute_b32 v9, v8, v1
	ds_bpermute_b32 v10, v8, v2
	;; [unrolled: 8-line block ×3, first 2 shown]
	s_waitcnt lgkmcnt(0)
	v_add_f64 v[1:2], v[1:2], v[10:11]
	v_xor_b32_e32 v10, 1, v12
	v_cmp_lt_i32_e64 s[0:1], v10, v13
	v_cndmask_b32_e64 v10, v12, v10, s[0:1]
	v_lshlrev_b32_e32 v10, 2, v10
	v_cmp_eq_u32_e64 s[0:1], 0, v0
	s_and_b64 s[4:5], s[0:1], s[2:3]
	s_lshl_b64 s[0:1], s[6:7], 8
	ds_bpermute_b32 v11, v10, v1
	ds_bpermute_b32 v12, v10, v2
	s_add_u32 s2, s16, s0
	s_addc_u32 s3, s17, s1
	s_waitcnt lgkmcnt(0)
	v_add_f64 v[1:2], v[1:2], v[11:12]
	s_and_saveexec_b64 s[0:1], s[4:5]
	s_cbranch_execz .LBB137_15
; %bb.14:
	global_store_dwordx2 v4, v[1:2], s[2:3]
.LBB137_15:
	s_or_b64 exec, exec, s[0:1]
	s_movk_i32 s0, 0x400
	v_cmp_gt_u32_e64 s[0:1], s0, v5
	s_and_b64 exec, exec, s[0:1]
	s_cbranch_execz .LBB137_20
; %bb.16:
	s_and_saveexec_b64 s[0:1], vcc
; %bb.17:
	v_lshlrev_b32_e32 v0, 3, v3
	v_add3_u32 v0, 0, v4, v0
	ds_read_b64 v[1:2], v0 offset:128
; %bb.18:
	s_or_b64 exec, exec, s[0:1]
	s_waitcnt lgkmcnt(0)
	ds_bpermute_b32 v5, v6, v1
	ds_bpermute_b32 v6, v6, v2
	s_waitcnt lgkmcnt(0)
	v_add_f64 v[0:1], v[1:2], v[5:6]
	ds_bpermute_b32 v2, v7, v0
	ds_bpermute_b32 v3, v7, v1
	s_waitcnt lgkmcnt(0)
	v_add_f64 v[0:1], v[0:1], v[2:3]
	;; [unrolled: 4-line block ×4, first 2 shown]
	ds_bpermute_b32 v2, v10, v0
	ds_bpermute_b32 v3, v10, v1
	s_and_saveexec_b64 s[0:1], s[4:5]
	s_xor_b64 s[0:1], exec, s[0:1]
	s_cbranch_execz .LBB137_20
; %bb.19:
	s_waitcnt lgkmcnt(0)
	v_add_f64 v[0:1], v[0:1], v[2:3]
	global_store_dwordx2 v4, v[0:1], s[2:3] offset:128
.LBB137_20:
	s_endpgm
	.section	.rodata,"a",@progbits
	.p2align	6, 0x0
	.amdhsa_kernel _ZN2at6native12_GLOBAL__N_135GammaBetaBackwardCUDAKernelTemplateIddLj32ELj32ELj256ELb0ELb1ELb1EEEvllPKT_S5_PKT0_S8_PS3_S9_
		.amdhsa_group_segment_fixed_size 0
		.amdhsa_private_segment_fixed_size 0
		.amdhsa_kernarg_size 320
		.amdhsa_user_sgpr_count 6
		.amdhsa_user_sgpr_private_segment_buffer 1
		.amdhsa_user_sgpr_dispatch_ptr 0
		.amdhsa_user_sgpr_queue_ptr 0
		.amdhsa_user_sgpr_kernarg_segment_ptr 1
		.amdhsa_user_sgpr_dispatch_id 0
		.amdhsa_user_sgpr_flat_scratch_init 0
		.amdhsa_user_sgpr_private_segment_size 0
		.amdhsa_uses_dynamic_stack 0
		.amdhsa_system_sgpr_private_segment_wavefront_offset 0
		.amdhsa_system_sgpr_workgroup_id_x 1
		.amdhsa_system_sgpr_workgroup_id_y 1
		.amdhsa_system_sgpr_workgroup_id_z 0
		.amdhsa_system_sgpr_workgroup_info 0
		.amdhsa_system_vgpr_workitem_id 1
		.amdhsa_next_free_vgpr 31
		.amdhsa_next_free_sgpr 26
		.amdhsa_reserve_vcc 1
		.amdhsa_reserve_flat_scratch 0
		.amdhsa_float_round_mode_32 0
		.amdhsa_float_round_mode_16_64 0
		.amdhsa_float_denorm_mode_32 3
		.amdhsa_float_denorm_mode_16_64 3
		.amdhsa_dx10_clamp 1
		.amdhsa_ieee_mode 1
		.amdhsa_fp16_overflow 0
		.amdhsa_exception_fp_ieee_invalid_op 0
		.amdhsa_exception_fp_denorm_src 0
		.amdhsa_exception_fp_ieee_div_zero 0
		.amdhsa_exception_fp_ieee_overflow 0
		.amdhsa_exception_fp_ieee_underflow 0
		.amdhsa_exception_fp_ieee_inexact 0
		.amdhsa_exception_int_div_zero 0
	.end_amdhsa_kernel
	.section	.text._ZN2at6native12_GLOBAL__N_135GammaBetaBackwardCUDAKernelTemplateIddLj32ELj32ELj256ELb0ELb1ELb1EEEvllPKT_S5_PKT0_S8_PS3_S9_,"axG",@progbits,_ZN2at6native12_GLOBAL__N_135GammaBetaBackwardCUDAKernelTemplateIddLj32ELj32ELj256ELb0ELb1ELb1EEEvllPKT_S5_PKT0_S8_PS3_S9_,comdat
.Lfunc_end137:
	.size	_ZN2at6native12_GLOBAL__N_135GammaBetaBackwardCUDAKernelTemplateIddLj32ELj32ELj256ELb0ELb1ELb1EEEvllPKT_S5_PKT0_S8_PS3_S9_, .Lfunc_end137-_ZN2at6native12_GLOBAL__N_135GammaBetaBackwardCUDAKernelTemplateIddLj32ELj32ELj256ELb0ELb1ELb1EEEvllPKT_S5_PKT0_S8_PS3_S9_
                                        ; -- End function
	.set _ZN2at6native12_GLOBAL__N_135GammaBetaBackwardCUDAKernelTemplateIddLj32ELj32ELj256ELb0ELb1ELb1EEEvllPKT_S5_PKT0_S8_PS3_S9_.num_vgpr, 31
	.set _ZN2at6native12_GLOBAL__N_135GammaBetaBackwardCUDAKernelTemplateIddLj32ELj32ELj256ELb0ELb1ELb1EEEvllPKT_S5_PKT0_S8_PS3_S9_.num_agpr, 0
	.set _ZN2at6native12_GLOBAL__N_135GammaBetaBackwardCUDAKernelTemplateIddLj32ELj32ELj256ELb0ELb1ELb1EEEvllPKT_S5_PKT0_S8_PS3_S9_.numbered_sgpr, 26
	.set _ZN2at6native12_GLOBAL__N_135GammaBetaBackwardCUDAKernelTemplateIddLj32ELj32ELj256ELb0ELb1ELb1EEEvllPKT_S5_PKT0_S8_PS3_S9_.num_named_barrier, 0
	.set _ZN2at6native12_GLOBAL__N_135GammaBetaBackwardCUDAKernelTemplateIddLj32ELj32ELj256ELb0ELb1ELb1EEEvllPKT_S5_PKT0_S8_PS3_S9_.private_seg_size, 0
	.set _ZN2at6native12_GLOBAL__N_135GammaBetaBackwardCUDAKernelTemplateIddLj32ELj32ELj256ELb0ELb1ELb1EEEvllPKT_S5_PKT0_S8_PS3_S9_.uses_vcc, 1
	.set _ZN2at6native12_GLOBAL__N_135GammaBetaBackwardCUDAKernelTemplateIddLj32ELj32ELj256ELb0ELb1ELb1EEEvllPKT_S5_PKT0_S8_PS3_S9_.uses_flat_scratch, 0
	.set _ZN2at6native12_GLOBAL__N_135GammaBetaBackwardCUDAKernelTemplateIddLj32ELj32ELj256ELb0ELb1ELb1EEEvllPKT_S5_PKT0_S8_PS3_S9_.has_dyn_sized_stack, 0
	.set _ZN2at6native12_GLOBAL__N_135GammaBetaBackwardCUDAKernelTemplateIddLj32ELj32ELj256ELb0ELb1ELb1EEEvllPKT_S5_PKT0_S8_PS3_S9_.has_recursion, 0
	.set _ZN2at6native12_GLOBAL__N_135GammaBetaBackwardCUDAKernelTemplateIddLj32ELj32ELj256ELb0ELb1ELb1EEEvllPKT_S5_PKT0_S8_PS3_S9_.has_indirect_call, 0
	.section	.AMDGPU.csdata,"",@progbits
; Kernel info:
; codeLenInByte = 1744
; TotalNumSgprs: 30
; NumVgprs: 31
; ScratchSize: 0
; MemoryBound: 0
; FloatMode: 240
; IeeeMode: 1
; LDSByteSize: 0 bytes/workgroup (compile time only)
; SGPRBlocks: 3
; VGPRBlocks: 7
; NumSGPRsForWavesPerEU: 30
; NumVGPRsForWavesPerEU: 31
; Occupancy: 8
; WaveLimiterHint : 0
; COMPUTE_PGM_RSRC2:SCRATCH_EN: 0
; COMPUTE_PGM_RSRC2:USER_SGPR: 6
; COMPUTE_PGM_RSRC2:TRAP_HANDLER: 0
; COMPUTE_PGM_RSRC2:TGID_X_EN: 1
; COMPUTE_PGM_RSRC2:TGID_Y_EN: 1
; COMPUTE_PGM_RSRC2:TGID_Z_EN: 0
; COMPUTE_PGM_RSRC2:TIDIG_COMP_CNT: 1
	.section	.text._ZN2at6native12_GLOBAL__N_135GammaBetaBackwardCUDAKernelTemplateIddLj32ELj32ELj256ELb0ELb0ELb1EEEvllPKT_S5_PKT0_S8_PS3_S9_,"axG",@progbits,_ZN2at6native12_GLOBAL__N_135GammaBetaBackwardCUDAKernelTemplateIddLj32ELj32ELj256ELb0ELb0ELb1EEEvllPKT_S5_PKT0_S8_PS3_S9_,comdat
	.globl	_ZN2at6native12_GLOBAL__N_135GammaBetaBackwardCUDAKernelTemplateIddLj32ELj32ELj256ELb0ELb0ELb1EEEvllPKT_S5_PKT0_S8_PS3_S9_ ; -- Begin function _ZN2at6native12_GLOBAL__N_135GammaBetaBackwardCUDAKernelTemplateIddLj32ELj32ELj256ELb0ELb0ELb1EEEvllPKT_S5_PKT0_S8_PS3_S9_
	.p2align	8
	.type	_ZN2at6native12_GLOBAL__N_135GammaBetaBackwardCUDAKernelTemplateIddLj32ELj32ELj256ELb0ELb0ELb1EEEvllPKT_S5_PKT0_S8_PS3_S9_,@function
_ZN2at6native12_GLOBAL__N_135GammaBetaBackwardCUDAKernelTemplateIddLj32ELj32ELj256ELb0ELb0ELb1EEEvllPKT_S5_PKT0_S8_PS3_S9_: ; @_ZN2at6native12_GLOBAL__N_135GammaBetaBackwardCUDAKernelTemplateIddLj32ELj32ELj256ELb0ELb0ELb1EEEvllPKT_S5_PKT0_S8_PS3_S9_
; %bb.0:
	s_mov_b64 s[38:39], s[2:3]
	s_mov_b64 s[36:37], s[0:1]
	s_add_u32 s36, s36, s8
	s_addc_u32 s37, s37, 0
	buffer_store_dword v1, off, s[36:39], 0 offset:28 ; 4-byte Folded Spill
	buffer_store_dword v0, off, s[36:39], 0 offset:24 ; 4-byte Folded Spill
	s_load_dwordx8 s[12:19], s[4:5], 0x0
	s_load_dwordx2 s[10:11], s[4:5], 0x28
	s_lshl_b32 s33, s6, 5
	s_or_b32 s0, s33, 31
	v_mov_b32_e32 v0, s0
	v_mov_b32_e32 v1, 0
	s_lshl_b32 s20, s7, 8
	s_mov_b32 s21, 0
	s_waitcnt lgkmcnt(0)
	v_cmp_le_i64_e32 vcc, s[14:15], v[0:1]
	v_mov_b32_e32 v0, s20
	v_mov_b32_e32 v1, s21
	v_cmp_gt_i64_e64 s[0:1], s[12:13], v[0:1]
	v_cndmask_b32_e64 v0, 0, 1, s[0:1]
	v_cmp_ne_u32_e64 s[0:1], 1, v0
	s_cbranch_vccz .LBB138_49
; %bb.1:
	v_mov_b32_e32 v5, 0
	v_mov_b32_e32 v6, 0
	s_and_b64 vcc, exec, s[0:1]
	s_cbranch_vccnz .LBB138_50
; %bb.2:
	buffer_load_dword v0, off, s[36:39], 0 offset:24 ; 4-byte Folded Reload
	v_mov_b32_e32 v2, 0
	s_load_dword s7, s[4:5], 0x44
	v_mov_b32_e32 v6, v2
	s_add_u32 s22, s4, 64
	s_addc_u32 s23, s5, 0
	v_mov_b32_e32 v9, s19
	s_waitcnt lgkmcnt(0)
	s_lshl_b32 s7, s7, 8
	s_mul_i32 s8, s15, s7
	s_mul_hi_u32 s9, s14, s7
	s_add_i32 s9, s9, s8
	s_mul_i32 s8, s14, s7
	s_lshl_b64 s[24:25], s[8:9], 3
	s_add_u32 s26, s20, 0xff
	s_addc_u32 s27, 0, 0
	s_mov_b64 s[28:29], s[20:21]
	s_waitcnt vmcnt(0)
	v_add_u32_e32 v5, s33, v0
	buffer_load_dword v0, off, s[36:39], 0 offset:28 ; 4-byte Folded Reload
	v_lshlrev_b64 v[19:20], 3, v[5:6]
	s_waitcnt vmcnt(0)
	v_lshlrev_b32_e32 v0, 3, v0
	buffer_store_dword v0, off, s[36:39], 0 offset:48 ; 4-byte Folded Spill
	v_add_co_u32_e32 v0, vcc, s20, v0
	v_addc_co_u32_e64 v1, s[2:3], 0, 0, vcc
	v_mul_lo_u32 v7, s15, v0
	v_mul_lo_u32 v8, s14, v1
	v_mad_u64_u32 v[3:4], s[2:3], s14, v0, 0
	v_cmp_gt_i64_e64 s[2:3], s[14:15], v[5:6]
	v_add3_u32 v4, v4, v8, v7
	v_lshlrev_b64 v[5:6], 3, v[3:4]
	v_mov_b32_e32 v7, s17
	v_add_co_u32_e32 v8, vcc, s16, v5
	v_addc_co_u32_e32 v7, vcc, v7, v6, vcc
	buffer_store_dword v7, off, s[36:39], 0 offset:4 ; 4-byte Folded Spill
	v_add_co_u32_e32 v7, vcc, 7, v0
	buffer_store_dword v8, off, s[36:39], 0 ; 4-byte Folded Spill
	v_addc_co_u32_e32 v8, vcc, 0, v1, vcc
	v_mul_lo_u32 v10, s15, v7
	v_mul_lo_u32 v11, s14, v8
	v_mad_u64_u32 v[7:8], s[8:9], s14, v7, 0
	v_add_co_u32_e32 v5, vcc, s18, v5
	buffer_store_dword v5, off, s[36:39], 0 offset:8 ; 4-byte Folded Spill
	v_addc_co_u32_e32 v5, vcc, v9, v6, vcc
	v_add3_u32 v8, v8, v11, v10
	buffer_store_dword v5, off, s[36:39], 0 offset:12 ; 4-byte Folded Spill
	v_lshlrev_b64 v[5:6], 3, v[7:8]
	v_mov_b32_e32 v7, s17
	v_add_co_u32_e32 v8, vcc, s16, v5
	v_addc_co_u32_e32 v7, vcc, v7, v6, vcc
	buffer_store_dword v7, off, s[36:39], 0 offset:20 ; 4-byte Folded Spill
	v_add_co_u32_e32 v7, vcc, 6, v0
	buffer_store_dword v8, off, s[36:39], 0 offset:16 ; 4-byte Folded Spill
	v_addc_co_u32_e32 v8, vcc, 0, v1, vcc
	v_mul_lo_u32 v10, s15, v7
	v_mul_lo_u32 v11, s14, v8
	v_mad_u64_u32 v[7:8], s[8:9], s14, v7, 0
	v_add_co_u32_e32 v46, vcc, s18, v5
	v_add3_u32 v8, v8, v11, v10
	v_addc_co_u32_e32 v47, vcc, v9, v6, vcc
	v_lshlrev_b64 v[5:6], 3, v[7:8]
	v_mov_b32_e32 v7, s17
	v_add_co_u32_e32 v48, vcc, s16, v5
	v_addc_co_u32_e32 v49, vcc, v7, v6, vcc
	v_add_co_u32_e32 v7, vcc, 5, v0
	v_addc_co_u32_e32 v8, vcc, 0, v1, vcc
	v_mul_lo_u32 v10, s15, v7
	v_mul_lo_u32 v11, s14, v8
	v_mad_u64_u32 v[7:8], s[8:9], s14, v7, 0
	v_add_co_u32_e32 v50, vcc, s18, v5
	v_add3_u32 v8, v8, v11, v10
	v_addc_co_u32_e32 v51, vcc, v9, v6, vcc
	v_lshlrev_b64 v[5:6], 3, v[7:8]
	v_mov_b32_e32 v7, s17
	v_add_co_u32_e32 v52, vcc, s16, v5
	v_addc_co_u32_e32 v53, vcc, v7, v6, vcc
	v_add_co_u32_e32 v7, vcc, 4, v0
	;; [unrolled: 12-line block ×4, first 2 shown]
	v_addc_co_u32_e32 v1, vcc, 0, v1, vcc
	v_mul_lo_u32 v8, s15, v0
	v_mul_lo_u32 v9, s14, v1
	v_mad_u64_u32 v[0:1], s[8:9], s14, v0, 0
	v_mov_b32_e32 v7, s19
	v_add_co_u32_e32 v62, vcc, s18, v5
	v_add3_u32 v1, v1, v9, v8
	v_lshlrev_b64 v[0:1], 3, v[0:1]
	v_addc_co_u32_e32 v63, vcc, v7, v6, vcc
	v_mov_b32_e32 v5, s17
	v_add_co_u32_e32 v39, vcc, s16, v0
	v_addc_co_u32_e32 v27, vcc, v5, v1, vcc
	v_mov_b32_e32 v5, s19
	v_add_co_u32_e32 v28, vcc, s18, v0
	;; [unrolled: 3-line block ×3, first 2 shown]
	v_addc_co_u32_e32 v1, vcc, v4, v1, vcc
	v_lshlrev_b64 v[0:1], 3, v[0:1]
	v_mov_b32_e32 v3, s17
	v_add_co_u32_e32 v24, vcc, s16, v0
	v_addc_co_u32_e32 v40, vcc, v3, v1, vcc
	v_mov_b32_e32 v3, s19
	v_add_co_u32_e32 v41, vcc, s18, v0
	v_addc_co_u32_e32 v42, vcc, v3, v1, vcc
	v_mov_b32_e32 v0, 0
	v_mov_b32_e32 v1, 0
	buffer_store_dword v0, off, s[36:39], 0 offset:32 ; 4-byte Folded Spill
	s_nop 0
	buffer_store_dword v1, off, s[36:39], 0 offset:36 ; 4-byte Folded Spill
	v_mbcnt_lo_u32_b32 v0, -1, 0
	v_mbcnt_hi_u32_b32 v0, -1, v0
	v_lshlrev_b32_e32 v0, 2, v0
	v_and_b32_e32 v43, 0x100, v0
.LBB138_3:                              ; =>This Inner Loop Header: Depth=1
	v_mov_b32_e32 v0, s12
	v_mov_b32_e32 v1, s13
	v_cmp_ge_i64_e32 vcc, s[26:27], v[0:1]
	buffer_load_dword v1, off, s[36:39], 0 offset:48 ; 4-byte Folded Reload
	v_mov_b32_e32 v0, s27
	s_and_b64 vcc, exec, vcc
                                        ; implicit-def: $vgpr3_vgpr4_vgpr5_vgpr6_vgpr7_vgpr8_vgpr9_vgpr10_vgpr11_vgpr12_vgpr13_vgpr14_vgpr15_vgpr16_vgpr17_vgpr18
                                        ; implicit-def: $vgpr31_vgpr32
                                        ; implicit-def: $vgpr3
	s_waitcnt vmcnt(0)
	v_add_co_u32_e64 v25, s[8:9], s26, v1
	v_addc_co_u32_e64 v26, s[8:9], 0, v0, s[8:9]
	s_mov_b64 s[8:9], -1
                                        ; implicit-def: $vgpr0_vgpr1
	s_cbranch_vccz .LBB138_25
; %bb.4:                                ;   in Loop: Header=BB138_3 Depth=1
	s_load_dword s8, s[22:23], 0xc
	buffer_load_dword v0, off, s[36:39], 0 offset:24 ; 4-byte Folded Reload
	buffer_load_dword v1, off, s[36:39], 0 offset:28 ; 4-byte Folded Reload
	v_mov_b32_e32 v44, 0
	v_mov_b32_e32 v21, 0
	;; [unrolled: 1-line block ×3, first 2 shown]
	s_waitcnt lgkmcnt(0)
	s_and_b32 s8, s8, 0xffff
	v_mov_b32_e32 v22, 0
	s_waitcnt vmcnt(0)
	v_mad_u32_u24 v0, v1, s8, v0
	v_and_b32_e32 v0, 63, v0
	v_cmp_gt_u32_e32 vcc, 8, v0
	s_and_saveexec_b64 s[8:9], vcc
	s_cbranch_execz .LBB138_8
; %bb.5:                                ;   in Loop: Header=BB138_3 Depth=1
	v_add_co_u32_e32 v0, vcc, v25, v0
	v_addc_co_u32_e32 v1, vcc, 0, v26, vcc
	v_add_co_u32_e32 v0, vcc, 0xffffff01, v0
	v_addc_co_u32_e32 v1, vcc, -1, v1, vcc
	v_cmp_gt_i64_e32 vcc, s[12:13], v[0:1]
	v_mov_b32_e32 v21, 0
	v_mov_b32_e32 v22, 0
	s_and_saveexec_b64 s[30:31], vcc
	s_cbranch_execz .LBB138_7
; %bb.6:                                ;   in Loop: Header=BB138_3 Depth=1
	v_lshlrev_b64 v[0:1], 3, v[0:1]
	v_mov_b32_e32 v3, s11
	v_add_co_u32_e32 v0, vcc, s10, v0
	v_addc_co_u32_e32 v1, vcc, v3, v1, vcc
	global_load_dwordx2 v[21:22], v[0:1], off
.LBB138_7:                              ;   in Loop: Header=BB138_3 Depth=1
	s_or_b64 exec, exec, s[30:31]
.LBB138_8:                              ;   in Loop: Header=BB138_3 Depth=1
	s_or_b64 exec, exec, s[8:9]
	v_add_co_u32_e32 v0, vcc, 0xffffff01, v25
	v_addc_co_u32_e32 v1, vcc, -1, v26, vcc
	v_cmp_gt_i64_e32 vcc, s[12:13], v[0:1]
	v_mov_b32_e32 v3, v2
	v_mov_b32_e32 v4, v2
	;; [unrolled: 1-line block ×31, first 2 shown]
	s_and_b64 s[30:31], s[2:3], vcc
	s_and_saveexec_b64 s[8:9], s[30:31]
	s_cbranch_execz .LBB138_10
; %bb.9:                                ;   in Loop: Header=BB138_3 Depth=1
	buffer_load_dword v0, off, s[36:39], 0  ; 4-byte Folded Reload
	buffer_load_dword v1, off, s[36:39], 0 offset:4 ; 4-byte Folded Reload
	v_mov_b32_e32 v5, v2
	v_mov_b32_e32 v6, v2
	;; [unrolled: 1-line block ×14, first 2 shown]
	s_waitcnt vmcnt(1)
	v_add_co_u32_e32 v0, vcc, v0, v19
	s_waitcnt vmcnt(0)
	v_addc_co_u32_e32 v1, vcc, v1, v20, vcc
	global_load_dwordx2 v[3:4], v[0:1], off
	s_nop 0
	buffer_load_dword v0, off, s[36:39], 0 offset:8 ; 4-byte Folded Reload
	buffer_load_dword v1, off, s[36:39], 0 offset:12 ; 4-byte Folded Reload
	s_waitcnt vmcnt(1)
	v_add_co_u32_e32 v0, vcc, v0, v19
	s_waitcnt vmcnt(0)
	v_addc_co_u32_e32 v1, vcc, v1, v20, vcc
	global_load_dwordx2 v[44:45], v[0:1], off
.LBB138_10:                             ;   in Loop: Header=BB138_3 Depth=1
	s_or_b64 exec, exec, s[8:9]
	v_add_co_u32_e32 v0, vcc, 0xffffff02, v25
	v_addc_co_u32_e32 v1, vcc, -1, v26, vcc
	v_cmp_gt_i64_e32 vcc, s[12:13], v[0:1]
	v_mov_b32_e32 v0, 0
	v_mov_b32_e32 v29, 0
	;; [unrolled: 1-line block ×4, first 2 shown]
	s_and_b64 s[30:31], s[2:3], vcc
	buffer_store_dword v0, off, s[36:39], 0 offset:40 ; 4-byte Folded Spill
	s_nop 0
	buffer_store_dword v1, off, s[36:39], 0 offset:44 ; 4-byte Folded Spill
	s_and_saveexec_b64 s[8:9], s[30:31]
	s_cbranch_execz .LBB138_12
; %bb.11:                               ;   in Loop: Header=BB138_3 Depth=1
	v_add_co_u32_e32 v0, vcc, v24, v19
	v_addc_co_u32_e32 v1, vcc, v40, v20, vcc
	global_load_dwordx2 v[5:6], v[0:1], off
	v_add_co_u32_e32 v0, vcc, v41, v19
	v_addc_co_u32_e32 v1, vcc, v42, v20, vcc
	global_load_dwordx2 v[29:30], v[0:1], off
.LBB138_12:                             ;   in Loop: Header=BB138_3 Depth=1
	s_or_b64 exec, exec, s[8:9]
	v_add_co_u32_e32 v0, vcc, 0xffffff03, v25
	v_addc_co_u32_e32 v1, vcc, -1, v26, vcc
	v_cmp_gt_i64_e32 vcc, s[12:13], v[0:1]
	s_and_b64 s[30:31], s[2:3], vcc
	s_and_saveexec_b64 s[8:9], s[30:31]
	s_cbranch_execz .LBB138_14
; %bb.13:                               ;   in Loop: Header=BB138_3 Depth=1
	v_add_co_u32_e32 v0, vcc, v39, v19
	v_addc_co_u32_e32 v1, vcc, v27, v20, vcc
	global_load_dwordx2 v[7:8], v[0:1], off
	v_add_co_u32_e32 v0, vcc, v28, v19
	v_addc_co_u32_e32 v1, vcc, v23, v20, vcc
	global_load_dwordx2 v[0:1], v[0:1], off
	s_waitcnt vmcnt(0)
	buffer_store_dword v0, off, s[36:39], 0 offset:40 ; 4-byte Folded Spill
	s_nop 0
	buffer_store_dword v1, off, s[36:39], 0 offset:44 ; 4-byte Folded Spill
.LBB138_14:                             ;   in Loop: Header=BB138_3 Depth=1
	s_or_b64 exec, exec, s[8:9]
	v_add_co_u32_e32 v0, vcc, 0xffffff04, v25
	v_addc_co_u32_e32 v1, vcc, -1, v26, vcc
	v_cmp_gt_i64_e32 vcc, s[12:13], v[0:1]
	v_mov_b32_e32 v33, 0
	v_mov_b32_e32 v35, 0
	;; [unrolled: 1-line block ×4, first 2 shown]
	s_and_b64 s[30:31], s[2:3], vcc
	s_and_saveexec_b64 s[8:9], s[30:31]
	s_cbranch_execz .LBB138_16
; %bb.15:                               ;   in Loop: Header=BB138_3 Depth=1
	v_add_co_u32_e32 v0, vcc, v60, v19
	v_addc_co_u32_e32 v1, vcc, v61, v20, vcc
	global_load_dwordx2 v[9:10], v[0:1], off
	v_add_co_u32_e32 v0, vcc, v62, v19
	v_addc_co_u32_e32 v1, vcc, v63, v20, vcc
	global_load_dwordx2 v[35:36], v[0:1], off
.LBB138_16:                             ;   in Loop: Header=BB138_3 Depth=1
	s_or_b64 exec, exec, s[8:9]
	v_add_co_u32_e32 v0, vcc, 0xffffff05, v25
	v_addc_co_u32_e32 v1, vcc, -1, v26, vcc
	v_cmp_gt_i64_e32 vcc, s[12:13], v[0:1]
	s_and_b64 s[30:31], s[2:3], vcc
	s_and_saveexec_b64 s[8:9], s[30:31]
	s_cbranch_execz .LBB138_18
; %bb.17:                               ;   in Loop: Header=BB138_3 Depth=1
	v_add_co_u32_e32 v0, vcc, v56, v19
	v_addc_co_u32_e32 v1, vcc, v57, v20, vcc
	global_load_dwordx2 v[11:12], v[0:1], off
	v_add_co_u32_e32 v0, vcc, v58, v19
	v_addc_co_u32_e32 v1, vcc, v59, v20, vcc
	global_load_dwordx2 v[33:34], v[0:1], off
.LBB138_18:                             ;   in Loop: Header=BB138_3 Depth=1
	s_or_b64 exec, exec, s[8:9]
	v_add_co_u32_e32 v0, vcc, 0xffffff06, v25
	v_addc_co_u32_e32 v1, vcc, -1, v26, vcc
	v_cmp_gt_i64_e32 vcc, s[12:13], v[0:1]
	v_mov_b32_e32 v37, 0
	v_mov_b32_e32 v0, 0
	;; [unrolled: 1-line block ×4, first 2 shown]
	s_and_b64 s[30:31], s[2:3], vcc
	s_and_saveexec_b64 s[8:9], s[30:31]
	s_cbranch_execz .LBB138_20
; %bb.19:                               ;   in Loop: Header=BB138_3 Depth=1
	v_add_co_u32_e32 v0, vcc, v52, v19
	v_addc_co_u32_e32 v1, vcc, v53, v20, vcc
	global_load_dwordx2 v[13:14], v[0:1], off
	v_add_co_u32_e32 v0, vcc, v54, v19
	v_addc_co_u32_e32 v1, vcc, v55, v20, vcc
	global_load_dwordx2 v[0:1], v[0:1], off
.LBB138_20:                             ;   in Loop: Header=BB138_3 Depth=1
	s_or_b64 exec, exec, s[8:9]
	v_add_co_u32_e32 v31, vcc, 0xffffff07, v25
	v_addc_co_u32_e32 v32, vcc, -1, v26, vcc
	v_cmp_gt_i64_e32 vcc, s[12:13], v[31:32]
	s_and_b64 s[30:31], s[2:3], vcc
	s_and_saveexec_b64 s[8:9], s[30:31]
	s_cbranch_execz .LBB138_22
; %bb.21:                               ;   in Loop: Header=BB138_3 Depth=1
	v_add_co_u32_e32 v15, vcc, v48, v19
	v_addc_co_u32_e32 v16, vcc, v49, v20, vcc
	v_add_co_u32_e32 v31, vcc, v50, v19
	v_addc_co_u32_e32 v32, vcc, v51, v20, vcc
	global_load_dwordx2 v[15:16], v[15:16], off
	s_nop 0
	global_load_dwordx2 v[37:38], v[31:32], off
.LBB138_22:                             ;   in Loop: Header=BB138_3 Depth=1
	s_or_b64 exec, exec, s[8:9]
	v_add_co_u32_e32 v31, vcc, 0xffffff08, v25
	v_addc_co_u32_e32 v32, vcc, -1, v26, vcc
	v_cmp_gt_i64_e32 vcc, s[12:13], v[31:32]
	v_mov_b32_e32 v31, 0
	v_mov_b32_e32 v32, 0
	s_and_b64 s[30:31], s[2:3], vcc
	s_and_saveexec_b64 s[8:9], s[30:31]
	s_cbranch_execz .LBB138_24
; %bb.23:                               ;   in Loop: Header=BB138_3 Depth=1
	buffer_load_dword v17, off, s[36:39], 0 offset:16 ; 4-byte Folded Reload
	buffer_load_dword v18, off, s[36:39], 0 offset:20 ; 4-byte Folded Reload
	s_waitcnt vmcnt(1)
	v_add_co_u32_e32 v17, vcc, v17, v19
	s_waitcnt vmcnt(0)
	v_addc_co_u32_e32 v18, vcc, v18, v20, vcc
	v_add_co_u32_e32 v31, vcc, v46, v19
	v_addc_co_u32_e32 v32, vcc, v47, v20, vcc
	global_load_dwordx2 v[17:18], v[17:18], off
	s_nop 0
	global_load_dwordx2 v[31:32], v[31:32], off
.LBB138_24:                             ;   in Loop: Header=BB138_3 Depth=1
	s_or_b64 exec, exec, s[8:9]
	s_waitcnt vmcnt(0)
	v_mul_f64 v[5:6], v[29:30], v[5:6]
	buffer_load_dword v29, off, s[36:39], 0 offset:32 ; 4-byte Folded Reload
	buffer_load_dword v30, off, s[36:39], 0 offset:36 ; 4-byte Folded Reload
	v_mul_f64 v[3:4], v[44:45], v[3:4]
	ds_bpermute_b32 v44, v43, v21
	ds_bpermute_b32 v45, v43, v22
	v_mul_f64 v[9:10], v[35:36], v[9:10]
	v_mul_f64 v[0:1], v[0:1], v[13:14]
	s_mov_b64 s[8:9], 0
	s_waitcnt vmcnt(0) lgkmcnt(0)
	v_fma_f64 v[3:4], v[3:4], v[44:45], v[29:30]
	buffer_load_dword v44, off, s[36:39], 0 offset:40 ; 4-byte Folded Reload
	buffer_load_dword v45, off, s[36:39], 0 offset:44 ; 4-byte Folded Reload
	ds_bpermute_b32 v29, v43, v21 offset:4
	ds_bpermute_b32 v30, v43, v22 offset:4
	s_waitcnt lgkmcnt(0)
	v_fma_f64 v[3:4], v[5:6], v[29:30], v[3:4]
	ds_bpermute_b32 v5, v43, v21 offset:8
	ds_bpermute_b32 v6, v43, v22 offset:8
	s_waitcnt vmcnt(0)
	v_mul_f64 v[7:8], v[44:45], v[7:8]
	s_waitcnt lgkmcnt(0)
	v_fma_f64 v[3:4], v[7:8], v[5:6], v[3:4]
	ds_bpermute_b32 v5, v43, v21 offset:12
	ds_bpermute_b32 v6, v43, v22 offset:12
	v_mul_f64 v[7:8], v[33:34], v[11:12]
	s_waitcnt lgkmcnt(0)
	v_fma_f64 v[3:4], v[9:10], v[5:6], v[3:4]
	ds_bpermute_b32 v5, v43, v21 offset:16
	ds_bpermute_b32 v6, v43, v22 offset:16
	s_waitcnt lgkmcnt(0)
	v_fma_f64 v[3:4], v[7:8], v[5:6], v[3:4]
	ds_bpermute_b32 v5, v43, v21 offset:20
	ds_bpermute_b32 v6, v43, v22 offset:20
	s_waitcnt lgkmcnt(0)
	v_fma_f64 v[0:1], v[0:1], v[5:6], v[3:4]
	v_mul_f64 v[3:4], v[37:38], v[15:16]
	ds_bpermute_b32 v5, v43, v21 offset:24
	ds_bpermute_b32 v6, v43, v22 offset:24
	s_waitcnt lgkmcnt(0)
	v_fma_f64 v[0:1], v[3:4], v[5:6], v[0:1]
	ds_bpermute_b32 v3, v43, v21 offset:28
	ds_bpermute_b32 v4, v43, v22 offset:28
.LBB138_25:                             ;   in Loop: Header=BB138_3 Depth=1
	s_and_b64 vcc, exec, s[8:9]
	s_cbranch_vccz .LBB138_47
; %bb.26:                               ;   in Loop: Header=BB138_3 Depth=1
	s_load_dword s8, s[22:23], 0x0
	v_mov_b32_e32 v44, 0
	v_mov_b32_e32 v21, 0
	v_mov_b32_e32 v45, 0
	v_mov_b32_e32 v22, 0
	s_waitcnt lgkmcnt(0)
	s_cmp_lt_u32 s6, s8
	s_cselect_b32 s8, 12, 18
	s_add_u32 s8, s22, s8
	s_addc_u32 s9, s23, 0
	global_load_ushort v0, v2, s[8:9]
	buffer_load_dword v1, off, s[36:39], 0 offset:24 ; 4-byte Folded Reload
	buffer_load_dword v3, off, s[36:39], 0 offset:28 ; 4-byte Folded Reload
	s_waitcnt vmcnt(0)
	v_mad_u32_u24 v0, v3, v0, v1
	v_and_b32_e32 v0, 63, v0
	v_cmp_gt_u32_e32 vcc, 8, v0
	s_and_saveexec_b64 s[8:9], vcc
	s_cbranch_execz .LBB138_30
; %bb.27:                               ;   in Loop: Header=BB138_3 Depth=1
	v_add_co_u32_e32 v0, vcc, v25, v0
	v_addc_co_u32_e32 v1, vcc, 0, v26, vcc
	v_add_co_u32_e32 v0, vcc, 0xffffff01, v0
	v_addc_co_u32_e32 v1, vcc, -1, v1, vcc
	v_cmp_gt_i64_e32 vcc, s[12:13], v[0:1]
	v_mov_b32_e32 v21, 0
	v_mov_b32_e32 v22, 0
	s_and_saveexec_b64 s[30:31], vcc
	s_cbranch_execz .LBB138_29
; %bb.28:                               ;   in Loop: Header=BB138_3 Depth=1
	v_lshlrev_b64 v[0:1], 3, v[0:1]
	v_mov_b32_e32 v3, s11
	v_add_co_u32_e32 v0, vcc, s10, v0
	v_addc_co_u32_e32 v1, vcc, v3, v1, vcc
	global_load_dwordx2 v[21:22], v[0:1], off
.LBB138_29:                             ;   in Loop: Header=BB138_3 Depth=1
	s_or_b64 exec, exec, s[30:31]
.LBB138_30:                             ;   in Loop: Header=BB138_3 Depth=1
	s_or_b64 exec, exec, s[8:9]
	v_mov_b32_e32 v3, v2
	v_mov_b32_e32 v4, v2
	;; [unrolled: 1-line block ×31, first 2 shown]
	s_and_saveexec_b64 s[8:9], s[2:3]
	s_cbranch_execz .LBB138_32
; %bb.31:                               ;   in Loop: Header=BB138_3 Depth=1
	buffer_load_dword v0, off, s[36:39], 0  ; 4-byte Folded Reload
	buffer_load_dword v1, off, s[36:39], 0 offset:4 ; 4-byte Folded Reload
	v_mov_b32_e32 v5, v2
	v_mov_b32_e32 v6, v2
	;; [unrolled: 1-line block ×14, first 2 shown]
	s_waitcnt vmcnt(1)
	v_add_co_u32_e32 v0, vcc, v0, v19
	s_waitcnt vmcnt(0)
	v_addc_co_u32_e32 v1, vcc, v1, v20, vcc
	global_load_dwordx2 v[3:4], v[0:1], off
	s_nop 0
	buffer_load_dword v0, off, s[36:39], 0 offset:8 ; 4-byte Folded Reload
	buffer_load_dword v1, off, s[36:39], 0 offset:12 ; 4-byte Folded Reload
	s_waitcnt vmcnt(1)
	v_add_co_u32_e32 v0, vcc, v0, v19
	s_waitcnt vmcnt(0)
	v_addc_co_u32_e32 v1, vcc, v1, v20, vcc
	global_load_dwordx2 v[44:45], v[0:1], off
.LBB138_32:                             ;   in Loop: Header=BB138_3 Depth=1
	s_or_b64 exec, exec, s[8:9]
	v_mov_b32_e32 v25, 0
	v_mov_b32_e32 v29, 0
	;; [unrolled: 1-line block ×4, first 2 shown]
	s_and_saveexec_b64 s[8:9], s[2:3]
	s_cbranch_execz .LBB138_34
; %bb.33:                               ;   in Loop: Header=BB138_3 Depth=1
	v_add_co_u32_e32 v0, vcc, v24, v19
	v_addc_co_u32_e32 v1, vcc, v40, v20, vcc
	global_load_dwordx2 v[5:6], v[0:1], off
	v_add_co_u32_e32 v0, vcc, v41, v19
	v_addc_co_u32_e32 v1, vcc, v42, v20, vcc
	global_load_dwordx2 v[29:30], v[0:1], off
.LBB138_34:                             ;   in Loop: Header=BB138_3 Depth=1
	s_or_b64 exec, exec, s[8:9]
	s_and_saveexec_b64 s[8:9], s[2:3]
	s_cbranch_execz .LBB138_36
; %bb.35:                               ;   in Loop: Header=BB138_3 Depth=1
	v_add_co_u32_e32 v0, vcc, v39, v19
	v_addc_co_u32_e32 v1, vcc, v27, v20, vcc
	global_load_dwordx2 v[7:8], v[0:1], off
	v_add_co_u32_e32 v0, vcc, v28, v19
	v_addc_co_u32_e32 v1, vcc, v23, v20, vcc
	global_load_dwordx2 v[25:26], v[0:1], off
.LBB138_36:                             ;   in Loop: Header=BB138_3 Depth=1
	s_or_b64 exec, exec, s[8:9]
	v_mov_b32_e32 v33, 0
	v_mov_b32_e32 v35, 0
	;; [unrolled: 1-line block ×4, first 2 shown]
	s_and_saveexec_b64 s[8:9], s[2:3]
	s_cbranch_execz .LBB138_38
; %bb.37:                               ;   in Loop: Header=BB138_3 Depth=1
	v_add_co_u32_e32 v0, vcc, v60, v19
	v_addc_co_u32_e32 v1, vcc, v61, v20, vcc
	global_load_dwordx2 v[9:10], v[0:1], off
	v_add_co_u32_e32 v0, vcc, v62, v19
	v_addc_co_u32_e32 v1, vcc, v63, v20, vcc
	global_load_dwordx2 v[35:36], v[0:1], off
.LBB138_38:                             ;   in Loop: Header=BB138_3 Depth=1
	s_or_b64 exec, exec, s[8:9]
	s_and_saveexec_b64 s[8:9], s[2:3]
	s_cbranch_execz .LBB138_40
; %bb.39:                               ;   in Loop: Header=BB138_3 Depth=1
	v_add_co_u32_e32 v0, vcc, v56, v19
	v_addc_co_u32_e32 v1, vcc, v57, v20, vcc
	global_load_dwordx2 v[11:12], v[0:1], off
	v_add_co_u32_e32 v0, vcc, v58, v19
	v_addc_co_u32_e32 v1, vcc, v59, v20, vcc
	global_load_dwordx2 v[33:34], v[0:1], off
.LBB138_40:                             ;   in Loop: Header=BB138_3 Depth=1
	s_or_b64 exec, exec, s[8:9]
	v_mov_b32_e32 v0, 0
	v_mov_b32_e32 v37, 0
	;; [unrolled: 1-line block ×4, first 2 shown]
	s_and_saveexec_b64 s[8:9], s[2:3]
	s_cbranch_execz .LBB138_42
; %bb.41:                               ;   in Loop: Header=BB138_3 Depth=1
	v_add_co_u32_e32 v13, vcc, v52, v19
	v_addc_co_u32_e32 v14, vcc, v53, v20, vcc
	v_add_co_u32_e32 v31, vcc, v54, v19
	v_addc_co_u32_e32 v32, vcc, v55, v20, vcc
	global_load_dwordx2 v[13:14], v[13:14], off
	s_nop 0
	global_load_dwordx2 v[37:38], v[31:32], off
.LBB138_42:                             ;   in Loop: Header=BB138_3 Depth=1
	s_or_b64 exec, exec, s[8:9]
	s_and_saveexec_b64 s[8:9], s[2:3]
	s_cbranch_execz .LBB138_44
; %bb.43:                               ;   in Loop: Header=BB138_3 Depth=1
	v_add_co_u32_e32 v0, vcc, v48, v19
	v_addc_co_u32_e32 v1, vcc, v49, v20, vcc
	global_load_dwordx2 v[15:16], v[0:1], off
	v_add_co_u32_e32 v0, vcc, v50, v19
	v_addc_co_u32_e32 v1, vcc, v51, v20, vcc
	global_load_dwordx2 v[0:1], v[0:1], off
.LBB138_44:                             ;   in Loop: Header=BB138_3 Depth=1
	s_or_b64 exec, exec, s[8:9]
	v_mov_b32_e32 v31, 0
	v_mov_b32_e32 v32, 0
	s_and_saveexec_b64 s[8:9], s[2:3]
	s_cbranch_execz .LBB138_46
; %bb.45:                               ;   in Loop: Header=BB138_3 Depth=1
	buffer_load_dword v17, off, s[36:39], 0 offset:16 ; 4-byte Folded Reload
	buffer_load_dword v18, off, s[36:39], 0 offset:20 ; 4-byte Folded Reload
	s_waitcnt vmcnt(1)
	v_add_co_u32_e32 v17, vcc, v17, v19
	s_waitcnt vmcnt(0)
	v_addc_co_u32_e32 v18, vcc, v18, v20, vcc
	v_add_co_u32_e32 v31, vcc, v46, v19
	v_addc_co_u32_e32 v32, vcc, v47, v20, vcc
	global_load_dwordx2 v[17:18], v[17:18], off
	s_nop 0
	global_load_dwordx2 v[31:32], v[31:32], off
.LBB138_46:                             ;   in Loop: Header=BB138_3 Depth=1
	s_or_b64 exec, exec, s[8:9]
	s_waitcnt vmcnt(0)
	v_mul_f64 v[5:6], v[29:30], v[5:6]
	buffer_load_dword v29, off, s[36:39], 0 offset:32 ; 4-byte Folded Reload
	buffer_load_dword v30, off, s[36:39], 0 offset:36 ; 4-byte Folded Reload
	v_mul_f64 v[3:4], v[44:45], v[3:4]
	ds_bpermute_b32 v44, v43, v21
	ds_bpermute_b32 v45, v43, v22
	v_mul_f64 v[7:8], v[25:26], v[7:8]
	v_mul_f64 v[9:10], v[35:36], v[9:10]
	;; [unrolled: 1-line block ×3, first 2 shown]
	s_waitcnt vmcnt(0) lgkmcnt(0)
	v_fma_f64 v[3:4], v[3:4], v[44:45], v[29:30]
	ds_bpermute_b32 v29, v43, v21 offset:4
	ds_bpermute_b32 v30, v43, v22 offset:4
	s_waitcnt lgkmcnt(0)
	v_fma_f64 v[3:4], v[5:6], v[29:30], v[3:4]
	ds_bpermute_b32 v5, v43, v21 offset:8
	ds_bpermute_b32 v6, v43, v22 offset:8
	s_waitcnt lgkmcnt(0)
	v_fma_f64 v[3:4], v[7:8], v[5:6], v[3:4]
	ds_bpermute_b32 v5, v43, v21 offset:12
	ds_bpermute_b32 v6, v43, v22 offset:12
	v_mul_f64 v[7:8], v[33:34], v[11:12]
	s_waitcnt lgkmcnt(0)
	v_fma_f64 v[3:4], v[9:10], v[5:6], v[3:4]
	ds_bpermute_b32 v5, v43, v21 offset:16
	ds_bpermute_b32 v6, v43, v22 offset:16
	v_mul_f64 v[9:10], v[37:38], v[13:14]
	s_waitcnt lgkmcnt(0)
	v_fma_f64 v[3:4], v[7:8], v[5:6], v[3:4]
	ds_bpermute_b32 v5, v43, v21 offset:20
	ds_bpermute_b32 v6, v43, v22 offset:20
	s_waitcnt lgkmcnt(0)
	v_fma_f64 v[3:4], v[9:10], v[5:6], v[3:4]
	ds_bpermute_b32 v5, v43, v21 offset:24
	ds_bpermute_b32 v6, v43, v22 offset:24
	;; [unrolled: 4-line block ×3, first 2 shown]
.LBB138_47:                             ;   in Loop: Header=BB138_3 Depth=1
	buffer_load_dword v8, off, s[36:39], 0  ; 4-byte Folded Reload
	v_mul_f64 v[5:6], v[31:32], v[17:18]
	v_mov_b32_e32 v7, s25
	s_add_u32 s28, s28, s7
	s_addc_u32 s29, s29, 0
	s_add_u32 s26, s26, s7
	s_addc_u32 s27, s27, 0
	s_waitcnt lgkmcnt(0)
	v_fma_f64 v[5:6], v[5:6], v[3:4], v[0:1]
	buffer_load_dword v0, off, s[36:39], 0 offset:8 ; 4-byte Folded Reload
	s_waitcnt vmcnt(1)
	v_add_co_u32_e32 v8, vcc, s24, v8
	buffer_store_dword v8, off, s[36:39], 0 ; 4-byte Folded Spill
	buffer_load_dword v8, off, s[36:39], 0 offset:4 ; 4-byte Folded Reload
	s_waitcnt vmcnt(0)
	v_addc_co_u32_e32 v8, vcc, v8, v7, vcc
	v_add_co_u32_e32 v0, vcc, s24, v0
	buffer_store_dword v0, off, s[36:39], 0 offset:8 ; 4-byte Folded Spill
	buffer_load_dword v0, off, s[36:39], 0 offset:12 ; 4-byte Folded Reload
	s_waitcnt vmcnt(0)
	v_addc_co_u32_e32 v0, vcc, v0, v7, vcc
	buffer_store_dword v0, off, s[36:39], 0 offset:12 ; 4-byte Folded Spill
	buffer_load_dword v0, off, s[36:39], 0 offset:16 ; 4-byte Folded Reload
	s_waitcnt vmcnt(0)
	v_add_co_u32_e32 v0, vcc, s24, v0
	buffer_store_dword v0, off, s[36:39], 0 offset:16 ; 4-byte Folded Spill
	buffer_load_dword v0, off, s[36:39], 0 offset:20 ; 4-byte Folded Reload
	s_waitcnt vmcnt(0)
	v_addc_co_u32_e32 v0, vcc, v0, v7, vcc
	v_add_co_u32_e32 v46, vcc, s24, v46
	v_addc_co_u32_e32 v47, vcc, v47, v7, vcc
	v_add_co_u32_e32 v48, vcc, s24, v48
	;; [unrolled: 2-line block ×12, first 2 shown]
	v_addc_co_u32_e32 v40, vcc, v40, v7, vcc
	buffer_store_dword v0, off, s[36:39], 0 offset:20 ; 4-byte Folded Spill
	v_add_co_u32_e32 v41, vcc, s24, v41
	v_mov_b32_e32 v0, s12
	v_addc_co_u32_e32 v42, vcc, v42, v7, vcc
	v_mov_b32_e32 v1, s13
	v_cmp_lt_i64_e32 vcc, s[28:29], v[0:1]
	buffer_store_dword v8, off, s[36:39], 0 offset:4 ; 4-byte Folded Spill
	s_cbranch_vccz .LBB138_50
; %bb.48:                               ;   in Loop: Header=BB138_3 Depth=1
	buffer_store_dword v5, off, s[36:39], 0 offset:32 ; 4-byte Folded Spill
	s_nop 0
	buffer_store_dword v6, off, s[36:39], 0 offset:36 ; 4-byte Folded Spill
	s_branch .LBB138_3
.LBB138_49:
                                        ; implicit-def: $vgpr5_vgpr6
	s_branch .LBB138_51
.LBB138_50:
	s_cbranch_execnz .LBB138_83
.LBB138_51:
	v_mov_b32_e32 v5, 0
	v_mov_b32_e32 v6, 0
	s_and_b64 vcc, exec, s[0:1]
	s_cbranch_vccnz .LBB138_83
; %bb.52:
	buffer_load_dword v7, off, s[36:39], 0 offset:28 ; 4-byte Folded Reload
	s_load_dword s7, s[4:5], 0x44
	s_add_u32 s2, s4, 64
	s_addc_u32 s3, s5, 0
	v_mov_b32_e32 v6, s17
	v_mov_b32_e32 v11, s15
	s_waitcnt lgkmcnt(0)
	s_lshl_b32 s7, s7, 8
	v_mov_b32_e32 v59, 0
	v_mov_b32_e32 v60, 0
	s_waitcnt vmcnt(0)
	v_lshlrev_b32_e32 v0, 3, v7
	buffer_store_dword v0, off, s[36:39], 0 offset:168 ; 4-byte Folded Spill
	v_add_co_u32_e32 v0, vcc, s20, v0
	v_addc_co_u32_e64 v1, s[0:1], 0, 0, vcc
	v_mul_lo_u32 v2, s15, v0
	v_mul_lo_u32 v3, s14, v1
	v_mad_u64_u32 v[4:5], s[0:1], s14, v0, 0
	s_mul_i32 s0, s15, s7
	s_mul_hi_u32 s1, s14, s7
	v_add3_u32 v5, v5, v3, v2
	v_lshlrev_b64 v[2:3], 3, v[4:5]
	s_add_i32 s1, s1, s0
	v_add_co_u32_e32 v8, vcc, s16, v2
	v_addc_co_u32_e32 v6, vcc, v6, v3, vcc
	s_mul_i32 s0, s14, s7
	buffer_store_dword v6, off, s[36:39], 0 offset:4 ; 4-byte Folded Spill
	s_lshl_b64 s[8:9], s[0:1], 3
	v_mov_b32_e32 v6, s19
	v_add_co_u32_e32 v2, vcc, s18, v2
	buffer_store_dword v2, off, s[36:39], 0 offset:8 ; 4-byte Folded Spill
	v_addc_co_u32_e32 v2, vcc, v6, v3, vcc
	s_add_u32 s22, s20, 0xff
	buffer_store_dword v2, off, s[36:39], 0 offset:12 ; 4-byte Folded Spill
	s_addc_u32 s23, 0, 0
	v_lshlrev_b32_e32 v2, 6, v7
	s_lshl_b64 s[0:1], s[20:21], 3
	v_mov_b32_e32 v3, s1
	v_add_co_u32_e32 v6, vcc, s0, v2
	v_addc_co_u32_e32 v7, vcc, 0, v3, vcc
	buffer_store_dword v8, off, s[36:39], 0 ; 4-byte Folded Spill
	v_add_co_u32_e32 v8, vcc, 8, v6
	v_addc_co_u32_e32 v9, vcc, 0, v7, vcc
	v_mov_b32_e32 v2, s16
	v_mul_lo_u32 v12, s14, v9
	v_mov_b32_e32 v9, s18
	v_mov_b32_e32 v3, s17
	;; [unrolled: 1-line block ×3, first 2 shown]
	v_mad_u64_u32 v[19:20], s[0:1], s14, v8, v[2:3]
	v_mul_lo_u32 v13, s15, v8
	v_mad_u64_u32 v[21:22], s[0:1], s14, v8, v[9:10]
	v_add_co_u32_e32 v8, vcc, 16, v6
	v_addc_co_u32_e32 v14, vcc, 0, v7, vcc
	v_add_co_u32_e32 v4, vcc, s14, v4
	v_addc_co_u32_e32 v5, vcc, v5, v11, vcc
	v_mul_lo_u32 v15, s15, v8
	v_mad_u64_u32 v[23:24], s[0:1], s14, v8, v[2:3]
	v_mad_u64_u32 v[25:26], s[0:1], s14, v8, v[9:10]
	v_add_co_u32_e32 v8, vcc, 24, v6
	v_addc_co_u32_e32 v11, vcc, 0, v7, vcc
	v_add3_u32 v20, v13, v20, v12
	v_add3_u32 v22, v13, v22, v12
	v_mul_lo_u32 v11, s14, v11
	v_mul_lo_u32 v12, s15, v8
	v_mad_u64_u32 v[29:30], s[0:1], s14, v8, v[2:3]
	v_mad_u64_u32 v[31:32], s[0:1], s14, v8, v[9:10]
	v_add_co_u32_e32 v8, vcc, 32, v6
	v_mul_lo_u32 v14, s14, v14
	v_addc_co_u32_e32 v13, vcc, 0, v7, vcc
	v_mul_lo_u32 v16, s15, v8
	v_mad_u64_u32 v[33:34], s[0:1], s14, v8, v[2:3]
	v_mad_u64_u32 v[35:36], s[0:1], s14, v8, v[9:10]
	v_add_co_u32_e32 v8, vcc, 40, v6
	v_add3_u32 v30, v12, v30, v11
	v_add3_u32 v32, v12, v32, v11
	v_addc_co_u32_e32 v11, vcc, 0, v7, vcc
	v_mul_lo_u32 v12, s15, v8
	v_mad_u64_u32 v[37:38], s[0:1], s14, v8, v[2:3]
	v_mad_u64_u32 v[39:40], s[0:1], s14, v8, v[9:10]
	v_add_co_u32_e32 v8, vcc, 48, v6
	v_add3_u32 v24, v15, v24, v14
	v_add3_u32 v26, v15, v26, v14
	v_addc_co_u32_e32 v14, vcc, 0, v7, vcc
	v_add_co_u32_e32 v6, vcc, 56, v6
	v_addc_co_u32_e32 v7, vcc, 0, v7, vcc
	v_mad_u64_u32 v[41:42], s[0:1], s14, v8, v[2:3]
	v_mad_u64_u32 v[45:46], s[0:1], s14, v6, v[2:3]
	v_add_co_u32_e32 v2, vcc, 7, v0
	v_addc_co_u32_e32 v3, vcc, 0, v1, vcc
	v_mul_lo_u32 v15, s15, v8
	v_mad_u64_u32 v[43:44], s[0:1], s14, v8, v[9:10]
	v_mad_u64_u32 v[47:48], s[0:1], s14, v6, v[9:10]
	v_mul_lo_u32 v8, s14, v3
	v_mul_lo_u32 v9, s15, v2
	v_mad_u64_u32 v[2:3], s[0:1], s14, v2, 0
	v_mul_lo_u32 v7, s14, v7
	v_mul_lo_u32 v6, s15, v6
	v_add3_u32 v3, v3, v8, v9
	v_lshlrev_b64 v[2:3], 3, v[2:3]
	v_mov_b32_e32 v8, s19
	v_add3_u32 v46, v6, v46, v7
	v_add3_u32 v48, v6, v48, v7
	v_mov_b32_e32 v6, s17
	v_add_co_u32_e32 v7, vcc, s16, v2
	v_addc_co_u32_e32 v6, vcc, v6, v3, vcc
	buffer_store_dword v6, off, s[36:39], 0 offset:20 ; 4-byte Folded Spill
	v_add_co_u32_e32 v6, vcc, 6, v0
	buffer_store_dword v7, off, s[36:39], 0 offset:16 ; 4-byte Folded Spill
	v_addc_co_u32_e32 v7, vcc, 0, v1, vcc
	v_mul_lo_u32 v9, s14, v7
	v_mul_lo_u32 v10, s15, v6
	v_mad_u64_u32 v[6:7], s[0:1], s14, v6, 0
	v_add_co_u32_e32 v2, vcc, s18, v2
	buffer_store_dword v2, off, s[36:39], 0 offset:32 ; 4-byte Folded Spill
	v_addc_co_u32_e32 v2, vcc, v8, v3, vcc
	v_add3_u32 v7, v7, v9, v10
	buffer_store_dword v2, off, s[36:39], 0 offset:40 ; 4-byte Folded Spill
	v_lshlrev_b64 v[2:3], 3, v[6:7]
	v_mov_b32_e32 v6, s17
	v_add_co_u32_e32 v7, vcc, s16, v2
	v_addc_co_u32_e32 v6, vcc, v6, v3, vcc
	buffer_store_dword v6, off, s[36:39], 0 offset:52 ; 4-byte Folded Spill
	v_add_co_u32_e32 v6, vcc, 5, v0
	buffer_store_dword v7, off, s[36:39], 0 offset:48 ; 4-byte Folded Spill
	v_addc_co_u32_e32 v7, vcc, 0, v1, vcc
	v_mul_lo_u32 v9, s14, v7
	v_mul_lo_u32 v10, s15, v6
	v_mad_u64_u32 v[6:7], s[0:1], s14, v6, 0
	v_add_co_u32_e32 v2, vcc, s18, v2
	buffer_store_dword v2, off, s[36:39], 0 offset:56 ; 4-byte Folded Spill
	v_addc_co_u32_e32 v2, vcc, v8, v3, vcc
	v_add3_u32 v7, v7, v9, v10
	buffer_store_dword v2, off, s[36:39], 0 offset:60 ; 4-byte Folded Spill
	v_lshlrev_b64 v[2:3], 3, v[6:7]
	;; [unrolled: 16-line block ×3, first 2 shown]
	v_mov_b32_e32 v6, s17
	v_add_co_u32_e32 v7, vcc, s16, v2
	v_addc_co_u32_e32 v6, vcc, v6, v3, vcc
	buffer_store_dword v6, off, s[36:39], 0 offset:84 ; 4-byte Folded Spill
	v_mov_b32_e32 v6, s19
	v_add_co_u32_e32 v2, vcc, s18, v2
	buffer_store_dword v2, off, s[36:39], 0 offset:88 ; 4-byte Folded Spill
	v_addc_co_u32_e32 v2, vcc, v6, v3, vcc
	buffer_store_dword v2, off, s[36:39], 0 offset:92 ; 4-byte Folded Spill
	v_add_co_u32_e32 v2, vcc, 3, v0
	v_addc_co_u32_e32 v3, vcc, 0, v1, vcc
	buffer_store_dword v7, off, s[36:39], 0 offset:80 ; 4-byte Folded Spill
	v_mul_lo_u32 v6, s14, v3
	v_mul_lo_u32 v7, s15, v2
	v_mad_u64_u32 v[2:3], s[0:1], s14, v2, 0
	v_mul_lo_u32 v13, s14, v13
	v_mul_lo_u32 v11, s14, v11
	v_add3_u32 v3, v3, v6, v7
	v_lshlrev_b64 v[2:3], 3, v[2:3]
	v_mov_b32_e32 v6, s17
	v_add_co_u32_e32 v7, vcc, s16, v2
	v_addc_co_u32_e32 v6, vcc, v6, v3, vcc
	buffer_store_dword v6, off, s[36:39], 0 offset:100 ; 4-byte Folded Spill
	v_mov_b32_e32 v6, s19
	v_add_co_u32_e32 v2, vcc, s18, v2
	buffer_store_dword v2, off, s[36:39], 0 offset:104 ; 4-byte Folded Spill
	v_addc_co_u32_e32 v2, vcc, v6, v3, vcc
	v_add_co_u32_e32 v0, vcc, 2, v0
	v_addc_co_u32_e32 v1, vcc, 0, v1, vcc
	buffer_store_dword v2, off, s[36:39], 0 offset:108 ; 4-byte Folded Spill
	v_mul_lo_u32 v2, s14, v1
	v_mul_lo_u32 v3, s15, v0
	v_mad_u64_u32 v[0:1], s[0:1], s14, v0, 0
	v_mul_lo_u32 v14, s14, v14
	v_add3_u32 v34, v16, v34, v13
	v_add3_u32 v1, v1, v2, v3
	v_lshlrev_b64 v[0:1], 3, v[0:1]
	v_mov_b32_e32 v2, s17
	v_add_co_u32_e32 v3, vcc, s16, v0
	v_addc_co_u32_e32 v2, vcc, v2, v1, vcc
	buffer_store_dword v2, off, s[36:39], 0 offset:116 ; 4-byte Folded Spill
	v_mov_b32_e32 v2, s19
	v_add_co_u32_e32 v0, vcc, s18, v0
	buffer_store_dword v0, off, s[36:39], 0 offset:120 ; 4-byte Folded Spill
	v_addc_co_u32_e32 v0, vcc, v2, v1, vcc
	buffer_store_dword v0, off, s[36:39], 0 offset:124 ; 4-byte Folded Spill
	v_lshlrev_b64 v[0:1], 3, v[4:5]
	buffer_store_dword v3, off, s[36:39], 0 offset:112 ; 4-byte Folded Spill
	v_mov_b32_e32 v2, s17
	v_add_co_u32_e32 v3, vcc, s16, v0
	v_addc_co_u32_e32 v2, vcc, v2, v1, vcc
	buffer_store_dword v2, off, s[36:39], 0 offset:132 ; 4-byte Folded Spill
	v_mov_b32_e32 v2, s19
	v_add_co_u32_e32 v0, vcc, s18, v0
	buffer_store_dword v0, off, s[36:39], 0 offset:136 ; 4-byte Folded Spill
	v_addc_co_u32_e32 v0, vcc, v2, v1, vcc
	buffer_store_dword v0, off, s[36:39], 0 offset:140 ; 4-byte Folded Spill
	buffer_load_dword v0, off, s[36:39], 0 offset:24 ; 4-byte Folded Reload
	v_mov_b32_e32 v2, 0
	v_mov_b32_e32 v1, v2
	v_add3_u32 v36, v16, v36, v13
	v_add3_u32 v38, v12, v38, v11
	v_add3_u32 v40, v12, v40, v11
	v_add3_u32 v42, v15, v42, v14
	v_add3_u32 v44, v15, v44, v14
	buffer_store_dword v7, off, s[36:39], 0 offset:96 ; 4-byte Folded Spill
	buffer_store_dword v3, off, s[36:39], 0 offset:128 ; 4-byte Folded Spill
	s_waitcnt vmcnt(2)
	v_add_u32_e32 v0, s33, v0
	v_lshlrev_b64 v[49:50], 3, v[0:1]
	v_mbcnt_lo_u32_b32 v0, -1, 0
	v_mbcnt_hi_u32_b32 v0, -1, v0
	v_lshlrev_b32_e32 v0, 2, v0
	v_and_b32_e32 v63, 0x100, v0
.LBB138_53:                             ; =>This Inner Loop Header: Depth=1
	v_mov_b32_e32 v0, s12
	v_mov_b32_e32 v1, s13
	v_cmp_ge_i64_e32 vcc, s[22:23], v[0:1]
	buffer_load_dword v1, off, s[36:39], 0 offset:168 ; 4-byte Folded Reload
	v_mov_b32_e32 v0, s23
	s_and_b64 vcc, exec, vcc
                                        ; implicit-def: $vgpr5_vgpr6
	s_waitcnt vmcnt(0)
	v_add_co_u32_e64 v55, s[0:1], s22, v1
	v_addc_co_u32_e64 v56, s[0:1], 0, v0, s[0:1]
	s_mov_b64 s[0:1], -1
	s_cbranch_vccz .LBB138_75
; %bb.54:                               ;   in Loop: Header=BB138_53 Depth=1
	buffer_store_dword v59, off, s[36:39], 0 offset:172 ; 4-byte Folded Spill
	s_nop 0
	buffer_store_dword v60, off, s[36:39], 0 offset:176 ; 4-byte Folded Spill
	s_load_dword s0, s[2:3], 0xc
	buffer_load_dword v0, off, s[36:39], 0 offset:24 ; 4-byte Folded Reload
	buffer_load_dword v1, off, s[36:39], 0 offset:28 ; 4-byte Folded Reload
	v_mov_b32_e32 v57, 0
	v_mov_b32_e32 v27, 0
	;; [unrolled: 1-line block ×3, first 2 shown]
	s_waitcnt lgkmcnt(0)
	s_and_b32 s0, s0, 0xffff
	v_mov_b32_e32 v28, 0
	s_waitcnt vmcnt(0)
	v_mad_u32_u24 v0, v1, s0, v0
	v_and_b32_e32 v0, 63, v0
	v_cmp_gt_u32_e32 vcc, 8, v0
	s_and_saveexec_b64 s[0:1], vcc
	s_cbranch_execz .LBB138_58
; %bb.55:                               ;   in Loop: Header=BB138_53 Depth=1
	v_add_co_u32_e32 v0, vcc, v55, v0
	v_addc_co_u32_e32 v1, vcc, 0, v56, vcc
	v_add_co_u32_e32 v0, vcc, 0xffffff01, v0
	v_addc_co_u32_e32 v1, vcc, -1, v1, vcc
	v_cmp_gt_i64_e32 vcc, s[12:13], v[0:1]
	v_mov_b32_e32 v27, 0
	v_mov_b32_e32 v28, 0
	s_and_saveexec_b64 s[16:17], vcc
	s_cbranch_execz .LBB138_57
; %bb.56:                               ;   in Loop: Header=BB138_53 Depth=1
	v_lshlrev_b64 v[0:1], 3, v[0:1]
	v_mov_b32_e32 v3, s11
	v_add_co_u32_e32 v0, vcc, s10, v0
	v_addc_co_u32_e32 v1, vcc, v3, v1, vcc
	global_load_dwordx2 v[27:28], v[0:1], off
.LBB138_57:                             ;   in Loop: Header=BB138_53 Depth=1
	s_or_b64 exec, exec, s[16:17]
.LBB138_58:                             ;   in Loop: Header=BB138_53 Depth=1
	s_or_b64 exec, exec, s[0:1]
	v_add_co_u32_e32 v0, vcc, 0xffffff01, v55
	v_addc_co_u32_e32 v1, vcc, -1, v56, vcc
	v_mov_b32_e32 v3, v2
	v_mov_b32_e32 v4, v2
	v_mov_b32_e32 v5, v2
	v_mov_b32_e32 v6, v2
	v_mov_b32_e32 v7, v2
	v_mov_b32_e32 v8, v2
	v_mov_b32_e32 v9, v2
	v_mov_b32_e32 v10, v2
	v_mov_b32_e32 v11, v2
	v_mov_b32_e32 v12, v2
	v_mov_b32_e32 v13, v2
	v_mov_b32_e32 v14, v2
	v_mov_b32_e32 v15, v2
	v_mov_b32_e32 v16, v2
	v_mov_b32_e32 v17, v2
	v_cmp_gt_i64_e32 vcc, s[12:13], v[0:1]
	v_mov_b32_e32 v18, v17
	v_mov_b32_e32 v17, v16
	;; [unrolled: 1-line block ×16, first 2 shown]
	s_and_saveexec_b64 s[0:1], vcc
	s_cbranch_execz .LBB138_60
; %bb.59:                               ;   in Loop: Header=BB138_53 Depth=1
	buffer_load_dword v0, off, s[36:39], 0  ; 4-byte Folded Reload
	buffer_load_dword v1, off, s[36:39], 0 offset:4 ; 4-byte Folded Reload
	v_mov_b32_e32 v5, v2
	v_mov_b32_e32 v6, v2
	;; [unrolled: 1-line block ×14, first 2 shown]
	s_waitcnt vmcnt(1)
	v_add_co_u32_e32 v0, vcc, v0, v49
	s_waitcnt vmcnt(0)
	v_addc_co_u32_e32 v1, vcc, v1, v50, vcc
	global_load_dwordx2 v[3:4], v[0:1], off
	s_nop 0
	buffer_load_dword v0, off, s[36:39], 0 offset:8 ; 4-byte Folded Reload
	buffer_load_dword v1, off, s[36:39], 0 offset:12 ; 4-byte Folded Reload
	s_waitcnt vmcnt(1)
	v_add_co_u32_e32 v0, vcc, v0, v49
	s_waitcnt vmcnt(0)
	v_addc_co_u32_e32 v1, vcc, v1, v50, vcc
	global_load_dwordx2 v[57:58], v[0:1], off
.LBB138_60:                             ;   in Loop: Header=BB138_53 Depth=1
	s_or_b64 exec, exec, s[0:1]
	v_add_co_u32_e32 v0, vcc, 0xffffff02, v55
	v_addc_co_u32_e32 v1, vcc, -1, v56, vcc
	v_cmp_gt_i64_e32 vcc, s[12:13], v[0:1]
	v_mov_b32_e32 v61, 0
	v_mov_b32_e32 v0, 0
	v_mov_b32_e32 v62, 0
	v_mov_b32_e32 v1, 0
	buffer_store_dword v0, off, s[36:39], 0 offset:144 ; 4-byte Folded Spill
	s_nop 0
	buffer_store_dword v1, off, s[36:39], 0 offset:148 ; 4-byte Folded Spill
	s_and_saveexec_b64 s[0:1], vcc
	s_cbranch_execz .LBB138_62
; %bb.61:                               ;   in Loop: Header=BB138_53 Depth=1
	buffer_load_dword v0, off, s[36:39], 0 offset:128 ; 4-byte Folded Reload
	buffer_load_dword v1, off, s[36:39], 0 offset:132 ; 4-byte Folded Reload
	s_waitcnt vmcnt(1)
	v_add_co_u32_e32 v0, vcc, v0, v49
	s_waitcnt vmcnt(0)
	v_addc_co_u32_e32 v1, vcc, v1, v50, vcc
	global_load_dwordx2 v[5:6], v[0:1], off
	s_nop 0
	buffer_load_dword v0, off, s[36:39], 0 offset:136 ; 4-byte Folded Reload
	buffer_load_dword v1, off, s[36:39], 0 offset:140 ; 4-byte Folded Reload
	s_waitcnt vmcnt(1)
	v_add_co_u32_e32 v0, vcc, v0, v49
	s_waitcnt vmcnt(0)
	v_addc_co_u32_e32 v1, vcc, v1, v50, vcc
	global_load_dwordx2 v[0:1], v[0:1], off
	s_waitcnt vmcnt(0)
	buffer_store_dword v0, off, s[36:39], 0 offset:144 ; 4-byte Folded Spill
	s_nop 0
	buffer_store_dword v1, off, s[36:39], 0 offset:148 ; 4-byte Folded Spill
.LBB138_62:                             ;   in Loop: Header=BB138_53 Depth=1
	s_or_b64 exec, exec, s[0:1]
	v_add_co_u32_e32 v0, vcc, 0xffffff03, v55
	v_addc_co_u32_e32 v1, vcc, -1, v56, vcc
	v_cmp_gt_i64_e32 vcc, s[12:13], v[0:1]
	s_and_saveexec_b64 s[0:1], vcc
	s_cbranch_execz .LBB138_64
; %bb.63:                               ;   in Loop: Header=BB138_53 Depth=1
	buffer_load_dword v0, off, s[36:39], 0 offset:112 ; 4-byte Folded Reload
	buffer_load_dword v1, off, s[36:39], 0 offset:116 ; 4-byte Folded Reload
	s_waitcnt vmcnt(1)
	v_add_co_u32_e32 v0, vcc, v0, v49
	s_waitcnt vmcnt(0)
	v_addc_co_u32_e32 v1, vcc, v1, v50, vcc
	global_load_dwordx2 v[7:8], v[0:1], off
	s_nop 0
	buffer_load_dword v0, off, s[36:39], 0 offset:120 ; 4-byte Folded Reload
	buffer_load_dword v1, off, s[36:39], 0 offset:124 ; 4-byte Folded Reload
	s_waitcnt vmcnt(1)
	v_add_co_u32_e32 v0, vcc, v0, v49
	s_waitcnt vmcnt(0)
	v_addc_co_u32_e32 v1, vcc, v1, v50, vcc
	global_load_dwordx2 v[61:62], v[0:1], off
.LBB138_64:                             ;   in Loop: Header=BB138_53 Depth=1
	s_or_b64 exec, exec, s[0:1]
	v_add_co_u32_e32 v0, vcc, 0xffffff04, v55
	v_addc_co_u32_e32 v1, vcc, -1, v56, vcc
	v_cmp_gt_i64_e32 vcc, s[12:13], v[0:1]
	v_mov_b32_e32 v0, 0
	v_mov_b32_e32 v1, 0
	buffer_store_dword v0, off, s[36:39], 0 offset:152 ; 4-byte Folded Spill
	s_nop 0
	buffer_store_dword v1, off, s[36:39], 0 offset:156 ; 4-byte Folded Spill
	v_mov_b32_e32 v0, 0
	v_mov_b32_e32 v1, 0
	buffer_store_dword v0, off, s[36:39], 0 offset:160 ; 4-byte Folded Spill
	s_nop 0
	buffer_store_dword v1, off, s[36:39], 0 offset:164 ; 4-byte Folded Spill
	s_and_saveexec_b64 s[0:1], vcc
	s_cbranch_execz .LBB138_66
; %bb.65:                               ;   in Loop: Header=BB138_53 Depth=1
	buffer_load_dword v0, off, s[36:39], 0 offset:96 ; 4-byte Folded Reload
	buffer_load_dword v1, off, s[36:39], 0 offset:100 ; 4-byte Folded Reload
	s_waitcnt vmcnt(1)
	v_add_co_u32_e32 v0, vcc, v0, v49
	s_waitcnt vmcnt(0)
	v_addc_co_u32_e32 v1, vcc, v1, v50, vcc
	global_load_dwordx2 v[9:10], v[0:1], off
	s_nop 0
	buffer_load_dword v0, off, s[36:39], 0 offset:104 ; 4-byte Folded Reload
	buffer_load_dword v1, off, s[36:39], 0 offset:108 ; 4-byte Folded Reload
	s_waitcnt vmcnt(1)
	v_add_co_u32_e32 v0, vcc, v0, v49
	s_waitcnt vmcnt(0)
	v_addc_co_u32_e32 v1, vcc, v1, v50, vcc
	global_load_dwordx2 v[0:1], v[0:1], off
	s_waitcnt vmcnt(0)
	buffer_store_dword v0, off, s[36:39], 0 offset:160 ; 4-byte Folded Spill
	s_nop 0
	buffer_store_dword v1, off, s[36:39], 0 offset:164 ; 4-byte Folded Spill
.LBB138_66:                             ;   in Loop: Header=BB138_53 Depth=1
	s_or_b64 exec, exec, s[0:1]
	v_add_co_u32_e32 v0, vcc, 0xffffff05, v55
	v_addc_co_u32_e32 v1, vcc, -1, v56, vcc
	v_cmp_gt_i64_e32 vcc, s[12:13], v[0:1]
	s_and_saveexec_b64 s[0:1], vcc
	s_cbranch_execz .LBB138_68
; %bb.67:                               ;   in Loop: Header=BB138_53 Depth=1
	buffer_load_dword v0, off, s[36:39], 0 offset:80 ; 4-byte Folded Reload
	buffer_load_dword v1, off, s[36:39], 0 offset:84 ; 4-byte Folded Reload
	s_waitcnt vmcnt(1)
	v_add_co_u32_e32 v0, vcc, v0, v49
	s_waitcnt vmcnt(0)
	v_addc_co_u32_e32 v1, vcc, v1, v50, vcc
	global_load_dwordx2 v[11:12], v[0:1], off
	s_nop 0
	buffer_load_dword v0, off, s[36:39], 0 offset:88 ; 4-byte Folded Reload
	buffer_load_dword v1, off, s[36:39], 0 offset:92 ; 4-byte Folded Reload
	s_waitcnt vmcnt(1)
	v_add_co_u32_e32 v0, vcc, v0, v49
	s_waitcnt vmcnt(0)
	v_addc_co_u32_e32 v1, vcc, v1, v50, vcc
	global_load_dwordx2 v[0:1], v[0:1], off
	s_waitcnt vmcnt(0)
	buffer_store_dword v0, off, s[36:39], 0 offset:152 ; 4-byte Folded Spill
	s_nop 0
	buffer_store_dword v1, off, s[36:39], 0 offset:156 ; 4-byte Folded Spill
.LBB138_68:                             ;   in Loop: Header=BB138_53 Depth=1
	s_or_b64 exec, exec, s[0:1]
	v_add_co_u32_e32 v0, vcc, 0xffffff06, v55
	v_addc_co_u32_e32 v1, vcc, -1, v56, vcc
	v_cmp_gt_i64_e32 vcc, s[12:13], v[0:1]
	v_mov_b32_e32 v51, 0
	v_mov_b32_e32 v0, 0
	;; [unrolled: 1-line block ×4, first 2 shown]
	s_and_saveexec_b64 s[0:1], vcc
	s_cbranch_execz .LBB138_70
; %bb.69:                               ;   in Loop: Header=BB138_53 Depth=1
	buffer_load_dword v0, off, s[36:39], 0 offset:64 ; 4-byte Folded Reload
	buffer_load_dword v1, off, s[36:39], 0 offset:68 ; 4-byte Folded Reload
	s_waitcnt vmcnt(1)
	v_add_co_u32_e32 v0, vcc, v0, v49
	s_waitcnt vmcnt(0)
	v_addc_co_u32_e32 v1, vcc, v1, v50, vcc
	global_load_dwordx2 v[13:14], v[0:1], off
	s_nop 0
	buffer_load_dword v0, off, s[36:39], 0 offset:72 ; 4-byte Folded Reload
	buffer_load_dword v1, off, s[36:39], 0 offset:76 ; 4-byte Folded Reload
	s_waitcnt vmcnt(1)
	v_add_co_u32_e32 v0, vcc, v0, v49
	s_waitcnt vmcnt(0)
	v_addc_co_u32_e32 v1, vcc, v1, v50, vcc
	global_load_dwordx2 v[0:1], v[0:1], off
.LBB138_70:                             ;   in Loop: Header=BB138_53 Depth=1
	s_or_b64 exec, exec, s[0:1]
	v_add_co_u32_e32 v53, vcc, 0xffffff07, v55
	v_addc_co_u32_e32 v54, vcc, -1, v56, vcc
	v_cmp_gt_i64_e32 vcc, s[12:13], v[53:54]
	s_and_saveexec_b64 s[0:1], vcc
	s_cbranch_execz .LBB138_72
; %bb.71:                               ;   in Loop: Header=BB138_53 Depth=1
	buffer_load_dword v15, off, s[36:39], 0 offset:48 ; 4-byte Folded Reload
	buffer_load_dword v16, off, s[36:39], 0 offset:52 ; 4-byte Folded Reload
	;; [unrolled: 1-line block ×4, first 2 shown]
	s_waitcnt vmcnt(3)
	v_add_co_u32_e32 v15, vcc, v15, v49
	s_waitcnt vmcnt(2)
	v_addc_co_u32_e32 v16, vcc, v16, v50, vcc
	s_waitcnt vmcnt(1)
	v_add_co_u32_e32 v51, vcc, v51, v49
	s_waitcnt vmcnt(0)
	v_addc_co_u32_e32 v52, vcc, v52, v50, vcc
	global_load_dwordx2 v[15:16], v[15:16], off
	s_nop 0
	global_load_dwordx2 v[51:52], v[51:52], off
.LBB138_72:                             ;   in Loop: Header=BB138_53 Depth=1
	s_or_b64 exec, exec, s[0:1]
	v_add_co_u32_e32 v53, vcc, 0xffffff08, v55
	v_addc_co_u32_e32 v54, vcc, -1, v56, vcc
	v_cmp_gt_i64_e32 vcc, s[12:13], v[53:54]
	v_mov_b32_e32 v53, 0
	v_mov_b32_e32 v54, 0
	s_and_saveexec_b64 s[0:1], vcc
	s_cbranch_execz .LBB138_74
; %bb.73:                               ;   in Loop: Header=BB138_53 Depth=1
	buffer_load_dword v17, off, s[36:39], 0 offset:16 ; 4-byte Folded Reload
	buffer_load_dword v18, off, s[36:39], 0 offset:20 ; 4-byte Folded Reload
	;; [unrolled: 1-line block ×4, first 2 shown]
	s_waitcnt vmcnt(3)
	v_add_co_u32_e32 v17, vcc, v17, v49
	s_waitcnt vmcnt(2)
	v_addc_co_u32_e32 v18, vcc, v18, v50, vcc
	s_waitcnt vmcnt(1)
	v_add_co_u32_e32 v53, vcc, v53, v49
	s_waitcnt vmcnt(0)
	v_addc_co_u32_e32 v54, vcc, v54, v50, vcc
	global_load_dwordx2 v[17:18], v[17:18], off
	s_nop 0
	global_load_dwordx2 v[53:54], v[53:54], off
.LBB138_74:                             ;   in Loop: Header=BB138_53 Depth=1
	s_or_b64 exec, exec, s[0:1]
	buffer_load_dword v59, off, s[36:39], 0 offset:144 ; 4-byte Folded Reload
	buffer_load_dword v60, off, s[36:39], 0 offset:148 ; 4-byte Folded Reload
	s_waitcnt vmcnt(8)
	v_mul_f64 v[3:4], v[57:58], v[3:4]
	ds_bpermute_b32 v57, v63, v27
	ds_bpermute_b32 v58, v63, v28
	s_waitcnt vmcnt(6)
	v_mul_f64 v[7:8], v[61:62], v[7:8]
	s_waitcnt vmcnt(2)
	v_mul_f64 v[0:1], v[0:1], v[13:14]
	s_mov_b64 s[0:1], 0
	s_waitcnt vmcnt(0)
	v_mul_f64 v[5:6], v[59:60], v[5:6]
	buffer_load_dword v59, off, s[36:39], 0 offset:172 ; 4-byte Folded Reload
	buffer_load_dword v60, off, s[36:39], 0 offset:176 ; 4-byte Folded Reload
	s_waitcnt vmcnt(0) lgkmcnt(0)
	v_fma_f64 v[3:4], v[3:4], v[57:58], v[59:60]
	ds_bpermute_b32 v57, v63, v27 offset:4
	ds_bpermute_b32 v58, v63, v28 offset:4
	s_waitcnt lgkmcnt(0)
	v_fma_f64 v[3:4], v[5:6], v[57:58], v[3:4]
	buffer_load_dword v57, off, s[36:39], 0 offset:160 ; 4-byte Folded Reload
	buffer_load_dword v58, off, s[36:39], 0 offset:164 ; 4-byte Folded Reload
	ds_bpermute_b32 v5, v63, v27 offset:8
	ds_bpermute_b32 v6, v63, v28 offset:8
	s_waitcnt lgkmcnt(0)
	v_fma_f64 v[3:4], v[7:8], v[5:6], v[3:4]
	buffer_load_dword v7, off, s[36:39], 0 offset:152 ; 4-byte Folded Reload
	buffer_load_dword v8, off, s[36:39], 0 offset:156 ; 4-byte Folded Reload
	ds_bpermute_b32 v5, v63, v27 offset:12
	ds_bpermute_b32 v6, v63, v28 offset:12
	s_waitcnt vmcnt(2)
	v_mul_f64 v[9:10], v[57:58], v[9:10]
	s_waitcnt vmcnt(0)
	v_mul_f64 v[7:8], v[7:8], v[11:12]
	s_waitcnt lgkmcnt(0)
	v_fma_f64 v[3:4], v[9:10], v[5:6], v[3:4]
	ds_bpermute_b32 v5, v63, v27 offset:16
	ds_bpermute_b32 v6, v63, v28 offset:16
	s_waitcnt lgkmcnt(0)
	v_fma_f64 v[3:4], v[7:8], v[5:6], v[3:4]
	ds_bpermute_b32 v5, v63, v27 offset:20
	ds_bpermute_b32 v6, v63, v28 offset:20
	v_mul_f64 v[7:8], v[51:52], v[15:16]
	s_waitcnt lgkmcnt(0)
	v_fma_f64 v[0:1], v[0:1], v[5:6], v[3:4]
	ds_bpermute_b32 v3, v63, v27 offset:24
	ds_bpermute_b32 v4, v63, v28 offset:24
	;; [unrolled: 1-line block ×4, first 2 shown]
	s_waitcnt lgkmcnt(2)
	v_fma_f64 v[0:1], v[7:8], v[3:4], v[0:1]
	v_mul_f64 v[3:4], v[53:54], v[17:18]
	s_waitcnt lgkmcnt(0)
	v_fma_f64 v[5:6], v[3:4], v[5:6], v[0:1]
.LBB138_75:                             ;   in Loop: Header=BB138_53 Depth=1
	s_and_b64 vcc, exec, s[0:1]
	s_cbranch_vccz .LBB138_81
; %bb.76:                               ;   in Loop: Header=BB138_53 Depth=1
	s_load_dword s0, s[2:3], 0x0
	s_waitcnt lgkmcnt(0)
	s_cmp_lt_u32 s6, s0
	s_cselect_b32 s0, 12, 18
	s_add_u32 s0, s2, s0
	s_addc_u32 s1, s3, 0
	global_load_ushort v0, v2, s[0:1]
	buffer_load_dword v1, off, s[36:39], 0 offset:24 ; 4-byte Folded Reload
	buffer_load_dword v3, off, s[36:39], 0 offset:28 ; 4-byte Folded Reload
	s_waitcnt vmcnt(0)
	v_mad_u32_u24 v0, v3, v0, v1
	v_and_b32_e32 v0, 63, v0
	v_mov_b32_e32 v3, 0
	v_mov_b32_e32 v4, 0
	v_cmp_gt_u32_e32 vcc, 8, v0
	s_and_saveexec_b64 s[0:1], vcc
	s_cbranch_execz .LBB138_80
; %bb.77:                               ;   in Loop: Header=BB138_53 Depth=1
	v_add_co_u32_e32 v0, vcc, v55, v0
	v_addc_co_u32_e32 v1, vcc, 0, v56, vcc
	v_add_co_u32_e32 v0, vcc, 0xffffff01, v0
	v_addc_co_u32_e32 v1, vcc, -1, v1, vcc
	v_cmp_gt_i64_e32 vcc, s[12:13], v[0:1]
	v_mov_b32_e32 v3, 0
	v_mov_b32_e32 v4, 0
	s_and_saveexec_b64 s[16:17], vcc
	s_cbranch_execz .LBB138_79
; %bb.78:                               ;   in Loop: Header=BB138_53 Depth=1
	v_lshlrev_b64 v[0:1], 3, v[0:1]
	v_mov_b32_e32 v3, s11
	v_add_co_u32_e32 v0, vcc, s10, v0
	v_addc_co_u32_e32 v1, vcc, v3, v1, vcc
	global_load_dwordx2 v[3:4], v[0:1], off
.LBB138_79:                             ;   in Loop: Header=BB138_53 Depth=1
	s_or_b64 exec, exec, s[16:17]
.LBB138_80:                             ;   in Loop: Header=BB138_53 Depth=1
	s_or_b64 exec, exec, s[0:1]
	buffer_load_dword v0, off, s[36:39], 0  ; 4-byte Folded Reload
	buffer_load_dword v1, off, s[36:39], 0 offset:4 ; 4-byte Folded Reload
	buffer_load_dword v5, off, s[36:39], 0 offset:8 ; 4-byte Folded Reload
	;; [unrolled: 1-line block ×3, first 2 shown]
	v_add_co_u32_e64 v9, s[0:1], v21, v49
	s_waitcnt vmcnt(3)
	v_add_co_u32_e32 v0, vcc, v0, v49
	s_waitcnt vmcnt(2)
	v_addc_co_u32_e32 v1, vcc, v1, v50, vcc
	s_waitcnt vmcnt(1)
	v_add_co_u32_e32 v5, vcc, v5, v49
	s_waitcnt vmcnt(0)
	v_addc_co_u32_e32 v6, vcc, v6, v50, vcc
	global_load_dwordx2 v[0:1], v[0:1], off
	v_add_co_u32_e32 v7, vcc, v19, v49
	global_load_dwordx2 v[5:6], v[5:6], off
	v_addc_co_u32_e32 v8, vcc, v20, v50, vcc
	v_addc_co_u32_e64 v10, vcc, v22, v50, s[0:1]
	global_load_dwordx2 v[7:8], v[7:8], off
	s_nop 0
	global_load_dwordx2 v[9:10], v[9:10], off
	v_add_co_u32_e32 v11, vcc, v23, v49
	v_add_co_u32_e64 v13, s[0:1], v25, v49
	v_addc_co_u32_e32 v12, vcc, v24, v50, vcc
	v_addc_co_u32_e64 v14, vcc, v26, v50, s[0:1]
	global_load_dwordx2 v[11:12], v[11:12], off
	s_nop 0
	global_load_dwordx2 v[13:14], v[13:14], off
	v_add_co_u32_e32 v15, vcc, v29, v49
	v_addc_co_u32_e32 v16, vcc, v30, v50, vcc
	s_waitcnt vmcnt(4)
	v_mul_f64 v[0:1], v[0:1], v[5:6]
	ds_bpermute_b32 v5, v63, v3
	ds_bpermute_b32 v6, v63, v4
	s_waitcnt vmcnt(2)
	v_mul_f64 v[7:8], v[7:8], v[9:10]
	s_waitcnt lgkmcnt(0)
	v_fma_f64 v[0:1], v[0:1], v[5:6], v[59:60]
	v_add_co_u32_e64 v5, s[0:1], v31, v49
	v_addc_co_u32_e64 v6, vcc, v32, v50, s[0:1]
	global_load_dwordx2 v[15:16], v[15:16], off
	s_nop 0
	global_load_dwordx2 v[5:6], v[5:6], off
	v_add_co_u32_e32 v17, vcc, v33, v49
	v_add_co_u32_e64 v9, s[0:1], v35, v49
	v_addc_co_u32_e32 v18, vcc, v34, v50, vcc
	v_addc_co_u32_e64 v10, vcc, v36, v50, s[0:1]
	global_load_dwordx2 v[17:18], v[17:18], off
	s_nop 0
	global_load_dwordx2 v[9:10], v[9:10], off
	s_waitcnt vmcnt(4)
	v_mul_f64 v[11:12], v[11:12], v[13:14]
	ds_bpermute_b32 v13, v63, v3 offset:4
	ds_bpermute_b32 v14, v63, v4 offset:4
	s_waitcnt lgkmcnt(0)
	v_fma_f64 v[0:1], v[7:8], v[13:14], v[0:1]
	ds_bpermute_b32 v7, v63, v3 offset:8
	ds_bpermute_b32 v8, v63, v4 offset:8
	v_add_co_u32_e32 v13, vcc, v37, v49
	v_addc_co_u32_e32 v14, vcc, v38, v50, vcc
	s_waitcnt lgkmcnt(0)
	v_fma_f64 v[0:1], v[11:12], v[7:8], v[0:1]
	v_add_co_u32_e64 v7, s[0:1], v39, v49
	v_addc_co_u32_e64 v8, vcc, v40, v50, s[0:1]
	global_load_dwordx2 v[13:14], v[13:14], off
	s_nop 0
	global_load_dwordx2 v[7:8], v[7:8], off
	ds_bpermute_b32 v11, v63, v3 offset:12
	ds_bpermute_b32 v12, v63, v4 offset:12
	s_waitcnt vmcnt(4)
	v_mul_f64 v[5:6], v[15:16], v[5:6]
	v_add_co_u32_e32 v15, vcc, v41, v49
	v_addc_co_u32_e32 v16, vcc, v42, v50, vcc
	s_waitcnt lgkmcnt(0)
	v_fma_f64 v[0:1], v[5:6], v[11:12], v[0:1]
	v_add_co_u32_e64 v5, s[0:1], v43, v49
	v_addc_co_u32_e64 v6, vcc, v44, v50, s[0:1]
	global_load_dwordx2 v[11:12], v[15:16], off
	s_nop 0
	global_load_dwordx2 v[5:6], v[5:6], off
	v_add_co_u32_e32 v15, vcc, v45, v49
	s_waitcnt vmcnt(4)
	v_mul_f64 v[9:10], v[17:18], v[9:10]
	v_add_co_u32_e64 v17, s[0:1], v47, v49
	v_addc_co_u32_e32 v16, vcc, v46, v50, vcc
	v_addc_co_u32_e64 v18, vcc, v48, v50, s[0:1]
	global_load_dwordx2 v[15:16], v[15:16], off
	s_nop 0
	global_load_dwordx2 v[17:18], v[17:18], off
	s_waitcnt vmcnt(4)
	v_mul_f64 v[7:8], v[13:14], v[7:8]
	ds_bpermute_b32 v13, v63, v3 offset:16
	ds_bpermute_b32 v14, v63, v4 offset:16
	s_waitcnt lgkmcnt(0)
	v_fma_f64 v[0:1], v[9:10], v[13:14], v[0:1]
	ds_bpermute_b32 v9, v63, v3 offset:20
	ds_bpermute_b32 v10, v63, v4 offset:20
	s_waitcnt lgkmcnt(0)
	v_fma_f64 v[0:1], v[7:8], v[9:10], v[0:1]
	ds_bpermute_b32 v7, v63, v3 offset:24
	ds_bpermute_b32 v8, v63, v4 offset:24
	;; [unrolled: 1-line block ×4, first 2 shown]
	s_waitcnt vmcnt(2)
	v_mul_f64 v[5:6], v[11:12], v[5:6]
	s_waitcnt lgkmcnt(2)
	v_fma_f64 v[0:1], v[5:6], v[7:8], v[0:1]
	s_waitcnt vmcnt(0)
	v_mul_f64 v[5:6], v[15:16], v[17:18]
	s_waitcnt lgkmcnt(0)
	v_fma_f64 v[5:6], v[5:6], v[3:4], v[0:1]
.LBB138_81:                             ;   in Loop: Header=BB138_53 Depth=1
	buffer_load_dword v0, off, s[36:39], 0  ; 4-byte Folded Reload
	buffer_load_dword v1, off, s[36:39], 0 offset:4 ; 4-byte Folded Reload
	s_add_u32 s20, s20, s7
	s_addc_u32 s21, s21, 0
	s_add_u32 s22, s22, s7
	s_addc_u32 s23, s23, 0
	s_waitcnt vmcnt(1)
	v_add_co_u32_e32 v0, vcc, s8, v0
	buffer_store_dword v0, off, s[36:39], 0 ; 4-byte Folded Spill
	v_mov_b32_e32 v0, s9
	s_waitcnt vmcnt(1)
	v_addc_co_u32_e32 v1, vcc, v1, v0, vcc
	buffer_store_dword v1, off, s[36:39], 0 offset:4 ; 4-byte Folded Spill
	buffer_load_dword v1, off, s[36:39], 0 offset:8 ; 4-byte Folded Reload
	s_waitcnt vmcnt(0)
	v_add_co_u32_e32 v1, vcc, s8, v1
	buffer_store_dword v1, off, s[36:39], 0 offset:8 ; 4-byte Folded Spill
	buffer_load_dword v1, off, s[36:39], 0 offset:12 ; 4-byte Folded Reload
	s_waitcnt vmcnt(0)
	v_addc_co_u32_e32 v1, vcc, v1, v0, vcc
	buffer_store_dword v1, off, s[36:39], 0 offset:12 ; 4-byte Folded Spill
	buffer_load_dword v1, off, s[36:39], 0 offset:16 ; 4-byte Folded Reload
	v_add_co_u32_e32 v19, vcc, s8, v19
	v_addc_co_u32_e32 v20, vcc, v20, v0, vcc
	v_add_co_u32_e32 v23, vcc, s8, v23
	v_addc_co_u32_e32 v24, vcc, v24, v0, vcc
	;; [unrolled: 2-line block ×14, first 2 shown]
	s_waitcnt vmcnt(0)
	v_add_co_u32_e32 v1, vcc, s8, v1
	buffer_store_dword v1, off, s[36:39], 0 offset:16 ; 4-byte Folded Spill
	buffer_load_dword v1, off, s[36:39], 0 offset:20 ; 4-byte Folded Reload
	s_waitcnt vmcnt(0)
	v_addc_co_u32_e32 v1, vcc, v1, v0, vcc
	buffer_store_dword v1, off, s[36:39], 0 offset:20 ; 4-byte Folded Spill
	buffer_load_dword v1, off, s[36:39], 0 offset:32 ; 4-byte Folded Reload
	s_waitcnt vmcnt(0)
	v_add_co_u32_e32 v1, vcc, s8, v1
	buffer_store_dword v1, off, s[36:39], 0 offset:32 ; 4-byte Folded Spill
	buffer_load_dword v1, off, s[36:39], 0 offset:40 ; 4-byte Folded Reload
	s_waitcnt vmcnt(0)
	v_addc_co_u32_e32 v1, vcc, v1, v0, vcc
	buffer_store_dword v1, off, s[36:39], 0 offset:40 ; 4-byte Folded Spill
	buffer_load_dword v1, off, s[36:39], 0 offset:48 ; 4-byte Folded Reload
	;; [unrolled: 8-line block ×13, first 2 shown]
	s_waitcnt vmcnt(0)
	v_add_co_u32_e32 v1, vcc, s8, v1
	buffer_store_dword v1, off, s[36:39], 0 offset:136 ; 4-byte Folded Spill
	buffer_load_dword v1, off, s[36:39], 0 offset:140 ; 4-byte Folded Reload
	s_waitcnt vmcnt(0)
	v_addc_co_u32_e32 v1, vcc, v1, v0, vcc
	buffer_store_dword v1, off, s[36:39], 0 offset:140 ; 4-byte Folded Spill
	v_mov_b32_e32 v0, s12
	v_mov_b32_e32 v1, s13
	v_cmp_ge_i64_e32 vcc, s[20:21], v[0:1]
	s_cbranch_vccnz .LBB138_83
; %bb.82:                               ;   in Loop: Header=BB138_53 Depth=1
	v_mov_b32_e32 v60, v6
	v_mov_b32_e32 v59, v5
	s_branch .LBB138_53
.LBB138_83:
	buffer_load_dword v0, off, s[36:39], 0 offset:24 ; 4-byte Folded Reload
	buffer_load_dword v4, off, s[36:39], 0 offset:28 ; 4-byte Folded Reload
	s_movk_i32 s0, 0x800
	s_waitcnt vmcnt(0)
	v_mad_u32_u24 v2, v4, 33, v0
	v_lshl_add_u32 v3, v2, 3, 0
	ds_write_b64 v3, v[5:6]
	v_mov_b32_e32 v0, 0
	v_sub_u32_e32 v6, v2, v4
	v_mov_b32_e32 v1, v0
	v_cmp_gt_u32_e32 vcc, s0, v6
	ds_write_b64 v3, v[0:1] offset:8448
	s_waitcnt lgkmcnt(0)
	s_barrier
	s_and_saveexec_b64 s[0:1], vcc
	s_cbranch_execz .LBB138_93
; %bb.84:
	s_load_dwordx2 s[4:5], s[4:5], 0x30
	v_and_b32_e32 v0, 63, v6
	v_lshrrev_b32_e32 v4, 6, v6
	v_cmp_gt_u32_e32 vcc, 32, v0
	v_mul_u32_u24_e32 v5, 33, v0
                                        ; implicit-def: $vgpr0_vgpr1
	s_and_saveexec_b64 s[0:1], vcc
; %bb.85:
	v_lshlrev_b32_e32 v0, 3, v4
	v_lshlrev_b32_e32 v1, 3, v5
	v_add3_u32 v0, 0, v0, v1
	ds_read_b64 v[0:1], v0
; %bb.86:
	s_or_b64 exec, exec, s[0:1]
	v_mbcnt_lo_u32_b32 v2, -1, 0
	v_mbcnt_hi_u32_b32 v11, -1, v2
	v_and_b32_e32 v2, 64, v11
	v_add_u32_e32 v12, 64, v2
	v_xor_b32_e32 v2, 16, v11
	v_cmp_lt_i32_e64 s[0:1], v2, v12
	v_cndmask_b32_e64 v2, v11, v2, s[0:1]
	v_lshlrev_b32_e32 v7, 2, v2
	s_waitcnt lgkmcnt(0)
	ds_bpermute_b32 v2, v7, v0
	ds_bpermute_b32 v3, v7, v1
	s_mov_b32 s7, 0
	s_lshl_b64 s[6:7], s[6:7], 5
	s_cmp_eq_u64 s[4:5], 0
	s_cselect_b64 s[8:9], -1, 0
	s_waitcnt lgkmcnt(0)
	v_add_f64 v[0:1], v[0:1], v[2:3]
	v_xor_b32_e32 v2, 8, v11
	v_cmp_lt_i32_e64 s[0:1], v2, v12
	v_cndmask_b32_e64 v2, v11, v2, s[0:1]
	v_lshlrev_b32_e32 v8, 2, v2
	ds_bpermute_b32 v2, v8, v0
	ds_bpermute_b32 v3, v8, v1
	s_waitcnt lgkmcnt(0)
	v_add_f64 v[0:1], v[0:1], v[2:3]
	v_xor_b32_e32 v2, 4, v11
	v_cmp_lt_i32_e64 s[0:1], v2, v12
	v_cndmask_b32_e64 v2, v11, v2, s[0:1]
	v_lshlrev_b32_e32 v9, 2, v2
	ds_bpermute_b32 v2, v9, v0
	ds_bpermute_b32 v3, v9, v1
	;; [unrolled: 8-line block ×3, first 2 shown]
	s_waitcnt lgkmcnt(0)
	v_add_f64 v[0:1], v[0:1], v[2:3]
	v_xor_b32_e32 v2, 1, v11
	v_cmp_lt_i32_e64 s[0:1], v2, v12
	buffer_load_dword v12, off, s[36:39], 0 offset:24 ; 4-byte Folded Reload
	v_cndmask_b32_e64 v2, v11, v2, s[0:1]
	v_lshlrev_b32_e32 v11, 2, v2
	ds_bpermute_b32 v2, v11, v0
	ds_bpermute_b32 v3, v11, v1
	s_waitcnt lgkmcnt(0)
	v_add_f64 v[0:1], v[0:1], v[2:3]
	v_or_b32_e32 v2, s6, v4
	v_mov_b32_e32 v3, s7
	v_cmp_le_i64_e64 s[2:3], s[14:15], v[2:3]
	s_waitcnt vmcnt(0)
	v_cmp_ne_u32_e64 s[0:1], 0, v12
	s_or_b64 s[2:3], s[0:1], s[2:3]
	s_nor_b64 s[2:3], s[8:9], s[2:3]
	s_and_saveexec_b64 s[10:11], s[2:3]
	s_cbranch_execz .LBB138_88
; %bb.87:
	v_lshlrev_b64 v[2:3], 3, v[2:3]
	v_mov_b32_e32 v12, s5
	v_add_co_u32_e64 v2, s[2:3], s4, v2
	v_addc_co_u32_e64 v3, s[2:3], v12, v3, s[2:3]
	global_store_dwordx2 v[2:3], v[0:1], off
.LBB138_88:
	s_or_b64 exec, exec, s[10:11]
	s_movk_i32 s2, 0x400
	v_cmp_gt_u32_e64 s[2:3], s2, v6
	s_and_b64 exec, exec, s[2:3]
	s_cbranch_execz .LBB138_93
; %bb.89:
	s_and_saveexec_b64 s[2:3], vcc
; %bb.90:
	v_lshlrev_b32_e32 v0, 3, v4
	v_lshlrev_b32_e32 v1, 3, v5
	v_add3_u32 v0, 0, v0, v1
	ds_read_b64 v[0:1], v0 offset:128
; %bb.91:
	s_or_b64 exec, exec, s[2:3]
	s_waitcnt lgkmcnt(0)
	ds_bpermute_b32 v2, v7, v0
	ds_bpermute_b32 v3, v7, v1
	v_mov_b32_e32 v6, s7
	s_waitcnt lgkmcnt(0)
	v_add_f64 v[0:1], v[0:1], v[2:3]
	ds_bpermute_b32 v2, v8, v0
	ds_bpermute_b32 v3, v8, v1
	s_waitcnt lgkmcnt(0)
	v_add_f64 v[0:1], v[0:1], v[2:3]
	ds_bpermute_b32 v2, v9, v0
	ds_bpermute_b32 v3, v9, v1
	;; [unrolled: 4-line block ×3, first 2 shown]
	s_waitcnt lgkmcnt(0)
	v_add_f64 v[0:1], v[0:1], v[2:3]
	v_add_u32_e32 v2, 16, v4
	v_or_b32_e32 v5, s6, v2
	v_cmp_le_i64_e32 vcc, s[14:15], v[5:6]
	s_or_b64 s[0:1], s[0:1], vcc
	s_nor_b64 s[0:1], s[8:9], s[0:1]
	ds_bpermute_b32 v2, v11, v0
	ds_bpermute_b32 v3, v11, v1
	s_and_saveexec_b64 s[2:3], s[0:1]
	s_xor_b64 s[2:3], exec, s[2:3]
	s_cbranch_execz .LBB138_93
; %bb.92:
	s_waitcnt lgkmcnt(0)
	v_add_f64 v[0:1], v[0:1], v[2:3]
	v_mov_b32_e32 v3, s7
	v_add_co_u32_e32 v2, vcc, s6, v4
	v_addc_co_u32_e32 v3, vcc, 0, v3, vcc
	v_lshlrev_b64 v[2:3], 3, v[2:3]
	v_mov_b32_e32 v4, s5
	v_add_co_u32_e32 v2, vcc, s4, v2
	v_addc_co_u32_e32 v3, vcc, v4, v3, vcc
	global_store_dwordx2 v[2:3], v[0:1], off offset:128
.LBB138_93:
	s_endpgm
	.section	.rodata,"a",@progbits
	.p2align	6, 0x0
	.amdhsa_kernel _ZN2at6native12_GLOBAL__N_135GammaBetaBackwardCUDAKernelTemplateIddLj32ELj32ELj256ELb0ELb0ELb1EEEvllPKT_S5_PKT0_S8_PS3_S9_
		.amdhsa_group_segment_fixed_size 0
		.amdhsa_private_segment_fixed_size 184
		.amdhsa_kernarg_size 320
		.amdhsa_user_sgpr_count 6
		.amdhsa_user_sgpr_private_segment_buffer 1
		.amdhsa_user_sgpr_dispatch_ptr 0
		.amdhsa_user_sgpr_queue_ptr 0
		.amdhsa_user_sgpr_kernarg_segment_ptr 1
		.amdhsa_user_sgpr_dispatch_id 0
		.amdhsa_user_sgpr_flat_scratch_init 0
		.amdhsa_user_sgpr_private_segment_size 0
		.amdhsa_uses_dynamic_stack 0
		.amdhsa_system_sgpr_private_segment_wavefront_offset 1
		.amdhsa_system_sgpr_workgroup_id_x 1
		.amdhsa_system_sgpr_workgroup_id_y 1
		.amdhsa_system_sgpr_workgroup_id_z 0
		.amdhsa_system_sgpr_workgroup_info 0
		.amdhsa_system_vgpr_workitem_id 1
		.amdhsa_next_free_vgpr 64
		.amdhsa_next_free_sgpr 40
		.amdhsa_reserve_vcc 1
		.amdhsa_reserve_flat_scratch 0
		.amdhsa_float_round_mode_32 0
		.amdhsa_float_round_mode_16_64 0
		.amdhsa_float_denorm_mode_32 3
		.amdhsa_float_denorm_mode_16_64 3
		.amdhsa_dx10_clamp 1
		.amdhsa_ieee_mode 1
		.amdhsa_fp16_overflow 0
		.amdhsa_exception_fp_ieee_invalid_op 0
		.amdhsa_exception_fp_denorm_src 0
		.amdhsa_exception_fp_ieee_div_zero 0
		.amdhsa_exception_fp_ieee_overflow 0
		.amdhsa_exception_fp_ieee_underflow 0
		.amdhsa_exception_fp_ieee_inexact 0
		.amdhsa_exception_int_div_zero 0
	.end_amdhsa_kernel
	.section	.text._ZN2at6native12_GLOBAL__N_135GammaBetaBackwardCUDAKernelTemplateIddLj32ELj32ELj256ELb0ELb0ELb1EEEvllPKT_S5_PKT0_S8_PS3_S9_,"axG",@progbits,_ZN2at6native12_GLOBAL__N_135GammaBetaBackwardCUDAKernelTemplateIddLj32ELj32ELj256ELb0ELb0ELb1EEEvllPKT_S5_PKT0_S8_PS3_S9_,comdat
.Lfunc_end138:
	.size	_ZN2at6native12_GLOBAL__N_135GammaBetaBackwardCUDAKernelTemplateIddLj32ELj32ELj256ELb0ELb0ELb1EEEvllPKT_S5_PKT0_S8_PS3_S9_, .Lfunc_end138-_ZN2at6native12_GLOBAL__N_135GammaBetaBackwardCUDAKernelTemplateIddLj32ELj32ELj256ELb0ELb0ELb1EEEvllPKT_S5_PKT0_S8_PS3_S9_
                                        ; -- End function
	.set _ZN2at6native12_GLOBAL__N_135GammaBetaBackwardCUDAKernelTemplateIddLj32ELj32ELj256ELb0ELb0ELb1EEEvllPKT_S5_PKT0_S8_PS3_S9_.num_vgpr, 64
	.set _ZN2at6native12_GLOBAL__N_135GammaBetaBackwardCUDAKernelTemplateIddLj32ELj32ELj256ELb0ELb0ELb1EEEvllPKT_S5_PKT0_S8_PS3_S9_.num_agpr, 0
	.set _ZN2at6native12_GLOBAL__N_135GammaBetaBackwardCUDAKernelTemplateIddLj32ELj32ELj256ELb0ELb0ELb1EEEvllPKT_S5_PKT0_S8_PS3_S9_.numbered_sgpr, 40
	.set _ZN2at6native12_GLOBAL__N_135GammaBetaBackwardCUDAKernelTemplateIddLj32ELj32ELj256ELb0ELb0ELb1EEEvllPKT_S5_PKT0_S8_PS3_S9_.num_named_barrier, 0
	.set _ZN2at6native12_GLOBAL__N_135GammaBetaBackwardCUDAKernelTemplateIddLj32ELj32ELj256ELb0ELb0ELb1EEEvllPKT_S5_PKT0_S8_PS3_S9_.private_seg_size, 184
	.set _ZN2at6native12_GLOBAL__N_135GammaBetaBackwardCUDAKernelTemplateIddLj32ELj32ELj256ELb0ELb0ELb1EEEvllPKT_S5_PKT0_S8_PS3_S9_.uses_vcc, 1
	.set _ZN2at6native12_GLOBAL__N_135GammaBetaBackwardCUDAKernelTemplateIddLj32ELj32ELj256ELb0ELb0ELb1EEEvllPKT_S5_PKT0_S8_PS3_S9_.uses_flat_scratch, 0
	.set _ZN2at6native12_GLOBAL__N_135GammaBetaBackwardCUDAKernelTemplateIddLj32ELj32ELj256ELb0ELb0ELb1EEEvllPKT_S5_PKT0_S8_PS3_S9_.has_dyn_sized_stack, 0
	.set _ZN2at6native12_GLOBAL__N_135GammaBetaBackwardCUDAKernelTemplateIddLj32ELj32ELj256ELb0ELb0ELb1EEEvllPKT_S5_PKT0_S8_PS3_S9_.has_recursion, 0
	.set _ZN2at6native12_GLOBAL__N_135GammaBetaBackwardCUDAKernelTemplateIddLj32ELj32ELj256ELb0ELb0ELb1EEEvllPKT_S5_PKT0_S8_PS3_S9_.has_indirect_call, 0
	.section	.AMDGPU.csdata,"",@progbits
; Kernel info:
; codeLenInByte = 9660
; TotalNumSgprs: 44
; NumVgprs: 64
; ScratchSize: 184
; MemoryBound: 0
; FloatMode: 240
; IeeeMode: 1
; LDSByteSize: 0 bytes/workgroup (compile time only)
; SGPRBlocks: 5
; VGPRBlocks: 15
; NumSGPRsForWavesPerEU: 44
; NumVGPRsForWavesPerEU: 64
; Occupancy: 4
; WaveLimiterHint : 0
; COMPUTE_PGM_RSRC2:SCRATCH_EN: 1
; COMPUTE_PGM_RSRC2:USER_SGPR: 6
; COMPUTE_PGM_RSRC2:TRAP_HANDLER: 0
; COMPUTE_PGM_RSRC2:TGID_X_EN: 1
; COMPUTE_PGM_RSRC2:TGID_Y_EN: 1
; COMPUTE_PGM_RSRC2:TGID_Z_EN: 0
; COMPUTE_PGM_RSRC2:TIDIG_COMP_CNT: 1
	.section	.text._ZN2at6native12_GLOBAL__N_118cuComputeGradInputIffLb1EEEvPKT_S5_llPKT0_S8_S5_PS3_,"axG",@progbits,_ZN2at6native12_GLOBAL__N_118cuComputeGradInputIffLb1EEEvPKT_S5_llPKT0_S8_S5_PS3_,comdat
	.globl	_ZN2at6native12_GLOBAL__N_118cuComputeGradInputIffLb1EEEvPKT_S5_llPKT0_S8_S5_PS3_ ; -- Begin function _ZN2at6native12_GLOBAL__N_118cuComputeGradInputIffLb1EEEvPKT_S5_llPKT0_S8_S5_PS3_
	.p2align	8
	.type	_ZN2at6native12_GLOBAL__N_118cuComputeGradInputIffLb1EEEvPKT_S5_llPKT0_S8_S5_PS3_,@function
_ZN2at6native12_GLOBAL__N_118cuComputeGradInputIffLb1EEEvPKT_S5_llPKT0_S8_S5_PS3_: ; @_ZN2at6native12_GLOBAL__N_118cuComputeGradInputIffLb1EEEvPKT_S5_llPKT0_S8_S5_PS3_
; %bb.0:
	s_load_dwordx4 s[16:19], s[4:5], 0x10
	s_mov_b32 s14, s7
	s_ashr_i32 s15, s7, 31
	v_mov_b32_e32 v2, s14
	v_mov_b32_e32 v3, s15
	s_waitcnt lgkmcnt(0)
	v_cmp_le_i64_e32 vcc, s[16:17], v[2:3]
	s_cbranch_vccnz .LBB139_49
; %bb.1:
	s_load_dword s0, s[4:5], 0x4c
	s_load_dwordx4 s[20:23], s[4:5], 0x30
	s_load_dword s33, s[4:5], 0x44
	s_load_dwordx4 s[24:27], s[4:5], 0x0
	s_load_dwordx2 s[34:35], s[4:5], 0x28
	v_cmp_gt_i64_e64 s[4:5], s[18:19], 0
	s_waitcnt lgkmcnt(0)
	s_lshr_b32 s38, s0, 16
	s_and_b32 s39, s0, 0xffff
	s_cmp_lg_u64 s[20:21], 0
	s_cselect_b64 s[8:9], -1, 0
	s_cmp_gt_u32 s39, 1
	s_cselect_b64 s[28:29], -1, 0
	s_cmp_gt_u32 s38, 1
	s_cselect_b64 s[30:31], -1, 0
	s_xor_b32 s1, s18, s19
	s_flbit_i32 s0, s19
	s_ashr_i32 s1, s1, 31
	s_add_i32 s0, s0, -1
	s_add_i32 s1, s1, 32
	s_min_u32 s2, s0, s1
	s_lshl_b64 s[0:1], s[18:19], s2
	s_min_u32 s0, s0, 1
	s_or_b32 s0, s1, s0
	v_cvt_f32_i32_e32 v2, s0
	s_sub_i32 s0, 32, s2
	v_cndmask_b32_e64 v5, 0, 1, s[4:5]
	v_cmp_ne_u32_e64 s[4:5], 1, v5
	v_ldexp_f32 v10, v2, s0
	v_div_scale_f32 v2, s[0:1], v10, v10, 1.0
	v_div_scale_f32 v4, vcc, 1.0, v10, 1.0
	v_mbcnt_lo_u32_b32 v8, -1, 0
	v_mbcnt_hi_u32_b32 v11, -1, v8
	s_mul_i32 s40, s38, s39
	v_mov_b32_e32 v3, 0
	s_ashr_i32 s41, s40, 31
	v_lshlrev_b32_e32 v6, 3, v0
	v_cmp_eq_u32_e64 s[0:1], 0, v1
	v_cmp_ne_u32_e64 s[2:3], 0, v1
	v_add_u32_e32 v14, 0, v6
	v_rcp_f32_e32 v7, v2
	v_fma_f32 v5, -v2, v7, 1.0
	v_fmac_f32_e32 v7, v5, v7
	v_mul_f32_e32 v5, v4, v7
	v_fma_f32 v8, -v2, v5, v4
	v_fmac_f32_e32 v5, v8, v7
	v_fma_f32 v2, -v2, v5, v4
	v_div_fmas_f32 v7, v2, v7, v5
	v_mad_u32_u24 v2, v1, s39, v0
	v_lshlrev_b32_e32 v4, 3, v2
	v_add_u32_e32 v5, s40, v2
	v_cndmask_b32_e64 v8, 0, 1, s[8:9]
	v_cmp_gt_i64_e64 s[6:7], s[18:19], v[2:3]
	v_ashrrev_i32_e32 v9, 31, v5
	v_cmp_ne_u32_e64 s[8:9], 1, v8
	v_add_u32_e32 v12, 0, v4
	v_mov_b32_e32 v8, s41
	v_subrev_co_u32_e32 v4, vcc, s40, v5
	v_subb_co_u32_e32 v5, vcc, v9, v8, vcc
	v_div_fixup_f32 v13, v7, v10, 1.0
	s_branch .LBB139_4
.LBB139_2:                              ;   in Loop: Header=BB139_4 Depth=1
	s_or_b64 exec, exec, s[12:13]
.LBB139_3:                              ;   in Loop: Header=BB139_4 Depth=1
	s_add_i32 s14, s33, s14
	s_ashr_i32 s15, s14, 31
	v_mov_b32_e32 v6, s14
	v_mov_b32_e32 v7, s15
	v_cmp_le_i64_e32 vcc, s[16:17], v[6:7]
	s_waitcnt vmcnt(0)
	s_barrier
	s_cbranch_vccnz .LBB139_49
.LBB139_4:                              ; =>This Loop Header: Depth=1
                                        ;     Child Loop BB139_8 Depth 2
                                        ;     Child Loop BB139_20 Depth 2
	;; [unrolled: 1-line block ×6, first 2 shown]
	s_mul_i32 s10, s14, s19
	s_mul_hi_u32 s11, s14, s18
	s_add_i32 s10, s11, s10
	s_mul_i32 s11, s15, s18
	s_add_i32 s11, s10, s11
	s_lshl_b64 s[12:13], s[14:15], 2
	s_add_u32 s12, s34, s12
	s_mul_i32 s10, s14, s18
	s_addc_u32 s13, s35, s13
	s_load_dword s15, s[12:13], 0x0
	s_lshl_b64 s[36:37], s[10:11], 2
	s_add_u32 s42, s26, s36
	s_addc_u32 s43, s27, s37
	s_add_u32 s44, s24, s36
	s_addc_u32 s45, s25, s37
	s_and_b64 vcc, exec, s[8:9]
	s_cbranch_vccnz .LBB139_14
; %bb.5:                                ;   in Loop: Header=BB139_4 Depth=1
	s_and_b64 vcc, exec, s[4:5]
	s_cbranch_vccnz .LBB139_15
; %bb.6:                                ;   in Loop: Header=BB139_4 Depth=1
	s_mov_b32 s46, 0
	v_mov_b32_e32 v15, 0
	s_branch .LBB139_8
.LBB139_7:                              ;   in Loop: Header=BB139_8 Depth=2
	s_or_b64 exec, exec, s[10:11]
	s_add_i32 s46, s46, s40
	s_waitcnt vmcnt(0)
	v_mul_f32_e32 v6, v8, v16
	s_ashr_i32 s10, s46, 31
	v_mul_f32_e32 v8, v9, v6
	v_mov_b32_e32 v6, s46
	v_mov_b32_e32 v7, s10
	v_cmp_le_i64_e32 vcc, s[18:19], v[6:7]
	s_waitcnt lgkmcnt(0)
	v_fmac_f32_e32 v15, s15, v8
	s_cbranch_vccnz .LBB139_16
.LBB139_8:                              ;   Parent Loop BB139_4 Depth=1
                                        ; =>  This Inner Loop Header: Depth=2
	v_add_u32_e32 v6, s46, v2
	v_ashrrev_i32_e32 v7, 31, v6
	v_cmp_gt_i64_e32 vcc, s[18:19], v[6:7]
	v_lshlrev_b64 v[6:7], 2, v[6:7]
	v_mov_b32_e32 v8, 0
	s_and_saveexec_b64 s[12:13], vcc
	s_cbranch_execz .LBB139_10
; %bb.9:                                ;   in Loop: Header=BB139_8 Depth=2
	v_mov_b32_e32 v9, s21
	v_add_co_u32_e64 v8, s[10:11], s20, v6
	v_addc_co_u32_e64 v9, s[10:11], v9, v7, s[10:11]
	global_load_dword v8, v[8:9], off
.LBB139_10:                             ;   in Loop: Header=BB139_8 Depth=2
	s_or_b64 exec, exec, s[12:13]
	v_mov_b32_e32 v16, 0
	v_mov_b32_e32 v9, 0
	s_and_saveexec_b64 s[12:13], vcc
	s_cbranch_execz .LBB139_12
; %bb.11:                               ;   in Loop: Header=BB139_8 Depth=2
	v_mov_b32_e32 v9, s43
	v_add_co_u32_e64 v17, s[10:11], s42, v6
	v_addc_co_u32_e64 v18, s[10:11], v9, v7, s[10:11]
	global_load_dword v9, v[17:18], off
.LBB139_12:                             ;   in Loop: Header=BB139_8 Depth=2
	s_or_b64 exec, exec, s[12:13]
	s_and_saveexec_b64 s[10:11], vcc
	s_cbranch_execz .LBB139_7
; %bb.13:                               ;   in Loop: Header=BB139_8 Depth=2
	v_mov_b32_e32 v16, s45
	v_add_co_u32_e32 v6, vcc, s44, v6
	v_addc_co_u32_e32 v7, vcc, v16, v7, vcc
	global_load_dword v16, v[6:7], off
	s_branch .LBB139_7
.LBB139_14:                             ;   in Loop: Header=BB139_4 Depth=1
                                        ; implicit-def: $vgpr15
	s_branch .LBB139_17
.LBB139_15:                             ;   in Loop: Header=BB139_4 Depth=1
	v_mov_b32_e32 v15, 0
.LBB139_16:                             ;   in Loop: Header=BB139_4 Depth=1
	s_cbranch_execnz .LBB139_25
.LBB139_17:                             ;   in Loop: Header=BB139_4 Depth=1
	s_and_b64 vcc, exec, s[4:5]
	s_cbranch_vccnz .LBB139_24
; %bb.18:                               ;   in Loop: Header=BB139_4 Depth=1
	s_mov_b32 s46, 0
	v_mov_b32_e32 v15, 0
	s_branch .LBB139_20
.LBB139_19:                             ;   in Loop: Header=BB139_20 Depth=2
	s_or_b64 exec, exec, s[10:11]
	s_add_i32 s46, s46, s40
	s_ashr_i32 s10, s46, 31
	v_mov_b32_e32 v6, s46
	v_mov_b32_e32 v7, s10
	v_cmp_le_i64_e32 vcc, s[18:19], v[6:7]
	s_waitcnt vmcnt(0)
	v_mul_f32_e32 v8, v8, v9
	s_waitcnt lgkmcnt(0)
	v_fmac_f32_e32 v15, s15, v8
	s_cbranch_vccnz .LBB139_25
.LBB139_20:                             ;   Parent Loop BB139_4 Depth=1
                                        ; =>  This Inner Loop Header: Depth=2
	v_add_u32_e32 v6, s46, v2
	v_ashrrev_i32_e32 v7, 31, v6
	v_cmp_gt_i64_e32 vcc, s[18:19], v[6:7]
	v_lshlrev_b64 v[6:7], 2, v[6:7]
	v_mov_b32_e32 v8, 0
	s_and_saveexec_b64 s[12:13], vcc
	s_cbranch_execz .LBB139_22
; %bb.21:                               ;   in Loop: Header=BB139_20 Depth=2
	v_mov_b32_e32 v9, s43
	v_add_co_u32_e64 v8, s[10:11], s42, v6
	v_addc_co_u32_e64 v9, s[10:11], v9, v7, s[10:11]
	global_load_dword v8, v[8:9], off
.LBB139_22:                             ;   in Loop: Header=BB139_20 Depth=2
	s_or_b64 exec, exec, s[12:13]
	v_mov_b32_e32 v9, 0
	s_and_saveexec_b64 s[10:11], vcc
	s_cbranch_execz .LBB139_19
; %bb.23:                               ;   in Loop: Header=BB139_20 Depth=2
	v_mov_b32_e32 v9, s45
	v_add_co_u32_e32 v6, vcc, s44, v6
	v_addc_co_u32_e32 v7, vcc, v9, v7, vcc
	global_load_dword v9, v[6:7], off
	s_branch .LBB139_19
.LBB139_24:                             ;   in Loop: Header=BB139_4 Depth=1
	v_mov_b32_e32 v15, 0
.LBB139_25:                             ;   in Loop: Header=BB139_4 Depth=1
	s_andn2_b64 vcc, exec, s[28:29]
	s_cbranch_vccnz .LBB139_28
; %bb.26:                               ;   in Loop: Header=BB139_4 Depth=1
	v_and_b32_e32 v6, 64, v11
	v_add_u32_e32 v6, 64, v6
	s_mov_b32 s10, s39
.LBB139_27:                             ;   Parent Loop BB139_4 Depth=1
                                        ; =>  This Inner Loop Header: Depth=2
	s_lshr_b32 s11, s10, 1
	v_xor_b32_e32 v7, s11, v11
	v_cmp_lt_i32_e32 vcc, v7, v6
	v_cndmask_b32_e32 v7, v11, v7, vcc
	v_lshlrev_b32_e32 v7, 2, v7
	ds_bpermute_b32 v7, v7, v15
	s_cmp_lt_u32 s10, 4
	s_mov_b32 s10, s11
	s_waitcnt lgkmcnt(0)
	v_add_f32_e32 v15, v15, v7
	s_cbranch_scc0 .LBB139_27
.LBB139_28:                             ;   in Loop: Header=BB139_4 Depth=1
	s_andn2_b64 vcc, exec, s[30:31]
	s_mov_b32 s46, s38
	s_cbranch_vccnz .LBB139_40
.LBB139_29:                             ;   Parent Loop BB139_4 Depth=1
                                        ; =>  This Inner Loop Header: Depth=2
	s_lshr_b32 s47, s46, 1
	s_and_b32 s12, s46, 0xfffe
	v_cmp_le_u32_e64 s[10:11], s47, v1
	v_cmp_gt_u32_e64 s[12:13], s12, v1
	v_cmp_gt_u32_e32 vcc, s47, v1
	s_and_b64 s[12:13], s[10:11], s[12:13]
	s_and_saveexec_b64 s[10:11], s[12:13]
; %bb.30:                               ;   in Loop: Header=BB139_29 Depth=2
	v_subrev_u32_e32 v6, s47, v1
	v_mad_u32_u24 v6, v6, s39, v0
	v_lshl_add_u32 v6, v6, 3, 0
	ds_write_b32 v6, v15 offset:4
; %bb.31:                               ;   in Loop: Header=BB139_29 Depth=2
	s_or_b64 exec, exec, s[10:11]
	s_waitcnt lgkmcnt(0)
	s_barrier
	s_and_saveexec_b64 s[10:11], vcc
	s_cbranch_execz .LBB139_33
; %bb.32:                               ;   in Loop: Header=BB139_29 Depth=2
	ds_read_b32 v6, v12 offset:4
	s_waitcnt lgkmcnt(0)
	v_add_f32_e32 v15, v15, v6
.LBB139_33:                             ;   in Loop: Header=BB139_29 Depth=2
	s_or_b64 exec, exec, s[10:11]
	s_cmp_lt_u32 s46, 4
	s_barrier
	s_cbranch_scc1 .LBB139_35
; %bb.34:                               ;   in Loop: Header=BB139_29 Depth=2
	s_mov_b32 s46, s47
	s_branch .LBB139_29
.LBB139_35:                             ;   in Loop: Header=BB139_4 Depth=1
	s_and_saveexec_b64 s[10:11], s[0:1]
; %bb.36:                               ;   in Loop: Header=BB139_4 Depth=1
	ds_write_b32 v14, v15 offset:4
; %bb.37:                               ;   in Loop: Header=BB139_4 Depth=1
	s_or_b64 exec, exec, s[10:11]
	s_waitcnt lgkmcnt(0)
	s_barrier
	s_and_saveexec_b64 s[10:11], s[2:3]
; %bb.38:                               ;   in Loop: Header=BB139_4 Depth=1
	ds_read_b32 v15, v14 offset:4
; %bb.39:                               ;   in Loop: Header=BB139_4 Depth=1
	s_or_b64 exec, exec, s[10:11]
.LBB139_40:                             ;   in Loop: Header=BB139_4 Depth=1
	s_add_u32 s46, s22, s36
	s_addc_u32 s47, s23, s37
	s_and_b64 vcc, exec, s[8:9]
	s_waitcnt lgkmcnt(0)
	v_mul_f32_e32 v16, s15, v13
	s_cbranch_vccnz .LBB139_45
; %bb.41:                               ;   in Loop: Header=BB139_4 Depth=1
	s_and_saveexec_b64 s[12:13], s[6:7]
	s_cbranch_execz .LBB139_44
; %bb.42:                               ;   in Loop: Header=BB139_4 Depth=1
	v_mov_b32_e32 v7, v5
	v_mov_b32_e32 v9, v3
	s_mov_b64 s[36:37], 0
	v_mov_b32_e32 v6, v4
	v_mov_b32_e32 v8, v2
.LBB139_43:                             ;   Parent Loop BB139_4 Depth=1
                                        ; =>  This Inner Loop Header: Depth=2
	v_lshlrev_b64 v[17:18], 2, v[8:9]
	v_mov_b32_e32 v9, s43
	v_add_co_u32_e32 v8, vcc, s42, v17
	v_addc_co_u32_e32 v9, vcc, v9, v18, vcc
	v_mov_b32_e32 v20, s45
	v_add_co_u32_e32 v19, vcc, s44, v17
	v_addc_co_u32_e32 v20, vcc, v20, v18, vcc
	;; [unrolled: 3-line block ×3, first 2 shown]
	global_load_dword v23, v[8:9], off
	global_load_dword v24, v[19:20], off
	;; [unrolled: 1-line block ×3, first 2 shown]
	v_mov_b32_e32 v8, s41
	v_add_co_u32_e32 v6, vcc, s40, v6
	v_mov_b32_e32 v19, s47
	v_addc_co_u32_e32 v7, vcc, v7, v8, vcc
	v_add_co_u32_e64 v17, s[10:11], s46, v17
	v_cmp_le_i64_e32 vcc, s[18:19], v[6:7]
	v_addc_co_u32_e64 v18, s[10:11], v19, v18, s[10:11]
	v_ashrrev_i32_e32 v9, 31, v6
	v_mov_b32_e32 v8, v6
	s_or_b64 s[36:37], vcc, s[36:37]
	s_waitcnt vmcnt(2)
	v_mul_f32_e32 v20, s15, v23
	s_waitcnt vmcnt(1)
	v_mul_f32_e32 v19, v24, v10
	v_mul_f32_e32 v20, v15, v20
	s_waitcnt vmcnt(0)
	v_fma_f32 v19, v19, v25, -v20
	v_mul_f32_e32 v19, v16, v19
	global_store_dword v[17:18], v19, off
	s_andn2_b64 exec, exec, s[36:37]
	s_cbranch_execnz .LBB139_43
.LBB139_44:                             ;   in Loop: Header=BB139_4 Depth=1
	s_or_b64 exec, exec, s[12:13]
	s_cbranch_execnz .LBB139_3
	s_branch .LBB139_46
.LBB139_45:                             ;   in Loop: Header=BB139_4 Depth=1
.LBB139_46:                             ;   in Loop: Header=BB139_4 Depth=1
	s_and_saveexec_b64 s[12:13], s[6:7]
	s_cbranch_execz .LBB139_2
; %bb.47:                               ;   in Loop: Header=BB139_4 Depth=1
	v_mov_b32_e32 v7, v5
	v_mov_b32_e32 v9, v3
	s_mov_b64 s[36:37], 0
	v_mov_b32_e32 v6, v4
	v_mov_b32_e32 v8, v2
.LBB139_48:                             ;   Parent Loop BB139_4 Depth=1
                                        ; =>  This Inner Loop Header: Depth=2
	v_lshlrev_b64 v[17:18], 2, v[8:9]
	v_mov_b32_e32 v9, s43
	v_add_co_u32_e32 v8, vcc, s42, v17
	v_addc_co_u32_e32 v9, vcc, v9, v18, vcc
	v_mov_b32_e32 v20, s45
	v_add_co_u32_e32 v19, vcc, s44, v17
	global_load_dword v21, v[8:9], off
	v_addc_co_u32_e32 v20, vcc, v20, v18, vcc
	global_load_dword v19, v[19:20], off
	v_mov_b32_e32 v20, s47
	v_mov_b32_e32 v8, s41
	v_add_co_u32_e32 v6, vcc, s40, v6
	v_add_co_u32_e64 v17, s[10:11], s46, v17
	v_addc_co_u32_e32 v7, vcc, v7, v8, vcc
	v_addc_co_u32_e64 v18, s[10:11], v20, v18, s[10:11]
	v_cmp_le_i64_e32 vcc, s[18:19], v[6:7]
	v_ashrrev_i32_e32 v9, 31, v6
	v_mov_b32_e32 v8, v6
	s_or_b64 s[36:37], vcc, s[36:37]
	s_waitcnt vmcnt(1)
	v_mul_f32_e32 v20, s15, v21
	v_mul_f32_e32 v20, v15, v20
	s_waitcnt vmcnt(0)
	v_fma_f32 v19, v19, v10, -v20
	v_mul_f32_e32 v19, v16, v19
	global_store_dword v[17:18], v19, off
	s_andn2_b64 exec, exec, s[36:37]
	s_cbranch_execnz .LBB139_48
	s_branch .LBB139_2
.LBB139_49:
	s_endpgm
	.section	.rodata,"a",@progbits
	.p2align	6, 0x0
	.amdhsa_kernel _ZN2at6native12_GLOBAL__N_118cuComputeGradInputIffLb1EEEvPKT_S5_llPKT0_S8_S5_PS3_
		.amdhsa_group_segment_fixed_size 0
		.amdhsa_private_segment_fixed_size 0
		.amdhsa_kernarg_size 320
		.amdhsa_user_sgpr_count 6
		.amdhsa_user_sgpr_private_segment_buffer 1
		.amdhsa_user_sgpr_dispatch_ptr 0
		.amdhsa_user_sgpr_queue_ptr 0
		.amdhsa_user_sgpr_kernarg_segment_ptr 1
		.amdhsa_user_sgpr_dispatch_id 0
		.amdhsa_user_sgpr_flat_scratch_init 0
		.amdhsa_user_sgpr_private_segment_size 0
		.amdhsa_uses_dynamic_stack 0
		.amdhsa_system_sgpr_private_segment_wavefront_offset 0
		.amdhsa_system_sgpr_workgroup_id_x 1
		.amdhsa_system_sgpr_workgroup_id_y 1
		.amdhsa_system_sgpr_workgroup_id_z 0
		.amdhsa_system_sgpr_workgroup_info 0
		.amdhsa_system_vgpr_workitem_id 1
		.amdhsa_next_free_vgpr 26
		.amdhsa_next_free_sgpr 48
		.amdhsa_reserve_vcc 1
		.amdhsa_reserve_flat_scratch 0
		.amdhsa_float_round_mode_32 0
		.amdhsa_float_round_mode_16_64 0
		.amdhsa_float_denorm_mode_32 3
		.amdhsa_float_denorm_mode_16_64 3
		.amdhsa_dx10_clamp 1
		.amdhsa_ieee_mode 1
		.amdhsa_fp16_overflow 0
		.amdhsa_exception_fp_ieee_invalid_op 0
		.amdhsa_exception_fp_denorm_src 0
		.amdhsa_exception_fp_ieee_div_zero 0
		.amdhsa_exception_fp_ieee_overflow 0
		.amdhsa_exception_fp_ieee_underflow 0
		.amdhsa_exception_fp_ieee_inexact 0
		.amdhsa_exception_int_div_zero 0
	.end_amdhsa_kernel
	.section	.text._ZN2at6native12_GLOBAL__N_118cuComputeGradInputIffLb1EEEvPKT_S5_llPKT0_S8_S5_PS3_,"axG",@progbits,_ZN2at6native12_GLOBAL__N_118cuComputeGradInputIffLb1EEEvPKT_S5_llPKT0_S8_S5_PS3_,comdat
.Lfunc_end139:
	.size	_ZN2at6native12_GLOBAL__N_118cuComputeGradInputIffLb1EEEvPKT_S5_llPKT0_S8_S5_PS3_, .Lfunc_end139-_ZN2at6native12_GLOBAL__N_118cuComputeGradInputIffLb1EEEvPKT_S5_llPKT0_S8_S5_PS3_
                                        ; -- End function
	.set _ZN2at6native12_GLOBAL__N_118cuComputeGradInputIffLb1EEEvPKT_S5_llPKT0_S8_S5_PS3_.num_vgpr, 26
	.set _ZN2at6native12_GLOBAL__N_118cuComputeGradInputIffLb1EEEvPKT_S5_llPKT0_S8_S5_PS3_.num_agpr, 0
	.set _ZN2at6native12_GLOBAL__N_118cuComputeGradInputIffLb1EEEvPKT_S5_llPKT0_S8_S5_PS3_.numbered_sgpr, 48
	.set _ZN2at6native12_GLOBAL__N_118cuComputeGradInputIffLb1EEEvPKT_S5_llPKT0_S8_S5_PS3_.num_named_barrier, 0
	.set _ZN2at6native12_GLOBAL__N_118cuComputeGradInputIffLb1EEEvPKT_S5_llPKT0_S8_S5_PS3_.private_seg_size, 0
	.set _ZN2at6native12_GLOBAL__N_118cuComputeGradInputIffLb1EEEvPKT_S5_llPKT0_S8_S5_PS3_.uses_vcc, 1
	.set _ZN2at6native12_GLOBAL__N_118cuComputeGradInputIffLb1EEEvPKT_S5_llPKT0_S8_S5_PS3_.uses_flat_scratch, 0
	.set _ZN2at6native12_GLOBAL__N_118cuComputeGradInputIffLb1EEEvPKT_S5_llPKT0_S8_S5_PS3_.has_dyn_sized_stack, 0
	.set _ZN2at6native12_GLOBAL__N_118cuComputeGradInputIffLb1EEEvPKT_S5_llPKT0_S8_S5_PS3_.has_recursion, 0
	.set _ZN2at6native12_GLOBAL__N_118cuComputeGradInputIffLb1EEEvPKT_S5_llPKT0_S8_S5_PS3_.has_indirect_call, 0
	.section	.AMDGPU.csdata,"",@progbits
; Kernel info:
; codeLenInByte = 1536
; TotalNumSgprs: 52
; NumVgprs: 26
; ScratchSize: 0
; MemoryBound: 0
; FloatMode: 240
; IeeeMode: 1
; LDSByteSize: 0 bytes/workgroup (compile time only)
; SGPRBlocks: 6
; VGPRBlocks: 6
; NumSGPRsForWavesPerEU: 52
; NumVGPRsForWavesPerEU: 26
; Occupancy: 9
; WaveLimiterHint : 0
; COMPUTE_PGM_RSRC2:SCRATCH_EN: 0
; COMPUTE_PGM_RSRC2:USER_SGPR: 6
; COMPUTE_PGM_RSRC2:TRAP_HANDLER: 0
; COMPUTE_PGM_RSRC2:TGID_X_EN: 1
; COMPUTE_PGM_RSRC2:TGID_Y_EN: 1
; COMPUTE_PGM_RSRC2:TGID_Z_EN: 0
; COMPUTE_PGM_RSRC2:TIDIG_COMP_CNT: 1
	.section	.text._ZN2at6native12_GLOBAL__N_128layer_norm_grad_input_kernelIffLb1EEEvPKT_S5_PKT0_S8_S5_PS3_i,"axG",@progbits,_ZN2at6native12_GLOBAL__N_128layer_norm_grad_input_kernelIffLb1EEEvPKT_S5_PKT0_S8_S5_PS3_i,comdat
	.globl	_ZN2at6native12_GLOBAL__N_128layer_norm_grad_input_kernelIffLb1EEEvPKT_S5_PKT0_S8_S5_PS3_i ; -- Begin function _ZN2at6native12_GLOBAL__N_128layer_norm_grad_input_kernelIffLb1EEEvPKT_S5_PKT0_S8_S5_PS3_i
	.p2align	8
	.type	_ZN2at6native12_GLOBAL__N_128layer_norm_grad_input_kernelIffLb1EEEvPKT_S5_PKT0_S8_S5_PS3_i,@function
_ZN2at6native12_GLOBAL__N_128layer_norm_grad_input_kernelIffLb1EEEvPKT_S5_PKT0_S8_S5_PS3_i: ; @_ZN2at6native12_GLOBAL__N_128layer_norm_grad_input_kernelIffLb1EEEvPKT_S5_PKT0_S8_S5_PS3_i
; %bb.0:
	s_load_dword s18, s[4:5], 0x30
	s_load_dwordx4 s[8:11], s[4:5], 0x0
	s_load_dwordx4 s[0:3], s[4:5], 0x18
	s_mov_b32 s7, 0
	v_lshlrev_b32_e32 v1, 2, v0
	s_waitcnt lgkmcnt(0)
	s_ashr_i32 s12, s18, 31
	s_mul_hi_u32 s13, s18, s6
	s_mul_i32 s12, s12, s6
	s_add_i32 s13, s13, s12
	s_mul_i32 s12, s18, s6
	s_lshl_b64 s[6:7], s[6:7], 2
	s_add_u32 s0, s0, s6
	s_addc_u32 s1, s1, s7
	s_load_dword s19, s[0:1], 0x0
	s_lshl_b64 s[6:7], s[12:13], 2
	s_add_u32 s20, s10, s6
	s_addc_u32 s22, s11, s7
	s_add_u32 s21, s8, s6
	v_or_b32_e32 v2, 3, v1
	s_addc_u32 s23, s9, s7
	v_cmp_gt_u32_e32 vcc, s18, v2
	v_mov_b32_e32 v9, 0
	s_and_saveexec_b64 s[12:13], vcc
	s_cbranch_execz .LBB140_12
; %bb.1:
	s_load_dword s0, s[4:5], 0x44
	s_cmp_lg_u64 s[2:3], 0
	s_cselect_b64 s[16:17], -1, 0
	v_cndmask_b32_e64 v3, 0, 1, s[16:17]
	s_mov_b64 s[14:15], 0
	s_waitcnt lgkmcnt(0)
	s_and_b32 s0, s0, 0xffff
	v_mov_b32_e32 v2, 0
	s_lshl_b32 s24, s0, 2
	v_mov_b32_e32 v10, s22
	v_mov_b32_e32 v11, s23
	v_cmp_ne_u32_e64 s[0:1], 1, v3
	v_mov_b32_e32 v9, 0
	s_branch .LBB140_3
.LBB140_2:                              ;   in Loop: Header=BB140_3 Depth=1
	global_load_dword v7, v[5:6], off offset:12
	global_load_dword v8, v[3:4], off offset:12
	s_waitcnt vmcnt(6)
	v_mul_f32_e32 v3, v13, v15
	s_waitcnt vmcnt(4)
	v_mul_f32_e32 v4, v12, v18
	v_mul_f32_e32 v3, v14, v3
	s_waitcnt vmcnt(2)
	v_mul_f32_e32 v5, v20, v21
	v_add_u32_e32 v1, s24, v1
	v_mul_f32_e32 v4, v16, v4
	v_fmac_f32_e32 v9, s19, v3
	v_mul_f32_e32 v5, v19, v5
	v_add_u32_e32 v6, 3, v1
	v_fmac_f32_e32 v9, s19, v4
	v_cmp_le_u32_e32 vcc, s18, v6
	v_fmac_f32_e32 v9, s19, v5
	s_or_b64 s[14:15], vcc, s[14:15]
	s_waitcnt vmcnt(1)
	v_mul_f32_e32 v3, v17, v7
	s_waitcnt vmcnt(0)
	v_mul_f32_e32 v3, v8, v3
	v_fmac_f32_e32 v9, s19, v3
	s_andn2_b64 exec, exec, s[14:15]
	s_cbranch_execz .LBB140_11
.LBB140_3:                              ; =>This Inner Loop Header: Depth=1
	v_lshlrev_b64 v[7:8], 2, v[1:2]
	v_mov_b32_e32 v12, 1.0
	s_and_b64 vcc, exec, s[16:17]
	v_mov_b32_e32 v13, 1.0
	s_cbranch_vccz .LBB140_5
; %bb.4:                                ;   in Loop: Header=BB140_3 Depth=1
	v_mov_b32_e32 v4, s3
	v_add_co_u32_e32 v3, vcc, s2, v7
	v_addc_co_u32_e32 v4, vcc, v4, v8, vcc
	global_load_dword v13, v[3:4], off
.LBB140_5:                              ;   in Loop: Header=BB140_3 Depth=1
	v_add_co_u32_e32 v3, vcc, s20, v7
	v_addc_co_u32_e32 v4, vcc, v10, v8, vcc
	v_add_co_u32_e32 v5, vcc, s21, v7
	v_addc_co_u32_e32 v6, vcc, v11, v8, vcc
	global_load_dword v14, v[3:4], off
	global_load_dword v15, v[5:6], off
	s_and_b64 vcc, exec, s[0:1]
	s_cbranch_vccnz .LBB140_7
; %bb.6:                                ;   in Loop: Header=BB140_3 Depth=1
	v_mov_b32_e32 v12, s3
	v_add_co_u32_e32 v16, vcc, s2, v7
	v_addc_co_u32_e32 v17, vcc, v12, v8, vcc
	global_load_dword v12, v[16:17], off offset:4
.LBB140_7:                              ;   in Loop: Header=BB140_3 Depth=1
	s_nop 0
	global_load_dword v16, v[3:4], off offset:4
	global_load_dword v18, v[5:6], off offset:4
	v_mov_b32_e32 v17, 1.0
	s_and_b64 vcc, exec, s[0:1]
	v_mov_b32_e32 v20, 1.0
	s_cbranch_vccnz .LBB140_9
; %bb.8:                                ;   in Loop: Header=BB140_3 Depth=1
	v_mov_b32_e32 v20, s3
	v_add_co_u32_e32 v19, vcc, s2, v7
	v_addc_co_u32_e32 v20, vcc, v20, v8, vcc
	global_load_dword v20, v[19:20], off offset:8
.LBB140_9:                              ;   in Loop: Header=BB140_3 Depth=1
	s_nop 0
	global_load_dword v19, v[3:4], off offset:8
	global_load_dword v21, v[5:6], off offset:8
	s_and_b64 vcc, exec, s[0:1]
	s_cbranch_vccnz .LBB140_2
; %bb.10:                               ;   in Loop: Header=BB140_3 Depth=1
	v_mov_b32_e32 v17, s3
	v_add_co_u32_e32 v7, vcc, s2, v7
	v_addc_co_u32_e32 v8, vcc, v17, v8, vcc
	global_load_dword v17, v[7:8], off offset:12
	s_branch .LBB140_2
.LBB140_11:
	s_or_b64 exec, exec, s[14:15]
.LBB140_12:
	s_or_b64 exec, exec, s[12:13]
	v_cmp_gt_u32_e32 vcc, s18, v1
	s_and_saveexec_b64 s[12:13], vcc
	s_cbranch_execz .LBB140_19
; %bb.13:
	v_mov_b32_e32 v2, 0
	v_lshlrev_b64 v[4:5], 2, v[1:2]
	v_mov_b32_e32 v3, s3
	v_add_co_u32_e32 v2, vcc, s2, v4
	v_addc_co_u32_e32 v3, vcc, v3, v5, vcc
	v_mov_b32_e32 v6, s7
	v_add_co_u32_e32 v7, vcc, s6, v4
	v_addc_co_u32_e32 v8, vcc, v6, v5, vcc
	v_mov_b32_e32 v5, s11
	v_add_co_u32_e32 v4, vcc, s10, v7
	s_cmp_lg_u64 s[2:3], 0
	v_addc_co_u32_e32 v5, vcc, v5, v8, vcc
	v_mov_b32_e32 v10, s9
	v_add_co_u32_e32 v6, vcc, s8, v7
	s_cselect_b64 s[0:1], -1, 0
	v_addc_co_u32_e32 v7, vcc, v10, v8, vcc
	v_cndmask_b32_e64 v8, 0, 1, s[0:1]
	s_mov_b64 s[14:15], 0
	v_cmp_ne_u32_e64 s[0:1], 1, v8
	s_branch .LBB140_16
.LBB140_14:                             ;   in Loop: Header=BB140_16 Depth=1
	global_load_dword v8, v[2:3], off
.LBB140_15:                             ;   in Loop: Header=BB140_16 Depth=1
	global_load_dword v10, v[6:7], off
	global_load_dword v11, v[4:5], off
	v_add_co_u32_e32 v2, vcc, 4, v2
	v_addc_co_u32_e32 v3, vcc, 0, v3, vcc
	v_add_co_u32_e32 v4, vcc, 4, v4
	v_add_u32_e32 v1, 1, v1
	v_addc_co_u32_e32 v5, vcc, 0, v5, vcc
	v_cmp_le_u32_e32 vcc, s18, v1
	s_or_b64 s[14:15], vcc, s[14:15]
	v_add_co_u32_e32 v6, vcc, 4, v6
	v_addc_co_u32_e32 v7, vcc, 0, v7, vcc
	s_waitcnt vmcnt(1)
	v_mul_f32_e32 v8, v8, v10
	s_waitcnt vmcnt(0)
	v_mul_f32_e32 v8, v11, v8
	s_waitcnt lgkmcnt(0)
	v_fmac_f32_e32 v9, s19, v8
	s_andn2_b64 exec, exec, s[14:15]
	s_cbranch_execz .LBB140_18
.LBB140_16:                             ; =>This Inner Loop Header: Depth=1
	s_and_b64 vcc, exec, s[0:1]
	s_cbranch_vccz .LBB140_14
; %bb.17:                               ;   in Loop: Header=BB140_16 Depth=1
	v_mov_b32_e32 v8, 1.0
	s_branch .LBB140_15
.LBB140_18:
	s_or_b64 exec, exec, s[14:15]
.LBB140_19:
	s_or_b64 exec, exec, s[12:13]
	v_mbcnt_lo_u32_b32 v1, -1, 0
	v_mbcnt_hi_u32_b32 v6, -1, v1
	v_mov_b32_e32 v1, 0x80
	v_lshl_or_b32 v1, v6, 2, v1
	ds_bpermute_b32 v2, v1, v9
	v_and_b32_e32 v8, 63, v6
	v_cmp_gt_u32_e32 vcc, 48, v8
	v_cndmask_b32_e64 v3, 0, 16, vcc
	v_cmp_gt_u32_e32 vcc, 56, v8
	s_waitcnt lgkmcnt(0)
	v_add_f32_e32 v4, v9, v2
	v_add_lshl_u32 v2, v3, v6, 2
	ds_bpermute_b32 v5, v2, v4
	v_cndmask_b32_e64 v3, 0, 8, vcc
	v_add_lshl_u32 v3, v3, v6, 2
	v_cmp_gt_u32_e32 vcc, 60, v8
	s_waitcnt lgkmcnt(0)
	v_add_f32_e32 v5, v4, v5
	ds_bpermute_b32 v7, v3, v5
	v_cndmask_b32_e64 v4, 0, 4, vcc
	v_add_lshl_u32 v4, v4, v6, 2
	v_cmp_gt_u32_e32 vcc, 62, v8
	s_waitcnt lgkmcnt(0)
	s_barrier
	v_add_f32_e32 v7, v5, v7
	ds_bpermute_b32 v9, v4, v7
	v_cndmask_b32_e64 v5, 0, 2, vcc
	v_add_lshl_u32 v5, v5, v6, 2
	v_cmp_ne_u32_e32 vcc, 63, v8
	v_addc_co_u32_e32 v6, vcc, 0, v6, vcc
	s_waitcnt lgkmcnt(0)
	v_add_f32_e32 v9, v7, v9
	ds_bpermute_b32 v10, v5, v9
	v_lshlrev_b32_e32 v6, 2, v6
	v_and_b32_e32 v7, 63, v0
	v_cmp_eq_u32_e32 vcc, 0, v7
	s_waitcnt lgkmcnt(0)
	v_add_f32_e32 v8, v9, v10
	ds_bpermute_b32 v9, v6, v8
	s_and_saveexec_b64 s[0:1], vcc
	s_cbranch_execz .LBB140_21
; %bb.20:
	v_lshrrev_b32_e32 v10, 4, v0
	v_add_u32_e32 v10, 0, v10
	s_waitcnt lgkmcnt(0)
	v_add_f32_e32 v8, v8, v9
	ds_write_b32 v10, v8
.LBB140_21:
	s_or_b64 exec, exec, s[0:1]
	s_waitcnt lgkmcnt(0)
	s_barrier
	s_load_dword s8, s[4:5], 0x44
	v_mov_b32_e32 v8, 0
	s_waitcnt lgkmcnt(0)
	s_bfe_u32 s0, s8, 0xa0006
	v_cmp_gt_u32_e32 vcc, s0, v0
	s_and_saveexec_b64 s[0:1], vcc
	s_cbranch_execnz .LBB140_32
; %bb.22:
	s_or_b64 exec, exec, s[0:1]
	v_cmp_gt_u32_e32 vcc, 64, v0
	s_and_saveexec_b64 s[0:1], vcc
	s_cbranch_execnz .LBB140_33
.LBB140_23:
	s_or_b64 exec, exec, s[0:1]
	v_cmp_eq_u32_e32 vcc, 0, v0
	s_and_saveexec_b64 s[0:1], vcc
	s_cbranch_execz .LBB140_25
.LBB140_24:
	v_mov_b32_e32 v1, 0
	s_waitcnt lgkmcnt(0)
	ds_write_b32 v1, v8 offset:4
.LBB140_25:
	s_or_b64 exec, exec, s[0:1]
	v_cmp_gt_i32_e32 vcc, s18, v0
	s_waitcnt lgkmcnt(0)
	s_barrier
	s_and_saveexec_b64 s[0:1], vcc
	s_cbranch_execz .LBB140_31
; %bb.26:
	v_cvt_f32_i32_e32 v3, s18
	s_and_b32 s8, 0xffff, s8
	v_div_scale_f32 v1, s[0:1], v3, v3, 1.0
	v_div_scale_f32 v2, vcc, 1.0, v3, 1.0
	s_load_dwordx2 s[0:1], s[4:5], 0x28
	s_mov_b64 s[4:5], 0
	s_waitcnt lgkmcnt(0)
	s_add_u32 s6, s0, s6
	s_addc_u32 s7, s1, s7
	s_cmp_lg_u64 s[2:3], 0
	s_cselect_b64 s[0:1], -1, 0
	v_mov_b32_e32 v8, s7
	v_rcp_f32_e32 v4, v1
	v_fma_f32 v5, -v1, v4, 1.0
	v_fmac_f32_e32 v4, v5, v4
	v_mul_f32_e32 v5, v2, v4
	v_fma_f32 v6, -v1, v5, v2
	v_fmac_f32_e32 v5, v6, v4
	v_fma_f32 v1, -v1, v5, v2
	v_div_fmas_f32 v1, v1, v4, v5
	v_mov_b32_e32 v2, 0
	ds_read_b32 v6, v2 offset:4
	v_cndmask_b32_e64 v2, 0, 1, s[0:1]
	v_mov_b32_e32 v4, s22
	v_mov_b32_e32 v5, s23
	v_cmp_ne_u32_e64 s[0:1], 1, v2
	v_div_fixup_f32 v1, v1, v3, 1.0
	v_mul_f32_e32 v7, s19, v1
	s_branch .LBB140_29
.LBB140_27:                             ;   in Loop: Header=BB140_29 Depth=1
	v_mov_b32_e32 v12, s3
	v_add_co_u32_e32 v11, vcc, s2, v1
	v_addc_co_u32_e32 v12, vcc, v12, v2, vcc
	global_load_dword v11, v[11:12], off
.LBB140_28:                             ;   in Loop: Header=BB140_29 Depth=1
	s_waitcnt vmcnt(1)
	v_mul_f32_e32 v9, s19, v9
	v_add_co_u32_e32 v1, vcc, s6, v1
	s_waitcnt vmcnt(0)
	v_mul_f32_e32 v11, v11, v3
	s_waitcnt lgkmcnt(0)
	v_mul_f32_e32 v9, v6, v9
	v_addc_co_u32_e32 v2, vcc, v8, v2, vcc
	v_add_u32_e32 v0, s8, v0
	v_fma_f32 v9, v10, v11, -v9
	v_cmp_le_i32_e32 vcc, s18, v0
	v_mul_f32_e32 v9, v7, v9
	s_or_b64 s[4:5], vcc, s[4:5]
	global_store_dword v[1:2], v9, off
	s_andn2_b64 exec, exec, s[4:5]
	s_cbranch_execz .LBB140_31
.LBB140_29:                             ; =>This Inner Loop Header: Depth=1
	v_ashrrev_i32_e32 v1, 31, v0
	v_lshlrev_b64 v[1:2], 2, v[0:1]
	v_add_co_u32_e32 v9, vcc, s20, v1
	v_addc_co_u32_e32 v10, vcc, v4, v2, vcc
	global_load_dword v9, v[9:10], off
	v_add_co_u32_e32 v10, vcc, s21, v1
	v_addc_co_u32_e32 v11, vcc, v5, v2, vcc
	global_load_dword v10, v[10:11], off
	s_and_b64 vcc, exec, s[0:1]
	s_cbranch_vccz .LBB140_27
; %bb.30:                               ;   in Loop: Header=BB140_29 Depth=1
	v_mov_b32_e32 v11, 1.0
	s_branch .LBB140_28
.LBB140_31:
	s_endpgm
.LBB140_32:
	v_lshl_add_u32 v7, v7, 2, 0
	ds_read_b32 v8, v7
	s_or_b64 exec, exec, s[0:1]
	v_cmp_gt_u32_e32 vcc, 64, v0
	s_and_saveexec_b64 s[0:1], vcc
	s_cbranch_execz .LBB140_23
.LBB140_33:
	s_waitcnt lgkmcnt(0)
	ds_bpermute_b32 v1, v1, v8
	s_waitcnt lgkmcnt(0)
	v_add_f32_e32 v1, v8, v1
	ds_bpermute_b32 v2, v2, v1
	s_waitcnt lgkmcnt(0)
	v_add_f32_e32 v1, v1, v2
	;; [unrolled: 3-line block ×6, first 2 shown]
	s_or_b64 exec, exec, s[0:1]
	v_cmp_eq_u32_e32 vcc, 0, v0
	s_and_saveexec_b64 s[0:1], vcc
	s_cbranch_execnz .LBB140_24
	s_branch .LBB140_25
	.section	.rodata,"a",@progbits
	.p2align	6, 0x0
	.amdhsa_kernel _ZN2at6native12_GLOBAL__N_128layer_norm_grad_input_kernelIffLb1EEEvPKT_S5_PKT0_S8_S5_PS3_i
		.amdhsa_group_segment_fixed_size 0
		.amdhsa_private_segment_fixed_size 0
		.amdhsa_kernarg_size 312
		.amdhsa_user_sgpr_count 6
		.amdhsa_user_sgpr_private_segment_buffer 1
		.amdhsa_user_sgpr_dispatch_ptr 0
		.amdhsa_user_sgpr_queue_ptr 0
		.amdhsa_user_sgpr_kernarg_segment_ptr 1
		.amdhsa_user_sgpr_dispatch_id 0
		.amdhsa_user_sgpr_flat_scratch_init 0
		.amdhsa_user_sgpr_private_segment_size 0
		.amdhsa_uses_dynamic_stack 0
		.amdhsa_system_sgpr_private_segment_wavefront_offset 0
		.amdhsa_system_sgpr_workgroup_id_x 1
		.amdhsa_system_sgpr_workgroup_id_y 0
		.amdhsa_system_sgpr_workgroup_id_z 0
		.amdhsa_system_sgpr_workgroup_info 0
		.amdhsa_system_vgpr_workitem_id 0
		.amdhsa_next_free_vgpr 22
		.amdhsa_next_free_sgpr 25
		.amdhsa_reserve_vcc 1
		.amdhsa_reserve_flat_scratch 0
		.amdhsa_float_round_mode_32 0
		.amdhsa_float_round_mode_16_64 0
		.amdhsa_float_denorm_mode_32 3
		.amdhsa_float_denorm_mode_16_64 3
		.amdhsa_dx10_clamp 1
		.amdhsa_ieee_mode 1
		.amdhsa_fp16_overflow 0
		.amdhsa_exception_fp_ieee_invalid_op 0
		.amdhsa_exception_fp_denorm_src 0
		.amdhsa_exception_fp_ieee_div_zero 0
		.amdhsa_exception_fp_ieee_overflow 0
		.amdhsa_exception_fp_ieee_underflow 0
		.amdhsa_exception_fp_ieee_inexact 0
		.amdhsa_exception_int_div_zero 0
	.end_amdhsa_kernel
	.section	.text._ZN2at6native12_GLOBAL__N_128layer_norm_grad_input_kernelIffLb1EEEvPKT_S5_PKT0_S8_S5_PS3_i,"axG",@progbits,_ZN2at6native12_GLOBAL__N_128layer_norm_grad_input_kernelIffLb1EEEvPKT_S5_PKT0_S8_S5_PS3_i,comdat
.Lfunc_end140:
	.size	_ZN2at6native12_GLOBAL__N_128layer_norm_grad_input_kernelIffLb1EEEvPKT_S5_PKT0_S8_S5_PS3_i, .Lfunc_end140-_ZN2at6native12_GLOBAL__N_128layer_norm_grad_input_kernelIffLb1EEEvPKT_S5_PKT0_S8_S5_PS3_i
                                        ; -- End function
	.set _ZN2at6native12_GLOBAL__N_128layer_norm_grad_input_kernelIffLb1EEEvPKT_S5_PKT0_S8_S5_PS3_i.num_vgpr, 22
	.set _ZN2at6native12_GLOBAL__N_128layer_norm_grad_input_kernelIffLb1EEEvPKT_S5_PKT0_S8_S5_PS3_i.num_agpr, 0
	.set _ZN2at6native12_GLOBAL__N_128layer_norm_grad_input_kernelIffLb1EEEvPKT_S5_PKT0_S8_S5_PS3_i.numbered_sgpr, 25
	.set _ZN2at6native12_GLOBAL__N_128layer_norm_grad_input_kernelIffLb1EEEvPKT_S5_PKT0_S8_S5_PS3_i.num_named_barrier, 0
	.set _ZN2at6native12_GLOBAL__N_128layer_norm_grad_input_kernelIffLb1EEEvPKT_S5_PKT0_S8_S5_PS3_i.private_seg_size, 0
	.set _ZN2at6native12_GLOBAL__N_128layer_norm_grad_input_kernelIffLb1EEEvPKT_S5_PKT0_S8_S5_PS3_i.uses_vcc, 1
	.set _ZN2at6native12_GLOBAL__N_128layer_norm_grad_input_kernelIffLb1EEEvPKT_S5_PKT0_S8_S5_PS3_i.uses_flat_scratch, 0
	.set _ZN2at6native12_GLOBAL__N_128layer_norm_grad_input_kernelIffLb1EEEvPKT_S5_PKT0_S8_S5_PS3_i.has_dyn_sized_stack, 0
	.set _ZN2at6native12_GLOBAL__N_128layer_norm_grad_input_kernelIffLb1EEEvPKT_S5_PKT0_S8_S5_PS3_i.has_recursion, 0
	.set _ZN2at6native12_GLOBAL__N_128layer_norm_grad_input_kernelIffLb1EEEvPKT_S5_PKT0_S8_S5_PS3_i.has_indirect_call, 0
	.section	.AMDGPU.csdata,"",@progbits
; Kernel info:
; codeLenInByte = 1588
; TotalNumSgprs: 29
; NumVgprs: 22
; ScratchSize: 0
; MemoryBound: 0
; FloatMode: 240
; IeeeMode: 1
; LDSByteSize: 0 bytes/workgroup (compile time only)
; SGPRBlocks: 3
; VGPRBlocks: 5
; NumSGPRsForWavesPerEU: 29
; NumVGPRsForWavesPerEU: 22
; Occupancy: 10
; WaveLimiterHint : 0
; COMPUTE_PGM_RSRC2:SCRATCH_EN: 0
; COMPUTE_PGM_RSRC2:USER_SGPR: 6
; COMPUTE_PGM_RSRC2:TRAP_HANDLER: 0
; COMPUTE_PGM_RSRC2:TGID_X_EN: 1
; COMPUTE_PGM_RSRC2:TGID_Y_EN: 0
; COMPUTE_PGM_RSRC2:TGID_Z_EN: 0
; COMPUTE_PGM_RSRC2:TIDIG_COMP_CNT: 0
	.section	.text._ZN2at6native12_GLOBAL__N_133GammaBetaBackwardSimpleCUDAKernelIffLb1EEEvllPKT_S5_PKT0_S8_PS3_S9_,"axG",@progbits,_ZN2at6native12_GLOBAL__N_133GammaBetaBackwardSimpleCUDAKernelIffLb1EEEvllPKT_S5_PKT0_S8_PS3_S9_,comdat
	.globl	_ZN2at6native12_GLOBAL__N_133GammaBetaBackwardSimpleCUDAKernelIffLb1EEEvllPKT_S5_PKT0_S8_PS3_S9_ ; -- Begin function _ZN2at6native12_GLOBAL__N_133GammaBetaBackwardSimpleCUDAKernelIffLb1EEEvllPKT_S5_PKT0_S8_PS3_S9_
	.p2align	8
	.type	_ZN2at6native12_GLOBAL__N_133GammaBetaBackwardSimpleCUDAKernelIffLb1EEEvllPKT_S5_PKT0_S8_PS3_S9_,@function
_ZN2at6native12_GLOBAL__N_133GammaBetaBackwardSimpleCUDAKernelIffLb1EEEvllPKT_S5_PKT0_S8_PS3_S9_: ; @_ZN2at6native12_GLOBAL__N_133GammaBetaBackwardSimpleCUDAKernelIffLb1EEEvllPKT_S5_PKT0_S8_PS3_S9_
; %bb.0:
	s_load_dword s0, s[4:5], 0x4c
	v_mov_b32_e32 v1, 0
	s_load_dwordx8 s[8:15], s[4:5], 0x0
	v_mov_b32_e32 v2, s6
	s_waitcnt lgkmcnt(0)
	s_and_b32 s0, s0, 0xffff
	v_mad_u64_u32 v[2:3], s[0:1], s0, v2, v[0:1]
	v_cmp_gt_i64_e32 vcc, s[10:11], v[2:3]
	s_and_saveexec_b64 s[0:1], vcc
	s_cbranch_execz .LBB141_8
; %bb.1:
	s_load_dwordx4 s[16:19], s[4:5], 0x28
	v_cmp_lt_i64_e64 s[0:1], s[8:9], 1
	v_lshlrev_b64 v[2:3], 2, v[2:3]
	s_and_b64 vcc, exec, s[0:1]
	s_cbranch_vccnz .LBB141_6
; %bb.2:
	s_waitcnt lgkmcnt(0)
	s_cmp_lg_u64 s[18:19], 0
	s_cselect_b64 s[0:1], -1, 0
	s_lshl_b64 s[2:3], s[10:11], 2
	v_cndmask_b32_e64 v0, 0, 1, s[0:1]
	v_mov_b32_e32 v5, v3
	v_mov_b32_e32 v1, 0
	v_cmp_ne_u32_e64 s[0:1], 1, v0
	v_mov_b32_e32 v0, s3
	v_mov_b32_e32 v4, v2
	s_branch .LBB141_4
.LBB141_3:                              ;   in Loop: Header=BB141_4 Depth=1
	s_add_u32 s8, s8, -1
	s_addc_u32 s9, s9, -1
	s_add_u32 s16, s16, 4
	s_addc_u32 s17, s17, 0
	v_add_co_u32_e32 v4, vcc, s2, v4
	v_add_f32_e32 v1, v1, v6
	s_cmp_eq_u64 s[8:9], 0
	v_addc_co_u32_e32 v5, vcc, v5, v0, vcc
	s_cbranch_scc1 .LBB141_6
.LBB141_4:                              ; =>This Inner Loop Header: Depth=1
	s_and_b64 vcc, exec, s[0:1]
	v_mov_b32_e32 v6, 0
	s_cbranch_vccnz .LBB141_3
; %bb.5:                                ;   in Loop: Header=BB141_4 Depth=1
	v_mov_b32_e32 v7, s13
	v_add_co_u32_e32 v6, vcc, s12, v4
	v_addc_co_u32_e32 v7, vcc, v7, v5, vcc
	global_load_dword v8, v[6:7], off
	v_mov_b32_e32 v7, s15
	v_add_co_u32_e32 v6, vcc, s14, v4
	v_addc_co_u32_e32 v7, vcc, v7, v5, vcc
	global_load_dword v6, v[6:7], off
	s_load_dword s3, s[16:17], 0x0
	s_waitcnt vmcnt(0)
	v_mul_f32_e32 v6, v8, v6
	s_waitcnt lgkmcnt(0)
	v_mul_f32_e32 v6, s3, v6
	s_branch .LBB141_3
.LBB141_6:
	s_waitcnt lgkmcnt(0)
	s_cmp_lg_u64 s[18:19], 0
	s_cbranch_scc0 .LBB141_8
; %bb.7:
	v_mov_b32_e32 v0, s19
	v_add_co_u32_e32 v2, vcc, s18, v2
	v_addc_co_u32_e32 v3, vcc, v0, v3, vcc
	global_store_dword v[2:3], v1, off
.LBB141_8:
	s_endpgm
	.section	.rodata,"a",@progbits
	.p2align	6, 0x0
	.amdhsa_kernel _ZN2at6native12_GLOBAL__N_133GammaBetaBackwardSimpleCUDAKernelIffLb1EEEvllPKT_S5_PKT0_S8_PS3_S9_
		.amdhsa_group_segment_fixed_size 0
		.amdhsa_private_segment_fixed_size 0
		.amdhsa_kernarg_size 320
		.amdhsa_user_sgpr_count 6
		.amdhsa_user_sgpr_private_segment_buffer 1
		.amdhsa_user_sgpr_dispatch_ptr 0
		.amdhsa_user_sgpr_queue_ptr 0
		.amdhsa_user_sgpr_kernarg_segment_ptr 1
		.amdhsa_user_sgpr_dispatch_id 0
		.amdhsa_user_sgpr_flat_scratch_init 0
		.amdhsa_user_sgpr_private_segment_size 0
		.amdhsa_uses_dynamic_stack 0
		.amdhsa_system_sgpr_private_segment_wavefront_offset 0
		.amdhsa_system_sgpr_workgroup_id_x 1
		.amdhsa_system_sgpr_workgroup_id_y 0
		.amdhsa_system_sgpr_workgroup_id_z 0
		.amdhsa_system_sgpr_workgroup_info 0
		.amdhsa_system_vgpr_workitem_id 0
		.amdhsa_next_free_vgpr 9
		.amdhsa_next_free_sgpr 20
		.amdhsa_reserve_vcc 1
		.amdhsa_reserve_flat_scratch 0
		.amdhsa_float_round_mode_32 0
		.amdhsa_float_round_mode_16_64 0
		.amdhsa_float_denorm_mode_32 3
		.amdhsa_float_denorm_mode_16_64 3
		.amdhsa_dx10_clamp 1
		.amdhsa_ieee_mode 1
		.amdhsa_fp16_overflow 0
		.amdhsa_exception_fp_ieee_invalid_op 0
		.amdhsa_exception_fp_denorm_src 0
		.amdhsa_exception_fp_ieee_div_zero 0
		.amdhsa_exception_fp_ieee_overflow 0
		.amdhsa_exception_fp_ieee_underflow 0
		.amdhsa_exception_fp_ieee_inexact 0
		.amdhsa_exception_int_div_zero 0
	.end_amdhsa_kernel
	.section	.text._ZN2at6native12_GLOBAL__N_133GammaBetaBackwardSimpleCUDAKernelIffLb1EEEvllPKT_S5_PKT0_S8_PS3_S9_,"axG",@progbits,_ZN2at6native12_GLOBAL__N_133GammaBetaBackwardSimpleCUDAKernelIffLb1EEEvllPKT_S5_PKT0_S8_PS3_S9_,comdat
.Lfunc_end141:
	.size	_ZN2at6native12_GLOBAL__N_133GammaBetaBackwardSimpleCUDAKernelIffLb1EEEvllPKT_S5_PKT0_S8_PS3_S9_, .Lfunc_end141-_ZN2at6native12_GLOBAL__N_133GammaBetaBackwardSimpleCUDAKernelIffLb1EEEvllPKT_S5_PKT0_S8_PS3_S9_
                                        ; -- End function
	.set _ZN2at6native12_GLOBAL__N_133GammaBetaBackwardSimpleCUDAKernelIffLb1EEEvllPKT_S5_PKT0_S8_PS3_S9_.num_vgpr, 9
	.set _ZN2at6native12_GLOBAL__N_133GammaBetaBackwardSimpleCUDAKernelIffLb1EEEvllPKT_S5_PKT0_S8_PS3_S9_.num_agpr, 0
	.set _ZN2at6native12_GLOBAL__N_133GammaBetaBackwardSimpleCUDAKernelIffLb1EEEvllPKT_S5_PKT0_S8_PS3_S9_.numbered_sgpr, 20
	.set _ZN2at6native12_GLOBAL__N_133GammaBetaBackwardSimpleCUDAKernelIffLb1EEEvllPKT_S5_PKT0_S8_PS3_S9_.num_named_barrier, 0
	.set _ZN2at6native12_GLOBAL__N_133GammaBetaBackwardSimpleCUDAKernelIffLb1EEEvllPKT_S5_PKT0_S8_PS3_S9_.private_seg_size, 0
	.set _ZN2at6native12_GLOBAL__N_133GammaBetaBackwardSimpleCUDAKernelIffLb1EEEvllPKT_S5_PKT0_S8_PS3_S9_.uses_vcc, 1
	.set _ZN2at6native12_GLOBAL__N_133GammaBetaBackwardSimpleCUDAKernelIffLb1EEEvllPKT_S5_PKT0_S8_PS3_S9_.uses_flat_scratch, 0
	.set _ZN2at6native12_GLOBAL__N_133GammaBetaBackwardSimpleCUDAKernelIffLb1EEEvllPKT_S5_PKT0_S8_PS3_S9_.has_dyn_sized_stack, 0
	.set _ZN2at6native12_GLOBAL__N_133GammaBetaBackwardSimpleCUDAKernelIffLb1EEEvllPKT_S5_PKT0_S8_PS3_S9_.has_recursion, 0
	.set _ZN2at6native12_GLOBAL__N_133GammaBetaBackwardSimpleCUDAKernelIffLb1EEEvllPKT_S5_PKT0_S8_PS3_S9_.has_indirect_call, 0
	.section	.AMDGPU.csdata,"",@progbits
; Kernel info:
; codeLenInByte = 292
; TotalNumSgprs: 24
; NumVgprs: 9
; ScratchSize: 0
; MemoryBound: 0
; FloatMode: 240
; IeeeMode: 1
; LDSByteSize: 0 bytes/workgroup (compile time only)
; SGPRBlocks: 2
; VGPRBlocks: 2
; NumSGPRsForWavesPerEU: 24
; NumVGPRsForWavesPerEU: 9
; Occupancy: 10
; WaveLimiterHint : 0
; COMPUTE_PGM_RSRC2:SCRATCH_EN: 0
; COMPUTE_PGM_RSRC2:USER_SGPR: 6
; COMPUTE_PGM_RSRC2:TRAP_HANDLER: 0
; COMPUTE_PGM_RSRC2:TGID_X_EN: 1
; COMPUTE_PGM_RSRC2:TGID_Y_EN: 0
; COMPUTE_PGM_RSRC2:TGID_Z_EN: 0
; COMPUTE_PGM_RSRC2:TIDIG_COMP_CNT: 0
	.section	.text._ZN2at6native12_GLOBAL__N_135GammaBetaBackwardCUDAKernelTemplateIffLj64ELj1ELj32ELb1ELb1ELb1EEEvllPKT_S5_PKT0_S8_PS3_S9_,"axG",@progbits,_ZN2at6native12_GLOBAL__N_135GammaBetaBackwardCUDAKernelTemplateIffLj64ELj1ELj32ELb1ELb1ELb1EEEvllPKT_S5_PKT0_S8_PS3_S9_,comdat
	.globl	_ZN2at6native12_GLOBAL__N_135GammaBetaBackwardCUDAKernelTemplateIffLj64ELj1ELj32ELb1ELb1ELb1EEEvllPKT_S5_PKT0_S8_PS3_S9_ ; -- Begin function _ZN2at6native12_GLOBAL__N_135GammaBetaBackwardCUDAKernelTemplateIffLj64ELj1ELj32ELb1ELb1ELb1EEEvllPKT_S5_PKT0_S8_PS3_S9_
	.p2align	8
	.type	_ZN2at6native12_GLOBAL__N_135GammaBetaBackwardCUDAKernelTemplateIffLj64ELj1ELj32ELb1ELb1ELb1EEEvllPKT_S5_PKT0_S8_PS3_S9_,@function
_ZN2at6native12_GLOBAL__N_135GammaBetaBackwardCUDAKernelTemplateIffLj64ELj1ELj32ELb1ELb1ELb1EEEvllPKT_S5_PKT0_S8_PS3_S9_: ; @_ZN2at6native12_GLOBAL__N_135GammaBetaBackwardCUDAKernelTemplateIffLj64ELj1ELj32ELb1ELb1ELb1EEEvllPKT_S5_PKT0_S8_PS3_S9_
; %bb.0:
	s_load_dwordx4 s[8:11], s[4:5], 0x0
	s_load_dwordx2 s[16:17], s[4:5], 0x30
	s_lshl_b32 s18, s7, 5
	s_mov_b32 s19, 0
	v_mov_b32_e32 v2, s18
	v_mov_b32_e32 v3, s19
	s_waitcnt lgkmcnt(0)
	v_cmp_le_i64_e32 vcc, s[8:9], v[2:3]
	v_mov_b32_e32 v3, 0
	s_cbranch_vccnz .LBB142_7
; %bb.1:
	s_load_dword s0, s[4:5], 0x4c
	s_load_dword s22, s[4:5], 0x44
	s_load_dwordx4 s[12:15], s[4:5], 0x10
	s_load_dwordx2 s[2:3], s[4:5], 0x28
	v_lshlrev_b32_e32 v4, 5, v1
	s_waitcnt lgkmcnt(0)
	s_and_b32 s0, s0, 0xffff
	v_mad_u32_u24 v2, v1, s0, v0
	v_and_b32_e32 v5, 63, v2
	v_add_co_u32_e32 v9, vcc, s18, v4
	v_mbcnt_lo_u32_b32 v6, -1, 0
	v_addc_co_u32_e64 v10, s[20:21], 0, 0, vcc
	v_add_co_u32_e32 v4, vcc, v9, v5
	v_cmp_gt_u32_e64 s[0:1], 32, v5
	v_mbcnt_hi_u32_b32 v6, -1, v6
	v_addc_co_u32_e32 v5, vcc, 0, v10, vcc
	v_mul_lo_u32 v12, s11, v9
	v_mul_lo_u32 v13, s10, v10
	v_mad_u64_u32 v[9:10], s[20:21], s10, v9, 0
	v_lshlrev_b32_e32 v6, 2, v6
	v_and_b32_e32 v8, 0x100, v6
	v_lshlrev_b64 v[6:7], 2, v[4:5]
	v_mov_b32_e32 v3, 0
	v_lshl_or_b32 v2, s6, 6, v0
	v_mov_b32_e32 v11, s3
	v_add_co_u32_e32 v6, vcc, s2, v6
	v_add3_u32 v10, v10, v13, v12
	v_addc_co_u32_e32 v7, vcc, v11, v7, vcc
	v_lshlrev_b64 v[9:10], 2, v[9:10]
	v_lshlrev_b64 v[11:12], 2, v[2:3]
	s_lshl_b32 s20, s22, 5
	s_mul_i32 s2, s11, s20
	s_mul_hi_u32 s3, s10, s20
	v_add_co_u32_e32 v2, vcc, v9, v11
	s_mov_b32 s21, s19
	s_add_i32 s3, s3, s2
	s_mul_i32 s2, s10, s20
	v_addc_co_u32_e32 v9, vcc, v10, v12, vcc
	s_lshl_b64 s[22:23], s[20:21], 2
	s_lshl_b64 s[24:25], s[2:3], 2
	;; [unrolled: 1-line block ×3, first 2 shown]
	v_or_b32_e32 v10, 0x44, v8
	v_or_b32_e32 v11, 0x48, v8
	;; [unrolled: 1-line block ×15, first 2 shown]
	s_branch .LBB142_4
.LBB142_2:                              ;   in Loop: Header=BB142_4 Depth=1
	s_or_b64 exec, exec, s[28:29]
.LBB142_3:                              ;   in Loop: Header=BB142_4 Depth=1
	s_or_b64 exec, exec, s[2:3]
	v_mov_b32_e32 v26, s13
	v_add_co_u32_e32 v27, vcc, s12, v2
	v_addc_co_u32_e32 v28, vcc, v26, v9, vcc
	v_mov_b32_e32 v26, s27
	v_add_co_u32_e32 v29, vcc, s26, v27
	v_addc_co_u32_e32 v30, vcc, v28, v26, vcc
	global_load_dword v33, v[27:28], off
	v_mov_b32_e32 v28, s15
	v_add_co_u32_e32 v27, vcc, s14, v2
	v_addc_co_u32_e32 v28, vcc, v28, v9, vcc
	global_load_dword v34, v[27:28], off
	v_add_co_u32_e32 v27, vcc, s26, v27
	v_addc_co_u32_e32 v28, vcc, v28, v26, vcc
	global_load_dword v35, v[29:30], off
	global_load_dword v36, v[27:28], off
	v_add_co_u32_e32 v29, vcc, s26, v29
	v_addc_co_u32_e32 v30, vcc, v30, v26, vcc
	v_add_co_u32_e32 v27, vcc, s26, v27
	v_addc_co_u32_e32 v28, vcc, v28, v26, vcc
	;; [unrolled: 2-line block ×3, first 2 shown]
	global_load_dword v37, v[29:30], off
	global_load_dword v39, v[31:32], off
	v_add_co_u32_e32 v29, vcc, s26, v27
	v_addc_co_u32_e32 v30, vcc, v28, v26, vcc
	global_load_dword v38, v[27:28], off
	v_add_co_u32_e32 v27, vcc, s26, v31
	v_addc_co_u32_e32 v28, vcc, v32, v26, vcc
	v_add_co_u32_e32 v31, vcc, s26, v29
	v_addc_co_u32_e32 v32, vcc, v30, v26, vcc
	global_load_dword v40, v[29:30], off
	global_load_dword v42, v[31:32], off
	v_add_co_u32_e32 v29, vcc, s26, v27
	v_addc_co_u32_e32 v30, vcc, v28, v26, vcc
	global_load_dword v41, v[27:28], off
	v_add_co_u32_e32 v27, vcc, s26, v31
	v_addc_co_u32_e32 v28, vcc, v32, v26, vcc
	v_add_co_u32_e32 v31, vcc, s26, v29
	v_addc_co_u32_e32 v32, vcc, v30, v26, vcc
	global_load_dword v43, v[29:30], off
	global_load_dword v45, v[31:32], off
	v_add_co_u32_e32 v29, vcc, s26, v27
	v_addc_co_u32_e32 v30, vcc, v28, v26, vcc
	global_load_dword v44, v[27:28], off
	v_add_co_u32_e32 v27, vcc, s26, v31
	s_waitcnt vmcnt(13)
	ds_bpermute_b32 v31, v8, v25
	v_addc_co_u32_e32 v28, vcc, v32, v26, vcc
	s_add_u32 s18, s18, s20
	s_addc_u32 s19, s19, 0
	v_add_co_u32_e64 v6, s[2:3], s22, v6
	s_waitcnt vmcnt(11)
	v_mul_f32_e32 v32, v33, v34
	s_waitcnt lgkmcnt(0)
	v_fmac_f32_e32 v3, v32, v31
	v_add_co_u32_e32 v31, vcc, s26, v29
	v_addc_co_u32_e32 v32, vcc, v30, v26, vcc
	s_waitcnt vmcnt(9)
	v_mul_f32_e32 v34, v35, v36
	global_load_dword v35, v[29:30], off
	global_load_dword v36, v[27:28], off
	global_load_dword v46, v[31:32], off
	v_add_co_u32_e32 v27, vcc, s26, v27
	v_addc_co_u32_e32 v28, vcc, v28, v26, vcc
	v_add_co_u32_e32 v29, vcc, s26, v31
	v_addc_co_u32_e32 v30, vcc, v32, v26, vcc
	global_load_dword v31, v[27:28], off
	global_load_dword v32, v[29:30], off
	v_or_b32_e32 v33, 4, v8
	ds_bpermute_b32 v33, v33, v25
	v_add_co_u32_e32 v27, vcc, s26, v27
	v_addc_co_u32_e32 v28, vcc, v28, v26, vcc
	s_waitcnt lgkmcnt(0)
	v_fmac_f32_e32 v3, v34, v33
	v_or_b32_e32 v34, 8, v8
	ds_bpermute_b32 v34, v34, v25
	s_waitcnt vmcnt(11)
	v_mul_f32_e32 v33, v37, v38
	v_or_b32_e32 v38, 28, v8
	ds_bpermute_b32 v38, v38, v25
	v_add_co_u32_e32 v29, vcc, s26, v29
	s_waitcnt lgkmcnt(1)
	v_fmac_f32_e32 v3, v33, v34
	v_or_b32_e32 v33, 12, v8
	ds_bpermute_b32 v33, v33, v25
	v_or_b32_e32 v34, 16, v8
	ds_bpermute_b32 v34, v34, v25
	s_waitcnt vmcnt(10)
	v_mul_f32_e32 v37, v39, v40
	v_addc_co_u32_e32 v30, vcc, v30, v26, vcc
	s_waitcnt lgkmcnt(1)
	v_fmac_f32_e32 v3, v37, v33
	s_waitcnt vmcnt(8)
	v_mul_f32_e32 v33, v41, v42
	v_or_b32_e32 v37, 20, v8
	ds_bpermute_b32 v37, v37, v25
	s_waitcnt lgkmcnt(1)
	v_fmac_f32_e32 v3, v33, v34
	v_or_b32_e32 v33, 24, v8
	ds_bpermute_b32 v33, v33, v25
	s_waitcnt vmcnt(5)
	v_mul_f32_e32 v34, v43, v44
	s_waitcnt lgkmcnt(1)
	v_fmac_f32_e32 v3, v34, v37
	s_waitcnt vmcnt(4)
	v_mul_f32_e32 v34, v45, v35
	s_waitcnt lgkmcnt(0)
	v_fmac_f32_e32 v3, v34, v33
	s_waitcnt vmcnt(2)
	v_mul_f32_e32 v33, v36, v46
	v_fmac_f32_e32 v3, v33, v38
	v_or_b32_e32 v33, 32, v8
	ds_bpermute_b32 v33, v33, v25
	global_load_dword v34, v[29:30], off
	s_waitcnt vmcnt(1)
	v_mul_f32_e32 v31, v31, v32
	s_waitcnt lgkmcnt(0)
	v_fmac_f32_e32 v3, v31, v33
	v_add_co_u32_e32 v31, vcc, s26, v27
	v_addc_co_u32_e32 v32, vcc, v28, v26, vcc
	global_load_dword v33, v[27:28], off
	v_add_co_u32_e32 v27, vcc, s26, v29
	v_addc_co_u32_e32 v28, vcc, v30, v26, vcc
	v_add_co_u32_e32 v29, vcc, s26, v31
	v_addc_co_u32_e32 v30, vcc, v32, v26, vcc
	global_load_dword v35, v[31:32], off
	v_add_co_u32_e32 v31, vcc, s26, v27
	v_addc_co_u32_e32 v32, vcc, v28, v26, vcc
	global_load_dword v36, v[27:28], off
	;; [unrolled: 3-line block ×8, first 2 shown]
	global_load_dword v43, v[29:30], off
	global_load_dword v44, v[31:32], off
	v_add_co_u32_e32 v27, vcc, s26, v29
	v_addc_co_u32_e32 v28, vcc, v30, v26, vcc
	v_add_co_u32_e32 v29, vcc, s26, v31
	v_addc_co_u32_e32 v30, vcc, v32, v26, vcc
	global_load_dword v31, v[27:28], off
	global_load_dword v32, v[29:30], off
	v_add_co_u32_e32 v27, vcc, s26, v27
	v_addc_co_u32_e32 v28, vcc, v28, v26, vcc
	v_add_co_u32_e32 v29, vcc, s26, v29
	v_addc_co_u32_e32 v30, vcc, v30, v26, vcc
	s_waitcnt vmcnt(12)
	v_mul_f32_e32 v33, v33, v34
	v_or_b32_e32 v34, 36, v8
	ds_bpermute_b32 v34, v34, v25
	s_waitcnt lgkmcnt(0)
	v_fmac_f32_e32 v3, v33, v34
	v_or_b32_e32 v33, 40, v8
	ds_bpermute_b32 v33, v33, v25
	v_or_b32_e32 v34, 44, v8
	ds_bpermute_b32 v34, v34, v25
	s_waitcnt vmcnt(10)
	v_mul_f32_e32 v35, v35, v36
	s_waitcnt lgkmcnt(1)
	v_fmac_f32_e32 v3, v35, v33
	v_or_b32_e32 v35, 48, v8
	ds_bpermute_b32 v35, v35, v25
	v_or_b32_e32 v36, 56, v8
	ds_bpermute_b32 v36, v36, v25
	s_waitcnt vmcnt(8)
	v_mul_f32_e32 v33, v37, v38
	s_waitcnt lgkmcnt(2)
	v_fmac_f32_e32 v3, v33, v34
	v_or_b32_e32 v33, 52, v8
	ds_bpermute_b32 v33, v33, v25
	s_waitcnt vmcnt(6)
	v_mul_f32_e32 v34, v39, v40
	s_waitcnt lgkmcnt(2)
	v_fmac_f32_e32 v3, v34, v35
	global_load_dword v35, v[27:28], off
	s_waitcnt vmcnt(5)
	v_mul_f32_e32 v34, v41, v42
	s_waitcnt lgkmcnt(0)
	v_fmac_f32_e32 v3, v34, v33
	s_waitcnt vmcnt(3)
	v_mul_f32_e32 v33, v43, v44
	v_fmac_f32_e32 v3, v33, v36
	global_load_dword v36, v[29:30], off
	s_waitcnt vmcnt(2)
	v_mul_f32_e32 v33, v31, v32
	v_or_b32_e32 v31, 60, v8
	ds_bpermute_b32 v34, v31, v25
	v_add_co_u32_e32 v31, vcc, s26, v27
	v_addc_co_u32_e32 v32, vcc, v28, v26, vcc
	v_add_co_u32_e32 v27, vcc, s26, v29
	v_addc_co_u32_e32 v28, vcc, v30, v26, vcc
	;; [unrolled: 2-line block ×3, first 2 shown]
	global_load_dword v37, v[31:32], off
	v_add_co_u32_e32 v31, vcc, s26, v27
	v_addc_co_u32_e32 v32, vcc, v28, v26, vcc
	global_load_dword v38, v[27:28], off
	v_add_co_u32_e32 v27, vcc, s26, v29
	v_addc_co_u32_e32 v28, vcc, v30, v26, vcc
	;; [unrolled: 3-line block ×7, first 2 shown]
	global_load_dword v44, v[27:28], off
	global_load_dword v45, v[29:30], off
	;; [unrolled: 1-line block ×3, first 2 shown]
	v_add_co_u32_e32 v27, vcc, s26, v29
	v_addc_co_u32_e32 v28, vcc, v30, v26, vcc
	v_add_co_u32_e32 v29, vcc, s26, v31
	v_addc_co_u32_e32 v30, vcc, v32, v26, vcc
	global_load_dword v31, v[27:28], off
	global_load_dword v32, v[29:30], off
	s_waitcnt lgkmcnt(0)
	v_fmac_f32_e32 v3, v33, v34
	v_or_b32_e32 v34, 64, v8
	ds_bpermute_b32 v34, v34, v25
	v_add_co_u32_e32 v27, vcc, s26, v27
	v_addc_co_u32_e32 v28, vcc, v28, v26, vcc
	v_add_co_u32_e32 v29, vcc, s26, v29
	v_addc_co_u32_e32 v30, vcc, v30, v26, vcc
	s_waitcnt vmcnt(12)
	v_mul_f32_e32 v33, v35, v36
	s_waitcnt lgkmcnt(0)
	v_fmac_f32_e32 v3, v33, v34
	ds_bpermute_b32 v33, v10, v25
	ds_bpermute_b32 v34, v11, v25
	;; [unrolled: 1-line block ×3, first 2 shown]
	s_waitcnt vmcnt(10)
	v_mul_f32_e32 v35, v37, v38
	s_waitcnt lgkmcnt(2)
	v_fmac_f32_e32 v3, v35, v33
	ds_bpermute_b32 v35, v12, v25
	s_waitcnt vmcnt(8)
	v_mul_f32_e32 v33, v39, v40
	s_waitcnt lgkmcnt(2)
	v_fmac_f32_e32 v3, v33, v34
	ds_bpermute_b32 v33, v13, v25
	s_waitcnt vmcnt(6)
	v_mul_f32_e32 v34, v41, v42
	s_waitcnt lgkmcnt(1)
	v_fmac_f32_e32 v3, v34, v35
	s_waitcnt vmcnt(4)
	v_mul_f32_e32 v34, v43, v44
	s_waitcnt lgkmcnt(0)
	v_fmac_f32_e32 v3, v34, v33
	s_waitcnt vmcnt(2)
	v_mul_f32_e32 v33, v45, v46
	v_fmac_f32_e32 v3, v33, v36
	ds_bpermute_b32 v33, v15, v25
	global_load_dword v34, v[29:30], off
	s_waitcnt vmcnt(1)
	v_mul_f32_e32 v31, v31, v32
	s_waitcnt lgkmcnt(0)
	v_fmac_f32_e32 v3, v31, v33
	v_add_co_u32_e32 v31, vcc, s26, v27
	v_addc_co_u32_e32 v32, vcc, v28, v26, vcc
	global_load_dword v33, v[27:28], off
	v_add_co_u32_e32 v27, vcc, s26, v29
	v_addc_co_u32_e32 v28, vcc, v30, v26, vcc
	v_add_co_u32_e32 v29, vcc, s26, v31
	v_addc_co_u32_e32 v30, vcc, v32, v26, vcc
	global_load_dword v35, v[31:32], off
	v_add_co_u32_e32 v31, vcc, s26, v27
	v_addc_co_u32_e32 v32, vcc, v28, v26, vcc
	global_load_dword v36, v[27:28], off
	;; [unrolled: 3-line block ×14, first 2 shown]
	s_nop 0
	global_load_dword v27, v[29:30], off
	global_load_dword v28, v[31:32], off
	ds_bpermute_b32 v29, v16, v25
	ds_bpermute_b32 v31, v17, v25
	s_waitcnt vmcnt(16)
	v_mul_f32_e32 v30, v33, v34
	s_waitcnt lgkmcnt(1)
	v_fmac_f32_e32 v3, v30, v29
	ds_bpermute_b32 v29, v18, v25
	s_waitcnt vmcnt(14)
	v_mul_f32_e32 v30, v35, v36
	s_waitcnt lgkmcnt(1)
	v_fmac_f32_e32 v3, v30, v31
	;; [unrolled: 5-line block ×6, first 2 shown]
	ds_bpermute_b32 v29, v23, v25
	ds_bpermute_b32 v25, v24, v25
	s_waitcnt vmcnt(4)
	v_mul_f32_e32 v30, v45, v46
	s_waitcnt lgkmcnt(2)
	v_fmac_f32_e32 v3, v30, v31
	s_waitcnt vmcnt(2)
	v_mul_f32_e32 v26, v47, v26
	s_waitcnt lgkmcnt(1)
	v_fmac_f32_e32 v3, v26, v29
	;; [unrolled: 4-line block ×3, first 2 shown]
	v_mov_b32_e32 v26, s9
	v_mov_b32_e32 v25, s8
	v_cmp_lt_i64_e32 vcc, s[18:19], v[25:26]
	v_mov_b32_e32 v25, s23
	v_addc_co_u32_e64 v7, s[2:3], v7, v25, s[2:3]
	v_mov_b32_e32 v25, s25
	v_add_co_u32_e64 v2, s[2:3], s24, v2
	v_addc_co_u32_e64 v9, s[2:3], v9, v25, s[2:3]
	v_add_co_u32_e64 v4, s[2:3], s20, v4
	v_addc_co_u32_e64 v5, s[2:3], 0, v5, s[2:3]
	s_cbranch_vccz .LBB142_7
.LBB142_4:                              ; =>This Inner Loop Header: Depth=1
	v_mov_b32_e32 v25, 0
	s_and_saveexec_b64 s[2:3], s[0:1]
	s_cbranch_execz .LBB142_3
; %bb.5:                                ;   in Loop: Header=BB142_4 Depth=1
	v_cmp_gt_i64_e32 vcc, s[8:9], v[4:5]
	v_mov_b32_e32 v25, 0
	s_and_saveexec_b64 s[28:29], vcc
	s_cbranch_execz .LBB142_2
; %bb.6:                                ;   in Loop: Header=BB142_4 Depth=1
	global_load_dword v25, v[6:7], off
	s_branch .LBB142_2
.LBB142_7:
	s_cmp_eq_u64 s[16:17], 0
	s_cbranch_scc1 .LBB142_9
; %bb.8:
	s_load_dword s0, s[4:5], 0x4c
	v_mov_b32_e32 v2, 0
	v_mov_b32_e32 v4, s7
	s_mov_b32 s7, 0
	v_mov_b32_e32 v6, s17
	s_waitcnt lgkmcnt(0)
	s_lshr_b32 s0, s0, 16
	v_mad_u64_u32 v[1:2], s[0:1], s0, v4, v[1:2]
	v_lshlrev_b32_e32 v0, 2, v0
	v_mul_lo_u32 v4, v2, s10
	v_mul_lo_u32 v5, v1, s11
	v_mad_u64_u32 v[1:2], s[0:1], v1, s10, 0
	s_lshl_b64 s[0:1], s[6:7], 8
	v_add3_u32 v2, v2, v5, v4
	v_lshlrev_b64 v[1:2], 2, v[1:2]
	v_mov_b32_e32 v4, s1
	v_add_co_u32_e32 v1, vcc, s16, v1
	v_addc_co_u32_e32 v2, vcc, v6, v2, vcc
	v_add_co_u32_e32 v1, vcc, s0, v1
	v_addc_co_u32_e32 v2, vcc, v2, v4, vcc
	;; [unrolled: 2-line block ×3, first 2 shown]
	global_store_dword v[0:1], v3, off
.LBB142_9:
	s_endpgm
	.section	.rodata,"a",@progbits
	.p2align	6, 0x0
	.amdhsa_kernel _ZN2at6native12_GLOBAL__N_135GammaBetaBackwardCUDAKernelTemplateIffLj64ELj1ELj32ELb1ELb1ELb1EEEvllPKT_S5_PKT0_S8_PS3_S9_
		.amdhsa_group_segment_fixed_size 0
		.amdhsa_private_segment_fixed_size 0
		.amdhsa_kernarg_size 320
		.amdhsa_user_sgpr_count 6
		.amdhsa_user_sgpr_private_segment_buffer 1
		.amdhsa_user_sgpr_dispatch_ptr 0
		.amdhsa_user_sgpr_queue_ptr 0
		.amdhsa_user_sgpr_kernarg_segment_ptr 1
		.amdhsa_user_sgpr_dispatch_id 0
		.amdhsa_user_sgpr_flat_scratch_init 0
		.amdhsa_user_sgpr_private_segment_size 0
		.amdhsa_uses_dynamic_stack 0
		.amdhsa_system_sgpr_private_segment_wavefront_offset 0
		.amdhsa_system_sgpr_workgroup_id_x 1
		.amdhsa_system_sgpr_workgroup_id_y 1
		.amdhsa_system_sgpr_workgroup_id_z 0
		.amdhsa_system_sgpr_workgroup_info 0
		.amdhsa_system_vgpr_workitem_id 1
		.amdhsa_next_free_vgpr 48
		.amdhsa_next_free_sgpr 30
		.amdhsa_reserve_vcc 1
		.amdhsa_reserve_flat_scratch 0
		.amdhsa_float_round_mode_32 0
		.amdhsa_float_round_mode_16_64 0
		.amdhsa_float_denorm_mode_32 3
		.amdhsa_float_denorm_mode_16_64 3
		.amdhsa_dx10_clamp 1
		.amdhsa_ieee_mode 1
		.amdhsa_fp16_overflow 0
		.amdhsa_exception_fp_ieee_invalid_op 0
		.amdhsa_exception_fp_denorm_src 0
		.amdhsa_exception_fp_ieee_div_zero 0
		.amdhsa_exception_fp_ieee_overflow 0
		.amdhsa_exception_fp_ieee_underflow 0
		.amdhsa_exception_fp_ieee_inexact 0
		.amdhsa_exception_int_div_zero 0
	.end_amdhsa_kernel
	.section	.text._ZN2at6native12_GLOBAL__N_135GammaBetaBackwardCUDAKernelTemplateIffLj64ELj1ELj32ELb1ELb1ELb1EEEvllPKT_S5_PKT0_S8_PS3_S9_,"axG",@progbits,_ZN2at6native12_GLOBAL__N_135GammaBetaBackwardCUDAKernelTemplateIffLj64ELj1ELj32ELb1ELb1ELb1EEEvllPKT_S5_PKT0_S8_PS3_S9_,comdat
.Lfunc_end142:
	.size	_ZN2at6native12_GLOBAL__N_135GammaBetaBackwardCUDAKernelTemplateIffLj64ELj1ELj32ELb1ELb1ELb1EEEvllPKT_S5_PKT0_S8_PS3_S9_, .Lfunc_end142-_ZN2at6native12_GLOBAL__N_135GammaBetaBackwardCUDAKernelTemplateIffLj64ELj1ELj32ELb1ELb1ELb1EEEvllPKT_S5_PKT0_S8_PS3_S9_
                                        ; -- End function
	.set _ZN2at6native12_GLOBAL__N_135GammaBetaBackwardCUDAKernelTemplateIffLj64ELj1ELj32ELb1ELb1ELb1EEEvllPKT_S5_PKT0_S8_PS3_S9_.num_vgpr, 48
	.set _ZN2at6native12_GLOBAL__N_135GammaBetaBackwardCUDAKernelTemplateIffLj64ELj1ELj32ELb1ELb1ELb1EEEvllPKT_S5_PKT0_S8_PS3_S9_.num_agpr, 0
	.set _ZN2at6native12_GLOBAL__N_135GammaBetaBackwardCUDAKernelTemplateIffLj64ELj1ELj32ELb1ELb1ELb1EEEvllPKT_S5_PKT0_S8_PS3_S9_.numbered_sgpr, 30
	.set _ZN2at6native12_GLOBAL__N_135GammaBetaBackwardCUDAKernelTemplateIffLj64ELj1ELj32ELb1ELb1ELb1EEEvllPKT_S5_PKT0_S8_PS3_S9_.num_named_barrier, 0
	.set _ZN2at6native12_GLOBAL__N_135GammaBetaBackwardCUDAKernelTemplateIffLj64ELj1ELj32ELb1ELb1ELb1EEEvllPKT_S5_PKT0_S8_PS3_S9_.private_seg_size, 0
	.set _ZN2at6native12_GLOBAL__N_135GammaBetaBackwardCUDAKernelTemplateIffLj64ELj1ELj32ELb1ELb1ELb1EEEvllPKT_S5_PKT0_S8_PS3_S9_.uses_vcc, 1
	.set _ZN2at6native12_GLOBAL__N_135GammaBetaBackwardCUDAKernelTemplateIffLj64ELj1ELj32ELb1ELb1ELb1EEEvllPKT_S5_PKT0_S8_PS3_S9_.uses_flat_scratch, 0
	.set _ZN2at6native12_GLOBAL__N_135GammaBetaBackwardCUDAKernelTemplateIffLj64ELj1ELj32ELb1ELb1ELb1EEEvllPKT_S5_PKT0_S8_PS3_S9_.has_dyn_sized_stack, 0
	.set _ZN2at6native12_GLOBAL__N_135GammaBetaBackwardCUDAKernelTemplateIffLj64ELj1ELj32ELb1ELb1ELb1EEEvllPKT_S5_PKT0_S8_PS3_S9_.has_recursion, 0
	.set _ZN2at6native12_GLOBAL__N_135GammaBetaBackwardCUDAKernelTemplateIffLj64ELj1ELj32ELb1ELb1ELb1EEEvllPKT_S5_PKT0_S8_PS3_S9_.has_indirect_call, 0
	.section	.AMDGPU.csdata,"",@progbits
; Kernel info:
; codeLenInByte = 2540
; TotalNumSgprs: 34
; NumVgprs: 48
; ScratchSize: 0
; MemoryBound: 0
; FloatMode: 240
; IeeeMode: 1
; LDSByteSize: 0 bytes/workgroup (compile time only)
; SGPRBlocks: 4
; VGPRBlocks: 11
; NumSGPRsForWavesPerEU: 34
; NumVGPRsForWavesPerEU: 48
; Occupancy: 5
; WaveLimiterHint : 0
; COMPUTE_PGM_RSRC2:SCRATCH_EN: 0
; COMPUTE_PGM_RSRC2:USER_SGPR: 6
; COMPUTE_PGM_RSRC2:TRAP_HANDLER: 0
; COMPUTE_PGM_RSRC2:TGID_X_EN: 1
; COMPUTE_PGM_RSRC2:TGID_Y_EN: 1
; COMPUTE_PGM_RSRC2:TGID_Z_EN: 0
; COMPUTE_PGM_RSRC2:TIDIG_COMP_CNT: 1
	.section	.text._ZN2at6native12_GLOBAL__N_135GammaBetaBackwardCUDAKernelTemplateIffLj64ELj1ELj32ELb1ELb0ELb1EEEvllPKT_S5_PKT0_S8_PS3_S9_,"axG",@progbits,_ZN2at6native12_GLOBAL__N_135GammaBetaBackwardCUDAKernelTemplateIffLj64ELj1ELj32ELb1ELb0ELb1EEEvllPKT_S5_PKT0_S8_PS3_S9_,comdat
	.globl	_ZN2at6native12_GLOBAL__N_135GammaBetaBackwardCUDAKernelTemplateIffLj64ELj1ELj32ELb1ELb0ELb1EEEvllPKT_S5_PKT0_S8_PS3_S9_ ; -- Begin function _ZN2at6native12_GLOBAL__N_135GammaBetaBackwardCUDAKernelTemplateIffLj64ELj1ELj32ELb1ELb0ELb1EEEvllPKT_S5_PKT0_S8_PS3_S9_
	.p2align	8
	.type	_ZN2at6native12_GLOBAL__N_135GammaBetaBackwardCUDAKernelTemplateIffLj64ELj1ELj32ELb1ELb0ELb1EEEvllPKT_S5_PKT0_S8_PS3_S9_,@function
_ZN2at6native12_GLOBAL__N_135GammaBetaBackwardCUDAKernelTemplateIffLj64ELj1ELj32ELb1ELb0ELb1EEEvllPKT_S5_PKT0_S8_PS3_S9_: ; @_ZN2at6native12_GLOBAL__N_135GammaBetaBackwardCUDAKernelTemplateIffLj64ELj1ELj32ELb1ELb0ELb1EEEvllPKT_S5_PKT0_S8_PS3_S9_
; %bb.0:
	s_mov_b64 s[38:39], s[2:3]
	s_mov_b64 s[36:37], s[0:1]
	s_add_u32 s36, s36, s8
	s_mov_b32 s8, s7
	s_load_dwordx8 s[12:19], s[4:5], 0x0
	s_load_dwordx2 s[20:21], s[4:5], 0x28
	s_addc_u32 s37, s37, 0
	s_lshl_b32 s22, s8, 5
	s_lshl_b32 s7, s6, 6
	s_mov_b32 s23, 0
	v_mov_b32_e32 v2, s22
	s_or_b32 s0, s7, 63
	v_mov_b32_e32 v3, s23
	v_mov_b32_e32 v129, s0
	;; [unrolled: 1-line block ×3, first 2 shown]
	s_waitcnt lgkmcnt(0)
	v_cmp_gt_i64_e64 s[0:1], s[12:13], v[2:3]
	v_cmp_le_i64_e32 vcc, s[14:15], v[129:130]
	v_cndmask_b32_e64 v2, 0, 1, s[0:1]
	v_cmp_ne_u32_e64 s[0:1], 1, v2
	s_cbranch_vccz .LBB143_145
; %bb.1:
	s_and_b64 vcc, exec, s[0:1]
	s_cbranch_vccnz .LBB143_146
; %bb.2:
	v_lshlrev_b32_e32 v204, 5, v1
	v_add_co_u32_e32 v8, vcc, s22, v204
	v_addc_co_u32_e64 v9, s[2:3], 0, 0, vcc
	v_mul_lo_u32 v10, s15, v8
	v_mul_lo_u32 v11, s14, v9
	v_mad_u64_u32 v[6:7], s[2:3], s14, v8, 0
	s_load_dword s9, s[4:5], 0x44
	v_add_u32_e32 v2, s7, v0
	v_add3_u32 v7, v7, v11, v10
	v_lshlrev_b64 v[11:12], 2, v[6:7]
	v_mov_b32_e32 v3, 0
	s_add_u32 s24, s4, 64
	v_cmp_gt_i64_e64 s[2:3], s[14:15], v[2:3]
	v_lshlrev_b64 v[4:5], 2, v[2:3]
	v_mov_b32_e32 v10, s17
	v_add_co_u32_e32 v2, vcc, s16, v11
	s_addc_u32 s25, s5, 0
	s_waitcnt lgkmcnt(0)
	s_lshl_b32 s9, s9, 5
	v_addc_co_u32_e32 v10, vcc, v10, v12, vcc
	s_mul_i32 s10, s15, s9
	s_mul_hi_u32 s11, s14, s9
	v_add_co_u32_e32 v13, vcc, 31, v8
	s_add_i32 s11, s11, s10
	s_mul_i32 s10, s14, s9
	v_addc_co_u32_e32 v14, vcc, 0, v9, vcc
	s_lshl_b64 s[26:27], s[10:11], 2
	v_mul_lo_u32 v16, s15, v13
	v_mul_lo_u32 v17, s14, v14
	v_mad_u64_u32 v[13:14], s[10:11], s14, v13, 0
	v_mov_b32_e32 v15, s19
	v_add_co_u32_e32 v11, vcc, s18, v11
	v_add3_u32 v14, v14, v17, v16
	v_addc_co_u32_e32 v12, vcc, v15, v12, vcc
	v_lshlrev_b64 v[15:16], 2, v[13:14]
	v_mov_b32_e32 v14, s17
	v_add_co_u32_e32 v13, vcc, s16, v15
	v_addc_co_u32_e32 v14, vcc, v14, v16, vcc
	v_add_co_u32_e32 v17, vcc, 30, v8
	v_addc_co_u32_e32 v18, vcc, 0, v9, vcc
	v_mul_lo_u32 v20, s15, v17
	v_mul_lo_u32 v21, s14, v18
	v_mad_u64_u32 v[17:18], s[10:11], s14, v17, 0
	v_mov_b32_e32 v19, s19
	v_add_co_u32_e32 v15, vcc, s18, v15
	v_add3_u32 v18, v18, v21, v20
	v_addc_co_u32_e32 v16, vcc, v19, v16, vcc
	v_lshlrev_b64 v[19:20], 2, v[17:18]
	v_mov_b32_e32 v18, s17
	v_add_co_u32_e32 v17, vcc, s16, v19
	v_addc_co_u32_e32 v18, vcc, v18, v20, vcc
	v_add_co_u32_e32 v21, vcc, 29, v8
	v_addc_co_u32_e32 v22, vcc, 0, v9, vcc
	;; [unrolled: 13-line block ×29, first 2 shown]
	v_mul_lo_u32 v130, s15, v8
	v_mul_lo_u32 v131, s14, v9
	v_mad_u64_u32 v[8:9], s[10:11], s14, v8, 0
	v_mov_b32_e32 v129, s19
	v_add_co_u32_e32 v127, vcc, s18, v127
	v_add3_u32 v9, v9, v131, v130
	v_lshlrev_b64 v[8:9], 2, v[8:9]
	v_addc_co_u32_e32 v128, vcc, v129, v128, vcc
	v_mov_b32_e32 v130, s17
	v_add_co_u32_e32 v129, vcc, s16, v8
	v_addc_co_u32_e32 v131, vcc, v130, v9, vcc
	v_mov_b32_e32 v130, s19
	v_add_co_u32_e32 v132, vcc, s18, v8
	;; [unrolled: 3-line block ×3, first 2 shown]
	v_addc_co_u32_e32 v7, vcc, v7, v8, vcc
	v_lshlrev_b64 v[6:7], 2, v[6:7]
	v_mov_b32_e32 v8, s17
	v_add_co_u32_e32 v134, vcc, s16, v6
	v_addc_co_u32_e32 v135, vcc, v8, v7, vcc
	v_add_co_u32_e32 v136, vcc, s18, v6
	v_mbcnt_lo_u32_b32 v6, -1, 0
	v_mbcnt_hi_u32_b32 v6, -1, v6
	v_mov_b32_e32 v8, s19
	v_lshlrev_b32_e32 v6, 2, v6
	v_mov_b32_e32 v203, v3
	s_mov_b64 s[28:29], 31
	v_addc_co_u32_e32 v137, vcc, v8, v7, vcc
	v_and_b32_e32 v138, 0x100, v6
	s_mov_b64 s[30:31], s[22:23]
	v_mov_b32_e32 v139, 0
.LBB143_3:                              ; =>This Inner Loop Header: Depth=1
	s_add_u32 s10, s22, s28
	v_mov_b32_e32 v6, s12
	s_addc_u32 s11, 0, s29
	v_mov_b32_e32 v7, s13
	v_cmp_ge_i64_e32 vcc, s[10:11], v[6:7]
	v_add_co_u32_e64 v6, s[10:11], s22, v204
	v_addc_co_u32_e64 v7, s[10:11], 0, v203, s[10:11]
	s_mov_b64 s[10:11], -1
                                        ; implicit-def: $vgpr130
                                        ; implicit-def: $vgpr181
                                        ; implicit-def: $vgpr8
	s_cbranch_vccz .LBB143_73
; %bb.4:                                ;   in Loop: Header=BB143_3 Depth=1
	s_load_dword s10, s[24:25], 0xc
	v_mov_b32_e32 v130, 0
	v_mov_b32_e32 v140, 0
	s_waitcnt lgkmcnt(0)
	s_and_b32 s10, s10, 0xffff
	v_mad_u32_u24 v8, v1, s10, v0
	v_and_b32_e32 v8, 63, v8
	v_cmp_gt_u32_e32 vcc, 32, v8
	s_and_saveexec_b64 s[10:11], vcc
	s_cbranch_execz .LBB143_8
; %bb.5:                                ;   in Loop: Header=BB143_3 Depth=1
	v_add_co_u32_e32 v8, vcc, v6, v8
	v_addc_co_u32_e32 v9, vcc, 0, v7, vcc
	v_cmp_gt_i64_e32 vcc, s[12:13], v[8:9]
	v_mov_b32_e32 v140, 0
	s_and_saveexec_b64 s[34:35], vcc
	s_cbranch_execz .LBB143_7
; %bb.6:                                ;   in Loop: Header=BB143_3 Depth=1
	v_lshlrev_b64 v[8:9], 2, v[8:9]
	v_mov_b32_e32 v140, s21
	v_add_co_u32_e32 v8, vcc, s20, v8
	v_addc_co_u32_e32 v9, vcc, v140, v9, vcc
	global_load_dword v140, v[8:9], off
.LBB143_7:                              ;   in Loop: Header=BB143_3 Depth=1
	s_or_b64 exec, exec, s[34:35]
.LBB143_8:                              ;   in Loop: Header=BB143_3 Depth=1
	s_or_b64 exec, exec, s[10:11]
	v_cmp_gt_i64_e32 vcc, s[12:13], v[6:7]
	v_mov_b32_e32 v8, 0
	s_and_b64 s[34:35], s[2:3], vcc
	s_and_saveexec_b64 s[10:11], s[34:35]
	s_cbranch_execz .LBB143_10
; %bb.9:                                ;   in Loop: Header=BB143_3 Depth=1
	v_add_co_u32_e32 v8, vcc, v2, v4
	v_addc_co_u32_e32 v9, vcc, v10, v5, vcc
	global_load_dword v130, v[8:9], off
	v_add_co_u32_e32 v8, vcc, v11, v4
	v_addc_co_u32_e32 v9, vcc, v12, v5, vcc
	global_load_dword v8, v[8:9], off
.LBB143_10:                             ;   in Loop: Header=BB143_3 Depth=1
	s_or_b64 exec, exec, s[10:11]
	v_add_co_u32_e32 v141, vcc, 1, v6
	v_addc_co_u32_e32 v142, vcc, 0, v7, vcc
	v_cmp_gt_i64_e32 vcc, s[12:13], v[141:142]
	v_mov_b32_e32 v9, 0
	s_and_b64 s[34:35], s[2:3], vcc
	v_mov_b32_e32 v141, 0
	v_mov_b32_e32 v142, 0
	s_and_saveexec_b64 s[10:11], s[34:35]
	s_cbranch_execz .LBB143_12
; %bb.11:                               ;   in Loop: Header=BB143_3 Depth=1
	v_add_co_u32_e32 v141, vcc, v134, v4
	v_addc_co_u32_e32 v142, vcc, v135, v5, vcc
	global_load_dword v141, v[141:142], off
	v_add_co_u32_e32 v142, vcc, v136, v4
	v_addc_co_u32_e32 v143, vcc, v137, v5, vcc
	global_load_dword v142, v[142:143], off
.LBB143_12:                             ;   in Loop: Header=BB143_3 Depth=1
	s_or_b64 exec, exec, s[10:11]
	v_add_co_u32_e32 v143, vcc, 2, v6
	v_addc_co_u32_e32 v144, vcc, 0, v7, vcc
	v_cmp_gt_i64_e32 vcc, s[12:13], v[143:144]
	v_mov_b32_e32 v143, 0
	s_and_b64 s[34:35], s[2:3], vcc
	s_and_saveexec_b64 s[10:11], s[34:35]
	s_cbranch_execz .LBB143_14
; %bb.13:                               ;   in Loop: Header=BB143_3 Depth=1
	v_add_co_u32_e32 v143, vcc, v129, v4
	v_addc_co_u32_e32 v144, vcc, v131, v5, vcc
	global_load_dword v9, v[143:144], off
	v_add_co_u32_e32 v143, vcc, v132, v4
	v_addc_co_u32_e32 v144, vcc, v133, v5, vcc
	global_load_dword v143, v[143:144], off
.LBB143_14:                             ;   in Loop: Header=BB143_3 Depth=1
	s_or_b64 exec, exec, s[10:11]
	v_add_co_u32_e32 v144, vcc, 3, v6
	v_addc_co_u32_e32 v145, vcc, 0, v7, vcc
	v_cmp_gt_i64_e32 vcc, s[12:13], v[144:145]
	v_mov_b32_e32 v144, 0
	s_and_b64 s[34:35], s[2:3], vcc
	v_mov_b32_e32 v145, 0
	v_mov_b32_e32 v146, 0
	s_and_saveexec_b64 s[10:11], s[34:35]
	s_cbranch_execz .LBB143_16
; %bb.15:                               ;   in Loop: Header=BB143_3 Depth=1
	v_add_co_u32_e32 v145, vcc, v125, v4
	v_addc_co_u32_e32 v146, vcc, v126, v5, vcc
	global_load_dword v145, v[145:146], off
	v_add_co_u32_e32 v146, vcc, v127, v4
	v_addc_co_u32_e32 v147, vcc, v128, v5, vcc
	global_load_dword v146, v[146:147], off
.LBB143_16:                             ;   in Loop: Header=BB143_3 Depth=1
	s_or_b64 exec, exec, s[10:11]
	v_add_co_u32_e32 v147, vcc, 4, v6
	v_addc_co_u32_e32 v148, vcc, 0, v7, vcc
	v_cmp_gt_i64_e32 vcc, s[12:13], v[147:148]
	v_mov_b32_e32 v147, 0
	s_and_b64 s[34:35], s[2:3], vcc
	s_and_saveexec_b64 s[10:11], s[34:35]
	s_cbranch_execz .LBB143_18
; %bb.17:                               ;   in Loop: Header=BB143_3 Depth=1
	v_add_co_u32_e32 v147, vcc, v121, v4
	v_addc_co_u32_e32 v148, vcc, v122, v5, vcc
	global_load_dword v144, v[147:148], off
	v_add_co_u32_e32 v147, vcc, v123, v4
	v_addc_co_u32_e32 v148, vcc, v124, v5, vcc
	global_load_dword v147, v[147:148], off
.LBB143_18:                             ;   in Loop: Header=BB143_3 Depth=1
	;; [unrolled: 34-line block ×10, first 2 shown]
	s_or_b64 exec, exec, s[10:11]
	v_add_co_u32_e32 v180, vcc, 21, v6
	v_addc_co_u32_e32 v181, vcc, 0, v7, vcc
	v_cmp_gt_i64_e32 vcc, s[12:13], v[180:181]
	v_mov_b32_e32 v180, 0
	s_and_b64 s[34:35], s[2:3], vcc
	v_mov_b32_e32 v182, 0
	v_mov_b32_e32 v183, 0
	s_and_saveexec_b64 s[10:11], s[34:35]
	s_cbranch_execz .LBB143_52
; %bb.51:                               ;   in Loop: Header=BB143_3 Depth=1
	v_add_co_u32_e32 v181, vcc, v53, v4
	v_addc_co_u32_e32 v182, vcc, v54, v5, vcc
	v_add_co_u32_e32 v183, vcc, v55, v4
	v_addc_co_u32_e32 v184, vcc, v56, v5, vcc
	global_load_dword v182, v[181:182], off
	s_nop 0
	global_load_dword v183, v[183:184], off
.LBB143_52:                             ;   in Loop: Header=BB143_3 Depth=1
	s_or_b64 exec, exec, s[10:11]
	v_add_co_u32_e32 v184, vcc, 22, v6
	v_addc_co_u32_e32 v185, vcc, 0, v7, vcc
	v_cmp_gt_i64_e32 vcc, s[12:13], v[184:185]
	v_mov_b32_e32 v184, 0
	s_and_b64 s[34:35], s[2:3], vcc
	s_and_saveexec_b64 s[10:11], s[34:35]
	s_cbranch_execz .LBB143_54
; %bb.53:                               ;   in Loop: Header=BB143_3 Depth=1
	v_add_co_u32_e32 v180, vcc, v49, v4
	v_addc_co_u32_e32 v181, vcc, v50, v5, vcc
	v_add_co_u32_e32 v184, vcc, v51, v4
	v_addc_co_u32_e32 v185, vcc, v52, v5, vcc
	global_load_dword v180, v[180:181], off
	s_nop 0
	global_load_dword v184, v[184:185], off
.LBB143_54:                             ;   in Loop: Header=BB143_3 Depth=1
	s_or_b64 exec, exec, s[10:11]
	v_add_co_u32_e32 v185, vcc, 23, v6
	v_addc_co_u32_e32 v186, vcc, 0, v7, vcc
	v_cmp_gt_i64_e32 vcc, s[12:13], v[185:186]
	v_mov_b32_e32 v185, 0
	s_and_b64 s[34:35], s[2:3], vcc
	v_mov_b32_e32 v186, 0
	v_mov_b32_e32 v187, 0
	s_and_saveexec_b64 s[10:11], s[34:35]
	s_cbranch_execz .LBB143_56
; %bb.55:                               ;   in Loop: Header=BB143_3 Depth=1
	v_add_co_u32_e32 v186, vcc, v45, v4
	v_addc_co_u32_e32 v187, vcc, v46, v5, vcc
	global_load_dword v186, v[186:187], off
	v_add_co_u32_e32 v187, vcc, v47, v4
	v_addc_co_u32_e32 v188, vcc, v48, v5, vcc
	global_load_dword v187, v[187:188], off
.LBB143_56:                             ;   in Loop: Header=BB143_3 Depth=1
	s_or_b64 exec, exec, s[10:11]
	v_add_co_u32_e32 v188, vcc, 24, v6
	v_addc_co_u32_e32 v189, vcc, 0, v7, vcc
	v_cmp_gt_i64_e32 vcc, s[12:13], v[188:189]
	v_mov_b32_e32 v188, 0
	s_and_b64 s[34:35], s[2:3], vcc
	s_and_saveexec_b64 s[10:11], s[34:35]
	s_cbranch_execz .LBB143_58
; %bb.57:                               ;   in Loop: Header=BB143_3 Depth=1
	v_add_co_u32_e32 v188, vcc, v41, v4
	v_addc_co_u32_e32 v189, vcc, v42, v5, vcc
	global_load_dword v185, v[188:189], off
	v_add_co_u32_e32 v188, vcc, v43, v4
	v_addc_co_u32_e32 v189, vcc, v44, v5, vcc
	global_load_dword v188, v[188:189], off
.LBB143_58:                             ;   in Loop: Header=BB143_3 Depth=1
	s_or_b64 exec, exec, s[10:11]
	v_add_co_u32_e32 v189, vcc, 25, v6
	v_addc_co_u32_e32 v190, vcc, 0, v7, vcc
	v_cmp_gt_i64_e32 vcc, s[12:13], v[189:190]
	v_mov_b32_e32 v189, 0
	s_and_b64 s[34:35], s[2:3], vcc
	v_mov_b32_e32 v190, 0
	v_mov_b32_e32 v191, 0
	s_and_saveexec_b64 s[10:11], s[34:35]
	s_cbranch_execz .LBB143_60
; %bb.59:                               ;   in Loop: Header=BB143_3 Depth=1
	v_add_co_u32_e32 v190, vcc, v37, v4
	v_addc_co_u32_e32 v191, vcc, v38, v5, vcc
	global_load_dword v190, v[190:191], off
	v_add_co_u32_e32 v191, vcc, v39, v4
	v_addc_co_u32_e32 v192, vcc, v40, v5, vcc
	global_load_dword v191, v[191:192], off
.LBB143_60:                             ;   in Loop: Header=BB143_3 Depth=1
	s_or_b64 exec, exec, s[10:11]
	v_add_co_u32_e32 v192, vcc, 26, v6
	v_addc_co_u32_e32 v193, vcc, 0, v7, vcc
	v_cmp_gt_i64_e32 vcc, s[12:13], v[192:193]
	v_mov_b32_e32 v192, 0
	s_and_b64 s[34:35], s[2:3], vcc
	s_and_saveexec_b64 s[10:11], s[34:35]
	s_cbranch_execz .LBB143_62
; %bb.61:                               ;   in Loop: Header=BB143_3 Depth=1
	v_add_co_u32_e32 v192, vcc, v33, v4
	v_addc_co_u32_e32 v193, vcc, v34, v5, vcc
	global_load_dword v189, v[192:193], off
	v_add_co_u32_e32 v192, vcc, v35, v4
	v_addc_co_u32_e32 v193, vcc, v36, v5, vcc
	global_load_dword v192, v[192:193], off
.LBB143_62:                             ;   in Loop: Header=BB143_3 Depth=1
	;; [unrolled: 34-line block ×4, first 2 shown]
	s_or_b64 exec, exec, s[10:11]
	v_add_co_u32_e32 v201, vcc, 31, v6
	v_addc_co_u32_e32 v202, vcc, 0, v7, vcc
	v_cmp_gt_i64_e32 vcc, s[12:13], v[201:202]
	v_mov_b32_e32 v181, 0
	s_and_b64 s[34:35], s[2:3], vcc
	s_and_saveexec_b64 s[10:11], s[34:35]
	s_cbranch_execz .LBB143_72
; %bb.71:                               ;   in Loop: Header=BB143_3 Depth=1
	v_add_co_u32_e32 v201, vcc, v13, v4
	v_addc_co_u32_e32 v202, vcc, v14, v5, vcc
	global_load_dword v181, v[201:202], off
	v_add_co_u32_e32 v201, vcc, v15, v4
	v_addc_co_u32_e32 v202, vcc, v16, v5, vcc
	global_load_dword v201, v[201:202], off
	s_waitcnt vmcnt(0)
	v_mul_f32_e32 v181, v181, v201
.LBB143_72:                             ;   in Loop: Header=BB143_3 Depth=1
	s_or_b64 exec, exec, s[10:11]
	s_waitcnt vmcnt(0)
	ds_bpermute_b32 v201, v138, v140
	ds_bpermute_b32 v202, v138, v140 offset:4
	v_mul_f32_e32 v141, v141, v142
	ds_bpermute_b32 v142, v138, v140 offset:8
	v_mul_f32_e32 v8, v130, v8
	s_waitcnt lgkmcnt(2)
	v_fma_f32 v130, v8, v201, v139
	s_waitcnt lgkmcnt(1)
	v_fmac_f32_e32 v130, v141, v202
	ds_bpermute_b32 v8, v138, v140 offset:12
	v_mul_f32_e32 v9, v9, v143
	s_waitcnt lgkmcnt(1)
	v_fmac_f32_e32 v130, v9, v142
	ds_bpermute_b32 v9, v138, v140 offset:16
	v_mul_f32_e32 v141, v145, v146
	;; [unrolled: 4-line block ×26, first 2 shown]
	s_waitcnt lgkmcnt(1)
	v_fmac_f32_e32 v130, v141, v8
	v_mul_f32_e32 v8, v193, v196
	ds_bpermute_b32 v141, v138, v140 offset:116
	s_waitcnt lgkmcnt(1)
	v_fmac_f32_e32 v130, v8, v9
	ds_bpermute_b32 v9, v138, v140 offset:120
	ds_bpermute_b32 v8, v138, v140 offset:124
	v_mul_f32_e32 v142, v198, v199
	s_waitcnt lgkmcnt(2)
	v_fmac_f32_e32 v130, v142, v141
	v_mul_f32_e32 v140, v197, v200
	s_waitcnt lgkmcnt(1)
	v_fmac_f32_e32 v130, v140, v9
	s_mov_b64 s[10:11], 0
.LBB143_73:                             ;   in Loop: Header=BB143_3 Depth=1
	s_and_b64 vcc, exec, s[10:11]
	s_cbranch_vccz .LBB143_143
; %bb.74:                               ;   in Loop: Header=BB143_3 Depth=1
	s_load_dword s10, s[24:25], 0x0
	v_mov_b32_e32 v9, 0
	s_waitcnt lgkmcnt(0)
	s_cmp_lt_u32 s6, s10
	s_cselect_b32 s10, 12, 18
	s_add_u32 s10, s24, s10
	s_addc_u32 s11, s25, 0
	global_load_ushort v8, v3, s[10:11]
	s_waitcnt vmcnt(0)
	v_mad_u32_u24 v8, v1, v8, v0
	v_and_b32_e32 v130, 63, v8
	v_cmp_gt_u32_e32 vcc, 32, v130
	v_mov_b32_e32 v8, 0
	s_and_saveexec_b64 s[10:11], vcc
	s_cbranch_execz .LBB143_78
; %bb.75:                               ;   in Loop: Header=BB143_3 Depth=1
	v_add_co_u32_e32 v6, vcc, v6, v130
	v_addc_co_u32_e32 v7, vcc, 0, v7, vcc
	v_cmp_gt_i64_e32 vcc, s[12:13], v[6:7]
	v_mov_b32_e32 v8, 0
	s_and_saveexec_b64 s[34:35], vcc
	s_cbranch_execz .LBB143_77
; %bb.76:                               ;   in Loop: Header=BB143_3 Depth=1
	v_lshlrev_b64 v[6:7], 2, v[6:7]
	v_mov_b32_e32 v8, s21
	v_add_co_u32_e32 v6, vcc, s20, v6
	v_addc_co_u32_e32 v7, vcc, v8, v7, vcc
	global_load_dword v8, v[6:7], off
.LBB143_77:                             ;   in Loop: Header=BB143_3 Depth=1
	s_or_b64 exec, exec, s[34:35]
.LBB143_78:                             ;   in Loop: Header=BB143_3 Depth=1
	s_or_b64 exec, exec, s[10:11]
	v_mov_b32_e32 v6, 0
	v_mov_b32_e32 v7, 0
	s_and_saveexec_b64 s[10:11], s[2:3]
	s_cbranch_execz .LBB143_80
; %bb.79:                               ;   in Loop: Header=BB143_3 Depth=1
	v_add_co_u32_e32 v6, vcc, v2, v4
	v_addc_co_u32_e32 v7, vcc, v10, v5, vcc
	v_add_co_u32_e32 v140, vcc, v11, v4
	v_addc_co_u32_e32 v141, vcc, v12, v5, vcc
	global_load_dword v6, v[6:7], off
	s_nop 0
	global_load_dword v7, v[140:141], off
.LBB143_80:                             ;   in Loop: Header=BB143_3 Depth=1
	s_or_b64 exec, exec, s[10:11]
	v_mov_b32_e32 v130, 0
	s_and_saveexec_b64 s[10:11], s[2:3]
	s_cbranch_execz .LBB143_82
; %bb.81:                               ;   in Loop: Header=BB143_3 Depth=1
	v_add_co_u32_e32 v140, vcc, v134, v4
	v_addc_co_u32_e32 v141, vcc, v135, v5, vcc
	global_load_dword v9, v[140:141], off
	v_add_co_u32_e32 v140, vcc, v136, v4
	v_addc_co_u32_e32 v141, vcc, v137, v5, vcc
	global_load_dword v130, v[140:141], off
.LBB143_82:                             ;   in Loop: Header=BB143_3 Depth=1
	s_or_b64 exec, exec, s[10:11]
	v_mov_b32_e32 v140, 0
	v_mov_b32_e32 v141, 0
	v_mov_b32_e32 v142, 0
	s_and_saveexec_b64 s[10:11], s[2:3]
	s_cbranch_execz .LBB143_84
; %bb.83:                               ;   in Loop: Header=BB143_3 Depth=1
	v_add_co_u32_e32 v141, vcc, v129, v4
	v_addc_co_u32_e32 v142, vcc, v131, v5, vcc
	global_load_dword v141, v[141:142], off
	v_add_co_u32_e32 v142, vcc, v132, v4
	v_addc_co_u32_e32 v143, vcc, v133, v5, vcc
	global_load_dword v142, v[142:143], off
.LBB143_84:                             ;   in Loop: Header=BB143_3 Depth=1
	s_or_b64 exec, exec, s[10:11]
	v_mov_b32_e32 v143, 0
	s_and_saveexec_b64 s[10:11], s[2:3]
	s_cbranch_execz .LBB143_86
; %bb.85:                               ;   in Loop: Header=BB143_3 Depth=1
	v_add_co_u32_e32 v143, vcc, v125, v4
	v_addc_co_u32_e32 v144, vcc, v126, v5, vcc
	global_load_dword v140, v[143:144], off
	v_add_co_u32_e32 v143, vcc, v127, v4
	v_addc_co_u32_e32 v144, vcc, v128, v5, vcc
	global_load_dword v143, v[143:144], off
.LBB143_86:                             ;   in Loop: Header=BB143_3 Depth=1
	s_or_b64 exec, exec, s[10:11]
	v_mov_b32_e32 v144, 0
	v_mov_b32_e32 v145, 0
	v_mov_b32_e32 v146, 0
	s_and_saveexec_b64 s[10:11], s[2:3]
	s_cbranch_execz .LBB143_88
; %bb.87:                               ;   in Loop: Header=BB143_3 Depth=1
	v_add_co_u32_e32 v145, vcc, v121, v4
	v_addc_co_u32_e32 v146, vcc, v122, v5, vcc
	global_load_dword v145, v[145:146], off
	v_add_co_u32_e32 v146, vcc, v123, v4
	v_addc_co_u32_e32 v147, vcc, v124, v5, vcc
	global_load_dword v146, v[146:147], off
.LBB143_88:                             ;   in Loop: Header=BB143_3 Depth=1
	;; [unrolled: 26-line block ×4, first 2 shown]
	s_or_b64 exec, exec, s[10:11]
	v_mov_b32_e32 v155, 0
	s_and_saveexec_b64 s[10:11], s[2:3]
	s_cbranch_execz .LBB143_98
; %bb.97:                               ;   in Loop: Header=BB143_3 Depth=1
	v_add_co_u32_e32 v155, vcc, v101, v4
	v_addc_co_u32_e32 v156, vcc, v102, v5, vcc
	global_load_dword v152, v[155:156], off
	v_add_co_u32_e32 v155, vcc, v103, v4
	v_addc_co_u32_e32 v156, vcc, v104, v5, vcc
	global_load_dword v155, v[155:156], off
.LBB143_98:                             ;   in Loop: Header=BB143_3 Depth=1
	s_or_b64 exec, exec, s[10:11]
	v_mov_b32_e32 v156, 0
	v_mov_b32_e32 v157, 0
	;; [unrolled: 1-line block ×3, first 2 shown]
	s_and_saveexec_b64 s[10:11], s[2:3]
	s_cbranch_execz .LBB143_100
; %bb.99:                               ;   in Loop: Header=BB143_3 Depth=1
	v_add_co_u32_e32 v157, vcc, v97, v4
	v_addc_co_u32_e32 v158, vcc, v98, v5, vcc
	global_load_dword v157, v[157:158], off
	v_add_co_u32_e32 v158, vcc, v99, v4
	v_addc_co_u32_e32 v159, vcc, v100, v5, vcc
	global_load_dword v158, v[158:159], off
.LBB143_100:                            ;   in Loop: Header=BB143_3 Depth=1
	s_or_b64 exec, exec, s[10:11]
	v_mov_b32_e32 v159, 0
	s_and_saveexec_b64 s[10:11], s[2:3]
	s_cbranch_execz .LBB143_102
; %bb.101:                              ;   in Loop: Header=BB143_3 Depth=1
	v_add_co_u32_e32 v159, vcc, v93, v4
	v_addc_co_u32_e32 v160, vcc, v94, v5, vcc
	global_load_dword v156, v[159:160], off
	v_add_co_u32_e32 v159, vcc, v95, v4
	v_addc_co_u32_e32 v160, vcc, v96, v5, vcc
	global_load_dword v159, v[159:160], off
.LBB143_102:                            ;   in Loop: Header=BB143_3 Depth=1
	s_or_b64 exec, exec, s[10:11]
	v_mov_b32_e32 v160, 0
	v_mov_b32_e32 v161, 0
	v_mov_b32_e32 v162, 0
	s_and_saveexec_b64 s[10:11], s[2:3]
	s_cbranch_execz .LBB143_104
; %bb.103:                              ;   in Loop: Header=BB143_3 Depth=1
	v_add_co_u32_e32 v161, vcc, v89, v4
	v_addc_co_u32_e32 v162, vcc, v90, v5, vcc
	global_load_dword v161, v[161:162], off
	v_add_co_u32_e32 v162, vcc, v91, v4
	v_addc_co_u32_e32 v163, vcc, v92, v5, vcc
	global_load_dword v162, v[162:163], off
.LBB143_104:                            ;   in Loop: Header=BB143_3 Depth=1
	s_or_b64 exec, exec, s[10:11]
	v_mov_b32_e32 v163, 0
	s_and_saveexec_b64 s[10:11], s[2:3]
	s_cbranch_execz .LBB143_106
; %bb.105:                              ;   in Loop: Header=BB143_3 Depth=1
	v_add_co_u32_e32 v163, vcc, v85, v4
	v_addc_co_u32_e32 v164, vcc, v86, v5, vcc
	global_load_dword v160, v[163:164], off
	v_add_co_u32_e32 v163, vcc, v87, v4
	v_addc_co_u32_e32 v164, vcc, v88, v5, vcc
	global_load_dword v163, v[163:164], off
.LBB143_106:                            ;   in Loop: Header=BB143_3 Depth=1
	s_or_b64 exec, exec, s[10:11]
	v_mov_b32_e32 v164, 0
	v_mov_b32_e32 v165, 0
	v_mov_b32_e32 v166, 0
	s_and_saveexec_b64 s[10:11], s[2:3]
	s_cbranch_execz .LBB143_108
; %bb.107:                              ;   in Loop: Header=BB143_3 Depth=1
	v_add_co_u32_e32 v165, vcc, v81, v4
	v_addc_co_u32_e32 v166, vcc, v82, v5, vcc
	global_load_dword v165, v[165:166], off
	v_add_co_u32_e32 v166, vcc, v83, v4
	v_addc_co_u32_e32 v167, vcc, v84, v5, vcc
	global_load_dword v166, v[166:167], off
.LBB143_108:                            ;   in Loop: Header=BB143_3 Depth=1
	;; [unrolled: 26-line block ×5, first 2 shown]
	s_or_b64 exec, exec, s[10:11]
	v_mov_b32_e32 v179, 0
	s_and_saveexec_b64 s[10:11], s[2:3]
	s_cbranch_execz .LBB143_122
; %bb.121:                              ;   in Loop: Header=BB143_3 Depth=1
	v_add_co_u32_e32 v179, vcc, v53, v4
	v_addc_co_u32_e32 v180, vcc, v54, v5, vcc
	global_load_dword v176, v[179:180], off
	v_add_co_u32_e32 v179, vcc, v55, v4
	v_addc_co_u32_e32 v180, vcc, v56, v5, vcc
	global_load_dword v179, v[179:180], off
.LBB143_122:                            ;   in Loop: Header=BB143_3 Depth=1
	s_or_b64 exec, exec, s[10:11]
	v_mov_b32_e32 v180, 0
	v_mov_b32_e32 v182, 0
	;; [unrolled: 1-line block ×3, first 2 shown]
	s_and_saveexec_b64 s[10:11], s[2:3]
	s_cbranch_execz .LBB143_124
; %bb.123:                              ;   in Loop: Header=BB143_3 Depth=1
	v_add_co_u32_e32 v181, vcc, v49, v4
	v_addc_co_u32_e32 v182, vcc, v50, v5, vcc
	v_add_co_u32_e32 v183, vcc, v51, v4
	v_addc_co_u32_e32 v184, vcc, v52, v5, vcc
	global_load_dword v182, v[181:182], off
	s_nop 0
	global_load_dword v183, v[183:184], off
.LBB143_124:                            ;   in Loop: Header=BB143_3 Depth=1
	s_or_b64 exec, exec, s[10:11]
	v_mov_b32_e32 v184, 0
	s_and_saveexec_b64 s[10:11], s[2:3]
	s_cbranch_execz .LBB143_126
; %bb.125:                              ;   in Loop: Header=BB143_3 Depth=1
	v_add_co_u32_e32 v180, vcc, v45, v4
	v_addc_co_u32_e32 v181, vcc, v46, v5, vcc
	v_add_co_u32_e32 v184, vcc, v47, v4
	v_addc_co_u32_e32 v185, vcc, v48, v5, vcc
	global_load_dword v180, v[180:181], off
	s_nop 0
	global_load_dword v184, v[184:185], off
.LBB143_126:                            ;   in Loop: Header=BB143_3 Depth=1
	s_or_b64 exec, exec, s[10:11]
	v_mov_b32_e32 v185, 0
	v_mov_b32_e32 v186, 0
	v_mov_b32_e32 v187, 0
	s_and_saveexec_b64 s[10:11], s[2:3]
	s_cbranch_execz .LBB143_128
; %bb.127:                              ;   in Loop: Header=BB143_3 Depth=1
	v_add_co_u32_e32 v186, vcc, v41, v4
	v_addc_co_u32_e32 v187, vcc, v42, v5, vcc
	global_load_dword v186, v[186:187], off
	v_add_co_u32_e32 v187, vcc, v43, v4
	v_addc_co_u32_e32 v188, vcc, v44, v5, vcc
	global_load_dword v187, v[187:188], off
.LBB143_128:                            ;   in Loop: Header=BB143_3 Depth=1
	s_or_b64 exec, exec, s[10:11]
	v_mov_b32_e32 v188, 0
	s_and_saveexec_b64 s[10:11], s[2:3]
	s_cbranch_execz .LBB143_130
; %bb.129:                              ;   in Loop: Header=BB143_3 Depth=1
	v_add_co_u32_e32 v188, vcc, v37, v4
	v_addc_co_u32_e32 v189, vcc, v38, v5, vcc
	global_load_dword v185, v[188:189], off
	v_add_co_u32_e32 v188, vcc, v39, v4
	v_addc_co_u32_e32 v189, vcc, v40, v5, vcc
	global_load_dword v188, v[188:189], off
.LBB143_130:                            ;   in Loop: Header=BB143_3 Depth=1
	s_or_b64 exec, exec, s[10:11]
	v_mov_b32_e32 v189, 0
	v_mov_b32_e32 v190, 0
	v_mov_b32_e32 v191, 0
	s_and_saveexec_b64 s[10:11], s[2:3]
	s_cbranch_execz .LBB143_132
; %bb.131:                              ;   in Loop: Header=BB143_3 Depth=1
	v_add_co_u32_e32 v190, vcc, v33, v4
	v_addc_co_u32_e32 v191, vcc, v34, v5, vcc
	global_load_dword v190, v[190:191], off
	v_add_co_u32_e32 v191, vcc, v35, v4
	v_addc_co_u32_e32 v192, vcc, v36, v5, vcc
	global_load_dword v191, v[191:192], off
.LBB143_132:                            ;   in Loop: Header=BB143_3 Depth=1
	s_or_b64 exec, exec, s[10:11]
	v_mov_b32_e32 v192, 0
	s_and_saveexec_b64 s[10:11], s[2:3]
	s_cbranch_execz .LBB143_134
; %bb.133:                              ;   in Loop: Header=BB143_3 Depth=1
	v_add_co_u32_e32 v192, vcc, v29, v4
	v_addc_co_u32_e32 v193, vcc, v30, v5, vcc
	global_load_dword v189, v[192:193], off
	v_add_co_u32_e32 v192, vcc, v31, v4
	v_addc_co_u32_e32 v193, vcc, v32, v5, vcc
	global_load_dword v192, v[192:193], off
.LBB143_134:                            ;   in Loop: Header=BB143_3 Depth=1
	;; [unrolled: 26-line block ×3, first 2 shown]
	s_or_b64 exec, exec, s[10:11]
	v_mov_b32_e32 v181, 0
	v_mov_b32_e32 v197, 0
	;; [unrolled: 1-line block ×3, first 2 shown]
	s_and_saveexec_b64 s[10:11], s[2:3]
	s_cbranch_execz .LBB143_140
; %bb.139:                              ;   in Loop: Header=BB143_3 Depth=1
	v_add_co_u32_e32 v197, vcc, v17, v4
	v_addc_co_u32_e32 v198, vcc, v18, v5, vcc
	global_load_dword v197, v[197:198], off
	v_add_co_u32_e32 v198, vcc, v19, v4
	v_addc_co_u32_e32 v199, vcc, v20, v5, vcc
	global_load_dword v198, v[198:199], off
.LBB143_140:                            ;   in Loop: Header=BB143_3 Depth=1
	s_or_b64 exec, exec, s[10:11]
	s_and_saveexec_b64 s[10:11], s[2:3]
	s_cbranch_execz .LBB143_142
; %bb.141:                              ;   in Loop: Header=BB143_3 Depth=1
	v_add_co_u32_e32 v199, vcc, v13, v4
	v_addc_co_u32_e32 v200, vcc, v14, v5, vcc
	global_load_dword v181, v[199:200], off
	v_add_co_u32_e32 v199, vcc, v15, v4
	v_addc_co_u32_e32 v200, vcc, v16, v5, vcc
	global_load_dword v199, v[199:200], off
	s_waitcnt vmcnt(0)
	v_mul_f32_e32 v181, v181, v199
.LBB143_142:                            ;   in Loop: Header=BB143_3 Depth=1
	s_or_b64 exec, exec, s[10:11]
	s_waitcnt vmcnt(0)
	ds_bpermute_b32 v199, v138, v8
	ds_bpermute_b32 v200, v138, v8 offset:4
	v_mul_f32_e32 v6, v6, v7
	v_mul_f32_e32 v7, v9, v130
	ds_bpermute_b32 v9, v138, v8 offset:8
	s_waitcnt lgkmcnt(2)
	v_fmac_f32_e32 v139, v6, v199
	s_waitcnt lgkmcnt(1)
	v_fmac_f32_e32 v139, v7, v200
	ds_bpermute_b32 v6, v138, v8 offset:12
	v_mul_f32_e32 v7, v141, v142
	s_waitcnt lgkmcnt(1)
	v_fmac_f32_e32 v139, v7, v9
	ds_bpermute_b32 v7, v138, v8 offset:16
	v_mul_f32_e32 v9, v140, v143
	;; [unrolled: 4-line block ×26, first 2 shown]
	s_waitcnt lgkmcnt(1)
	v_fmac_f32_e32 v139, v9, v6
	v_mul_f32_e32 v6, v194, v195
	ds_bpermute_b32 v9, v138, v8 offset:116
	s_waitcnt lgkmcnt(1)
	v_fmac_f32_e32 v139, v6, v7
	ds_bpermute_b32 v6, v138, v8 offset:120
	ds_bpermute_b32 v8, v138, v8 offset:124
	v_mul_f32_e32 v7, v193, v196
	s_waitcnt lgkmcnt(2)
	v_fmac_f32_e32 v139, v7, v9
	v_mul_f32_e32 v7, v197, v198
	s_waitcnt lgkmcnt(1)
	v_fmac_f32_e32 v139, v7, v6
	v_mov_b32_e32 v130, v139
.LBB143_143:                            ;   in Loop: Header=BB143_3 Depth=1
	v_mov_b32_e32 v6, s27
	v_add_co_u32_e32 v2, vcc, s26, v2
	v_addc_co_u32_e32 v10, vcc, v10, v6, vcc
	v_add_co_u32_e32 v11, vcc, s26, v11
	v_addc_co_u32_e32 v12, vcc, v12, v6, vcc
	;; [unrolled: 2-line block ×64, first 2 shown]
	s_add_u32 s30, s30, s9
	v_add_co_u32_e32 v204, vcc, s9, v204
	v_mov_b32_e32 v6, s12
	s_addc_u32 s31, s31, 0
	v_addc_co_u32_e32 v203, vcc, 0, v203, vcc
	v_mov_b32_e32 v7, s13
	v_cmp_lt_i64_e32 vcc, s[30:31], v[6:7]
	s_add_u32 s28, s28, s9
	s_waitcnt lgkmcnt(0)
	v_fmac_f32_e32 v130, v181, v8
	s_addc_u32 s29, 0, s29
	s_cbranch_vccz .LBB143_146
; %bb.144:                              ;   in Loop: Header=BB143_3 Depth=1
	v_mov_b32_e32 v139, v130
	s_branch .LBB143_3
.LBB143_145:
                                        ; implicit-def: $vgpr130
	s_load_dwordx2 s[2:3], s[4:5], 0x30
	s_branch .LBB143_147
.LBB143_146:
	s_load_dwordx2 s[2:3], s[4:5], 0x30
	s_cbranch_execnz .LBB143_228
.LBB143_147:
	s_and_b64 vcc, exec, s[0:1]
	v_mov_b32_e32 v130, 0
	s_cbranch_vccnz .LBB143_228
; %bb.148:
	v_mov_b32_e32 v4, 0
	v_mov_b32_e32 v2, v4
	v_lshlrev_b32_e32 v135, 5, v1
	s_load_dword s0, s[4:5], 0x44
	buffer_store_dword v1, off, s[36:39], 0 offset:292 ; 4-byte Folded Spill
	s_nop 0
	buffer_store_dword v2, off, s[36:39], 0 offset:296 ; 4-byte Folded Spill
	s_add_u32 s10, s4, 64
	v_add_co_u32_e32 v167, vcc, s22, v135
	v_add_u32_e32 v3, s7, v0
	s_addc_u32 s11, s5, 0
	s_waitcnt lgkmcnt(0)
	s_lshl_b32 s7, s0, 5
	v_addc_co_u32_e64 v166, s[0:1], 0, 0, vcc
	v_mov_b32_e32 v136, v4
	v_lshlrev_b64 v[4:5], 2, v[3:4]
	v_mul_lo_u32 v2, s15, v167
	v_mul_lo_u32 v3, s14, v166
	v_mad_u64_u32 v[130:131], s[0:1], s14, v167, 0
	v_mov_b32_e32 v6, s17
	s_mul_i32 s0, s15, s7
	v_add3_u32 v131, v131, v3, v2
	v_lshlrev_b64 v[2:3], 2, v[130:131]
	s_mul_hi_u32 s1, s14, s7
	v_add_co_u32_e32 v205, vcc, s16, v2
	v_addc_co_u32_e32 v207, vcc, v6, v3, vcc
	v_add_co_u32_e32 v208, vcc, s18, v2
	v_mov_b32_e32 v2, s19
	v_addc_co_u32_e32 v209, vcc, v2, v3, vcc
	s_add_i32 s1, s1, s0
	s_mul_i32 s0, s14, s7
	s_lshl_b64 s[24:25], s[0:1], 2
	s_lshl_b64 s[0:1], s[22:23], 2
	s_mov_b64 s[26:27], 31
	v_mov_b32_e32 v2, v1
	buffer_store_dword v2, off, s[36:39], 0 offset:284 ; 4-byte Folded Spill
	s_nop 0
	buffer_store_dword v3, off, s[36:39], 0 offset:288 ; 4-byte Folded Spill
	v_lshlrev_b32_e32 v2, 7, v1
	v_add_co_u32_e32 v66, vcc, s0, v2
	v_mov_b32_e32 v2, s1
	v_addc_co_u32_e32 v67, vcc, 0, v2, vcc
	v_add_co_u32_e32 v68, vcc, 4, v66
	v_addc_co_u32_e32 v8, vcc, 0, v67, vcc
	v_add_co_u32_e32 v72, vcc, 8, v66
	v_addc_co_u32_e32 v10, vcc, 0, v67, vcc
	v_add_co_u32_e32 v75, vcc, 12, v66
	v_addc_co_u32_e32 v12, vcc, 0, v67, vcc
	v_add_co_u32_e32 v78, vcc, 16, v66
	v_addc_co_u32_e32 v14, vcc, 0, v67, vcc
	v_add_co_u32_e32 v81, vcc, 20, v66
	v_addc_co_u32_e32 v16, vcc, 0, v67, vcc
	v_add_co_u32_e32 v84, vcc, 24, v66
	v_addc_co_u32_e32 v18, vcc, 0, v67, vcc
	v_add_co_u32_e32 v87, vcc, 28, v66
	v_addc_co_u32_e32 v20, vcc, 0, v67, vcc
	v_add_co_u32_e32 v90, vcc, 32, v66
	v_addc_co_u32_e32 v22, vcc, 0, v67, vcc
	v_add_co_u32_e32 v93, vcc, 36, v66
	v_addc_co_u32_e32 v24, vcc, 0, v67, vcc
	v_add_co_u32_e32 v96, vcc, 40, v66
	v_addc_co_u32_e32 v26, vcc, 0, v67, vcc
	v_add_co_u32_e32 v99, vcc, 44, v66
	v_addc_co_u32_e32 v28, vcc, 0, v67, vcc
	v_add_co_u32_e32 v102, vcc, 48, v66
	v_addc_co_u32_e32 v30, vcc, 0, v67, vcc
	v_add_co_u32_e32 v105, vcc, 52, v66
	v_addc_co_u32_e32 v32, vcc, 0, v67, vcc
	v_add_co_u32_e32 v108, vcc, 56, v66
	v_addc_co_u32_e32 v34, vcc, 0, v67, vcc
	v_add_co_u32_e32 v111, vcc, 60, v66
	v_mov_b32_e32 v2, s16
	v_addc_co_u32_e32 v36, vcc, 0, v67, vcc
	v_mov_b32_e32 v3, s17
	v_add_co_u32_e32 v114, vcc, 64, v66
	v_mad_u64_u32 v[6:7], s[0:1], s14, v68, v[2:3]
	v_mul_lo_u32 v70, s14, v8
	v_mad_u64_u32 v[8:9], s[0:1], s14, v72, v[2:3]
	v_mul_lo_u32 v73, s14, v10
	;; [unrolled: 2-line block ×15, first 2 shown]
	v_mad_u64_u32 v[36:37], s[0:1], s14, v114, v[2:3]
	v_addc_co_u32_e32 v38, vcc, 0, v67, vcc
	s_movk_i32 s0, 0x44
	v_add_co_u32_e32 v117, vcc, s0, v66
	v_mul_lo_u32 v115, s14, v38
	v_mad_u64_u32 v[38:39], s[0:1], s14, v117, v[2:3]
	v_addc_co_u32_e32 v40, vcc, 0, v67, vcc
	s_movk_i32 s0, 0x48
	v_add_co_u32_e32 v120, vcc, s0, v66
	v_mul_lo_u32 v118, s14, v40
	;; [unrolled: 5-line block ×15, first 2 shown]
	v_addc_co_u32_e32 v69, vcc, 0, v67, vcc
	v_mad_u64_u32 v[66:67], s[0:1], s14, v163, v[2:3]
	v_mov_b32_e32 v2, s18
	v_mov_b32_e32 v3, s19
	v_mul_lo_u32 v71, s15, v68
	v_mul_lo_u32 v164, s14, v69
	v_mad_u64_u32 v[68:69], s[0:1], s14, v68, v[2:3]
	v_add3_u32 v7, v71, v7, v70
	v_mul_lo_u32 v74, s15, v72
	v_add3_u32 v69, v71, v69, v70
	v_mad_u64_u32 v[70:71], s[0:1], s14, v72, v[2:3]
	v_add3_u32 v9, v74, v9, v73
	v_mul_lo_u32 v77, s15, v75
	v_add3_u32 v71, v74, v71, v73
	v_mad_u64_u32 v[72:73], s[0:1], s14, v75, v[2:3]
	v_mul_lo_u32 v80, s15, v78
	v_mad_u64_u32 v[74:75], s[0:1], s14, v78, v[2:3]
	v_add3_u32 v11, v77, v11, v76
	v_mul_lo_u32 v83, s15, v81
	v_add3_u32 v73, v77, v73, v76
	v_mad_u64_u32 v[76:77], s[0:1], s14, v81, v[2:3]
	v_add3_u32 v13, v80, v13, v79
	v_mul_lo_u32 v86, s15, v84
	v_add3_u32 v75, v80, v75, v79
	v_mad_u64_u32 v[78:79], s[0:1], s14, v84, v[2:3]
	v_add3_u32 v15, v83, v15, v82
	v_mul_lo_u32 v89, s15, v87
	v_mul_lo_u32 v92, s15, v90
	v_add3_u32 v77, v83, v77, v82
	v_mad_u64_u32 v[80:81], s[0:1], s14, v87, v[2:3]
	v_mad_u64_u32 v[82:83], s[0:1], s14, v90, v[2:3]
	v_add3_u32 v17, v86, v17, v85
	v_mul_lo_u32 v95, s15, v93
	v_add3_u32 v79, v86, v79, v85
	v_mad_u64_u32 v[84:85], s[0:1], s14, v93, v[2:3]
	v_add3_u32 v19, v89, v19, v88
	v_add3_u32 v21, v92, v21, v91
	v_mul_lo_u32 v98, s15, v96
	v_mul_lo_u32 v101, s15, v99
	;; [unrolled: 1-line block ×4, first 2 shown]
	v_add3_u32 v81, v89, v81, v88
	v_add3_u32 v83, v92, v83, v91
	v_mad_u64_u32 v[86:87], s[0:1], s14, v96, v[2:3]
	v_mad_u64_u32 v[88:89], s[0:1], s14, v99, v[2:3]
	;; [unrolled: 1-line block ×4, first 2 shown]
	v_add3_u32 v23, v95, v23, v94
	v_mul_lo_u32 v110, s15, v108
	v_add3_u32 v85, v95, v85, v94
	v_mad_u64_u32 v[94:95], s[0:1], s14, v108, v[2:3]
	v_add3_u32 v25, v98, v25, v97
	v_add3_u32 v27, v101, v27, v100
	;; [unrolled: 1-line block ×4, first 2 shown]
	v_mul_lo_u32 v113, s15, v111
	v_mul_lo_u32 v116, s15, v114
	;; [unrolled: 1-line block ×6, first 2 shown]
	v_add3_u32 v87, v98, v87, v97
	v_add3_u32 v89, v101, v89, v100
	;; [unrolled: 1-line block ×4, first 2 shown]
	v_mad_u64_u32 v[96:97], s[0:1], s14, v111, v[2:3]
	v_mad_u64_u32 v[98:99], s[0:1], s14, v114, v[2:3]
	v_mad_u64_u32 v[100:101], s[0:1], s14, v117, v[2:3]
	v_mad_u64_u32 v[102:103], s[0:1], s14, v120, v[2:3]
	v_mad_u64_u32 v[104:105], s[0:1], s14, v123, v[2:3]
	v_mad_u64_u32 v[106:107], s[0:1], s14, v126, v[2:3]
	v_add3_u32 v33, v110, v33, v109
	v_mul_lo_u32 v133, s15, v129
	v_add3_u32 v95, v110, v95, v109
	v_mad_u64_u32 v[108:109], s[0:1], s14, v129, v[2:3]
	v_add3_u32 v35, v113, v35, v112
	v_add3_u32 v37, v116, v37, v115
	;; [unrolled: 1-line block ×12, first 2 shown]
	v_mad_u64_u32 v[110:111], s[0:1], s14, v134, v[2:3]
	v_mad_u64_u32 v[112:113], s[0:1], s14, v139, v[2:3]
	v_mad_u64_u32 v[114:115], s[0:1], s14, v142, v[2:3]
	v_mad_u64_u32 v[116:117], s[0:1], s14, v145, v[2:3]
	v_mad_u64_u32 v[118:119], s[0:1], s14, v148, v[2:3]
	v_mad_u64_u32 v[120:121], s[0:1], s14, v151, v[2:3]
	v_mad_u64_u32 v[122:123], s[0:1], s14, v154, v[2:3]
	v_mad_u64_u32 v[124:125], s[0:1], s14, v157, v[2:3]
	v_mad_u64_u32 v[126:127], s[0:1], s14, v160, v[2:3]
	v_mad_u64_u32 v[128:129], s[0:1], s14, v163, v[2:3]
	v_add_co_u32_e32 v2, vcc, 31, v167
	v_addc_co_u32_e32 v3, vcc, 0, v166, vcc
	v_add3_u32 v47, v133, v47, v132
	v_add3_u32 v109, v133, v109, v132
	v_mul_lo_u32 v132, s15, v2
	v_mul_lo_u32 v133, s14, v3
	v_mad_u64_u32 v[2:3], s[0:1], s14, v2, 0
	v_mul_lo_u32 v141, s15, v139
	v_mul_lo_u32 v138, s15, v134
	v_add3_u32 v3, v3, v133, v132
	v_lshlrev_b64 v[2:3], 2, v[2:3]
	v_mov_b32_e32 v132, s17
	v_add_co_u32_e32 v210, vcc, s16, v2
	v_addc_co_u32_e32 v211, vcc, v132, v3, vcc
	v_add_co_u32_e32 v212, vcc, s18, v2
	v_mov_b32_e32 v2, s19
	v_addc_co_u32_e32 v213, vcc, v2, v3, vcc
	v_add_co_u32_e32 v2, vcc, 30, v167
	v_addc_co_u32_e32 v3, vcc, 0, v166, vcc
	v_mul_lo_u32 v132, s15, v2
	v_mul_lo_u32 v133, s14, v3
	v_mad_u64_u32 v[2:3], s[0:1], s14, v2, 0
	v_add3_u32 v51, v141, v51, v140
	v_add3_u32 v113, v141, v113, v140
	;; [unrolled: 1-line block ×3, first 2 shown]
	v_lshlrev_b64 v[2:3], 2, v[2:3]
	v_mov_b32_e32 v132, s17
	v_add_co_u32_e32 v214, vcc, s16, v2
	v_addc_co_u32_e32 v215, vcc, v132, v3, vcc
	v_add_co_u32_e32 v216, vcc, s18, v2
	v_mov_b32_e32 v2, s19
	v_addc_co_u32_e32 v217, vcc, v2, v3, vcc
	v_add_co_u32_e32 v2, vcc, 29, v167
	v_addc_co_u32_e32 v3, vcc, 0, v166, vcc
	v_mul_lo_u32 v132, s15, v2
	v_mul_lo_u32 v133, s14, v3
	v_mad_u64_u32 v[2:3], s[0:1], s14, v2, 0
	v_add3_u32 v49, v138, v49, v137
	v_add3_u32 v111, v138, v111, v137
	;; [unrolled: 1-line block ×3, first 2 shown]
	v_lshlrev_b64 v[2:3], 2, v[2:3]
	v_mov_b32_e32 v132, s17
	v_add_co_u32_e32 v218, vcc, s16, v2
	v_addc_co_u32_e32 v219, vcc, v132, v3, vcc
	v_add_co_u32_e32 v220, vcc, s18, v2
	v_mov_b32_e32 v2, s19
	v_addc_co_u32_e32 v221, vcc, v2, v3, vcc
	v_add_co_u32_e32 v2, vcc, 28, v167
	v_addc_co_u32_e32 v3, vcc, 0, v166, vcc
	v_mul_lo_u32 v132, s15, v2
	v_mul_lo_u32 v133, s14, v3
	v_mad_u64_u32 v[2:3], s[0:1], s14, v2, 0
	v_mul_lo_u32 v144, s15, v142
	v_mul_lo_u32 v147, s15, v145
	v_add3_u32 v3, v3, v133, v132
	v_lshlrev_b64 v[2:3], 2, v[2:3]
	v_mov_b32_e32 v132, s17
	v_add_co_u32_e32 v222, vcc, s16, v2
	v_addc_co_u32_e32 v223, vcc, v132, v3, vcc
	v_add_co_u32_e32 v224, vcc, s18, v2
	v_mov_b32_e32 v2, s19
	v_addc_co_u32_e32 v225, vcc, v2, v3, vcc
	v_add_co_u32_e32 v2, vcc, 27, v167
	v_addc_co_u32_e32 v3, vcc, 0, v166, vcc
	v_mul_lo_u32 v132, s15, v2
	v_mul_lo_u32 v133, s14, v3
	v_mad_u64_u32 v[2:3], s[0:1], s14, v2, 0
	v_add3_u32 v53, v144, v53, v143
	v_mul_lo_u32 v150, s15, v148
	v_add3_u32 v3, v3, v133, v132
	v_lshlrev_b64 v[2:3], 2, v[2:3]
	v_mov_b32_e32 v132, s17
	v_add_co_u32_e32 v226, vcc, s16, v2
	v_addc_co_u32_e32 v227, vcc, v132, v3, vcc
	v_add_co_u32_e32 v228, vcc, s18, v2
	v_mov_b32_e32 v2, s19
	v_addc_co_u32_e32 v229, vcc, v2, v3, vcc
	v_add_co_u32_e32 v2, vcc, 26, v167
	v_addc_co_u32_e32 v3, vcc, 0, v166, vcc
	v_mul_lo_u32 v132, s15, v2
	v_mul_lo_u32 v133, s14, v3
	v_mad_u64_u32 v[2:3], s[0:1], s14, v2, 0
	v_mul_lo_u32 v153, s15, v151
	v_mul_lo_u32 v156, s15, v154
	v_add3_u32 v3, v3, v133, v132
	v_lshlrev_b64 v[2:3], 2, v[2:3]
	v_mov_b32_e32 v132, s17
	v_add_co_u32_e32 v230, vcc, s16, v2
	v_addc_co_u32_e32 v231, vcc, v132, v3, vcc
	v_add_co_u32_e32 v232, vcc, s18, v2
	v_mov_b32_e32 v2, s19
	v_addc_co_u32_e32 v233, vcc, v2, v3, vcc
	v_add_co_u32_e32 v2, vcc, 25, v167
	v_addc_co_u32_e32 v3, vcc, 0, v166, vcc
	v_mul_lo_u32 v132, s15, v2
	v_mul_lo_u32 v133, s14, v3
	v_mad_u64_u32 v[2:3], s[0:1], s14, v2, 0
	v_mul_lo_u32 v159, s15, v157
	;; [unrolled: 15-line block ×3, first 2 shown]
	v_add3_u32 v115, v144, v115, v143
	v_add3_u32 v3, v3, v133, v132
	v_lshlrev_b64 v[2:3], 2, v[2:3]
	v_mov_b32_e32 v132, s17
	v_add_co_u32_e32 v238, vcc, s16, v2
	v_addc_co_u32_e32 v239, vcc, v132, v3, vcc
	v_add_co_u32_e32 v240, vcc, s18, v2
	v_mov_b32_e32 v2, s19
	v_addc_co_u32_e32 v241, vcc, v2, v3, vcc
	v_add_co_u32_e32 v2, vcc, 23, v167
	v_addc_co_u32_e32 v3, vcc, 0, v166, vcc
	v_mul_lo_u32 v132, s15, v2
	v_mul_lo_u32 v133, s14, v3
	v_mad_u64_u32 v[2:3], s[0:1], s14, v2, 0
	v_add3_u32 v55, v147, v55, v146
	v_add3_u32 v57, v150, v57, v149
	v_add3_u32 v3, v3, v133, v132
	v_lshlrev_b64 v[2:3], 2, v[2:3]
	v_mov_b32_e32 v132, s17
	v_add_co_u32_e32 v242, vcc, s16, v2
	v_addc_co_u32_e32 v243, vcc, v132, v3, vcc
	v_add_co_u32_e32 v244, vcc, s18, v2
	v_mov_b32_e32 v2, s19
	v_addc_co_u32_e32 v245, vcc, v2, v3, vcc
	v_add_co_u32_e32 v2, vcc, 22, v167
	v_addc_co_u32_e32 v3, vcc, 0, v166, vcc
	v_mul_lo_u32 v132, s15, v2
	v_mul_lo_u32 v133, s14, v3
	v_mad_u64_u32 v[2:3], s[0:1], s14, v2, 0
	v_add3_u32 v59, v153, v59, v152
	;; [unrolled: 15-line block ×5, first 2 shown]
	v_add3_u32 v121, v153, v121, v152
	v_add3_u32 v3, v3, v133, v132
	v_lshlrev_b64 v[2:3], 2, v[2:3]
	v_mov_b32_e32 v132, s17
	v_add_co_u32_e32 v206, vcc, s16, v2
	v_addc_co_u32_e32 v137, vcc, v132, v3, vcc
	v_add_co_u32_e32 v1, vcc, s18, v2
	v_mov_b32_e32 v2, s19
	buffer_store_dword v1, off, s[36:39], 0 ; 4-byte Folded Spill
	v_addc_co_u32_e32 v1, vcc, v2, v3, vcc
	v_add_co_u32_e32 v2, vcc, 18, v167
	v_addc_co_u32_e32 v3, vcc, 0, v166, vcc
	v_mul_lo_u32 v132, s15, v2
	v_mul_lo_u32 v133, s14, v3
	v_mad_u64_u32 v[2:3], s[0:1], s14, v2, 0
	buffer_store_dword v1, off, s[36:39], 0 offset:4 ; 4-byte Folded Spill
	v_add3_u32 v123, v156, v123, v155
	v_add3_u32 v3, v3, v133, v132
	v_lshlrev_b64 v[2:3], 2, v[2:3]
	v_mov_b32_e32 v132, s17
	v_add_co_u32_e32 v1, vcc, s16, v2
	buffer_store_dword v1, off, s[36:39], 0 offset:8 ; 4-byte Folded Spill
	v_addc_co_u32_e32 v1, vcc, v132, v3, vcc
	buffer_store_dword v1, off, s[36:39], 0 offset:12 ; 4-byte Folded Spill
	v_add_co_u32_e32 v1, vcc, s18, v2
	v_mov_b32_e32 v2, s19
	buffer_store_dword v1, off, s[36:39], 0 offset:16 ; 4-byte Folded Spill
	v_addc_co_u32_e32 v1, vcc, v2, v3, vcc
	v_add_co_u32_e32 v2, vcc, 17, v167
	v_addc_co_u32_e32 v3, vcc, 0, v166, vcc
	v_mul_lo_u32 v132, s15, v2
	v_mul_lo_u32 v133, s14, v3
	v_mad_u64_u32 v[2:3], s[0:1], s14, v2, 0
	buffer_store_dword v1, off, s[36:39], 0 offset:20 ; 4-byte Folded Spill
	v_add3_u32 v125, v159, v125, v158
	v_add3_u32 v3, v3, v133, v132
	v_lshlrev_b64 v[2:3], 2, v[2:3]
	v_mov_b32_e32 v132, s17
	v_add_co_u32_e32 v1, vcc, s16, v2
	buffer_store_dword v1, off, s[36:39], 0 offset:24 ; 4-byte Folded Spill
	v_addc_co_u32_e32 v1, vcc, v132, v3, vcc
	buffer_store_dword v1, off, s[36:39], 0 offset:28 ; 4-byte Folded Spill
	v_add_co_u32_e32 v1, vcc, s18, v2
	v_mov_b32_e32 v2, s19
	buffer_store_dword v1, off, s[36:39], 0 offset:32 ; 4-byte Folded Spill
	;; [unrolled: 18-line block ×4, first 2 shown]
	v_addc_co_u32_e32 v1, vcc, v2, v3, vcc
	v_add_co_u32_e32 v2, vcc, 14, v167
	v_addc_co_u32_e32 v3, vcc, 0, v166, vcc
	v_mul_lo_u32 v132, s15, v2
	v_mul_lo_u32 v133, s14, v3
	v_mad_u64_u32 v[2:3], s[0:1], s14, v2, 0
	buffer_store_dword v1, off, s[36:39], 0 offset:68 ; 4-byte Folded Spill
	v_mov_b32_e32 v146, 0
	v_add3_u32 v3, v3, v133, v132
	v_lshlrev_b64 v[2:3], 2, v[2:3]
	v_mov_b32_e32 v132, s17
	v_add_co_u32_e32 v1, vcc, s16, v2
	buffer_store_dword v1, off, s[36:39], 0 offset:72 ; 4-byte Folded Spill
	v_addc_co_u32_e32 v1, vcc, v132, v3, vcc
	buffer_store_dword v1, off, s[36:39], 0 offset:76 ; 4-byte Folded Spill
	v_add_co_u32_e32 v1, vcc, s18, v2
	v_mov_b32_e32 v2, s19
	buffer_store_dword v1, off, s[36:39], 0 offset:80 ; 4-byte Folded Spill
	v_addc_co_u32_e32 v1, vcc, v2, v3, vcc
	v_add_co_u32_e32 v2, vcc, 13, v167
	v_addc_co_u32_e32 v3, vcc, 0, v166, vcc
	v_mul_lo_u32 v132, s15, v2
	v_mul_lo_u32 v133, s14, v3
	v_mad_u64_u32 v[2:3], s[0:1], s14, v2, 0
	buffer_store_dword v1, off, s[36:39], 0 offset:84 ; 4-byte Folded Spill
	v_add3_u32 v3, v3, v133, v132
	v_lshlrev_b64 v[2:3], 2, v[2:3]
	v_mov_b32_e32 v132, s17
	v_add_co_u32_e32 v1, vcc, s16, v2
	buffer_store_dword v1, off, s[36:39], 0 offset:88 ; 4-byte Folded Spill
	v_addc_co_u32_e32 v1, vcc, v132, v3, vcc
	buffer_store_dword v1, off, s[36:39], 0 offset:92 ; 4-byte Folded Spill
	v_add_co_u32_e32 v1, vcc, s18, v2
	v_mov_b32_e32 v2, s19
	buffer_store_dword v1, off, s[36:39], 0 offset:96 ; 4-byte Folded Spill
	v_addc_co_u32_e32 v1, vcc, v2, v3, vcc
	v_add_co_u32_e32 v2, vcc, 12, v167
	v_addc_co_u32_e32 v3, vcc, 0, v166, vcc
	v_mul_lo_u32 v132, s15, v2
	v_mul_lo_u32 v133, s14, v3
	v_mad_u64_u32 v[2:3], s[0:1], s14, v2, 0
	buffer_store_dword v1, off, s[36:39], 0 offset:100 ; 4-byte Folded Spill
	;; [unrolled: 17-line block ×11, first 2 shown]
	v_add3_u32 v3, v3, v133, v132
	v_lshlrev_b64 v[2:3], 2, v[2:3]
	v_mov_b32_e32 v132, s17
	v_add_co_u32_e32 v1, vcc, s16, v2
	buffer_store_dword v1, off, s[36:39], 0 offset:248 ; 4-byte Folded Spill
	v_addc_co_u32_e32 v1, vcc, v132, v3, vcc
	buffer_store_dword v1, off, s[36:39], 0 offset:252 ; 4-byte Folded Spill
	v_add_co_u32_e32 v1, vcc, s18, v2
	v_mov_b32_e32 v2, s19
	buffer_store_dword v1, off, s[36:39], 0 offset:256 ; 4-byte Folded Spill
	v_addc_co_u32_e32 v1, vcc, v2, v3, vcc
	v_add_co_u32_e32 v132, vcc, 2, v167
	buffer_store_dword v1, off, s[36:39], 0 offset:260 ; 4-byte Folded Spill
	v_addc_co_u32_e32 v1, vcc, 0, v166, vcc
	v_mul_lo_u32 v2, s15, v132
	v_mul_lo_u32 v3, s14, v1
	v_mad_u64_u32 v[132:133], s[0:1], s14, v132, 0
	v_mov_b32_e32 v1, v137
	v_add3_u32 v133, v133, v3, v2
	v_lshlrev_b64 v[132:133], 2, v[132:133]
	v_mov_b32_e32 v3, v134
	v_add_co_u32_e32 v2, vcc, s16, v132
	buffer_store_dword v2, off, s[36:39], 0 offset:264 ; 4-byte Folded Spill
	v_mov_b32_e32 v2, s17
	v_addc_co_u32_e32 v2, vcc, v2, v133, vcc
	buffer_store_dword v2, off, s[36:39], 0 offset:268 ; 4-byte Folded Spill
	v_add_co_u32_e32 v2, vcc, s18, v132
	buffer_store_dword v2, off, s[36:39], 0 offset:272 ; 4-byte Folded Spill
	v_mov_b32_e32 v2, s19
	v_addc_co_u32_e32 v2, vcc, v2, v133, vcc
	buffer_store_dword v2, off, s[36:39], 0 offset:276 ; 4-byte Folded Spill
	v_add_co_u32_e32 v130, vcc, s14, v130
	v_mov_b32_e32 v2, s15
	v_addc_co_u32_e32 v131, vcc, v131, v2, vcc
	v_lshlrev_b64 v[130:131], 2, v[130:131]
	v_mov_b32_e32 v2, s17
	v_add_co_u32_e32 v141, vcc, s16, v130
	v_addc_co_u32_e32 v142, vcc, v2, v131, vcc
	v_add_co_u32_e32 v143, vcc, s18, v130
	v_mov_b32_e32 v2, s19
	v_addc_co_u32_e32 v144, vcc, v2, v131, vcc
	v_mbcnt_lo_u32_b32 v2, -1, 0
	v_mbcnt_hi_u32_b32 v2, -1, v2
	v_lshlrev_b32_e32 v2, 2, v2
	v_and_b32_e32 v145, 0x100, v2
	s_mov_b64 s[16:17], s[22:23]
.LBB143_149:                            ; =>This Inner Loop Header: Depth=1
	s_add_u32 s0, s22, s26
	v_mov_b32_e32 v131, s13
	s_addc_u32 s1, 0, s27
	v_mov_b32_e32 v130, s12
	v_cmp_ge_i64_e32 vcc, s[0:1], v[130:131]
	v_add_co_u32_e64 v131, s[0:1], s22, v135
	v_addc_co_u32_e64 v132, s[0:1], 0, v136, s[0:1]
	s_mov_b64 s[0:1], -1
                                        ; implicit-def: $vgpr130
	s_cbranch_vccz .LBB143_219
; %bb.150:                              ;   in Loop: Header=BB143_149 Depth=1
	v_mov_b32_e32 v2, 0
	buffer_store_dword v2, off, s[36:39], 0 offset:280 ; 4-byte Folded Spill
	s_load_dword s0, s[10:11], 0xc
	buffer_load_dword v133, off, s[36:39], 0 offset:284 ; 4-byte Folded Reload
	buffer_load_dword v134, off, s[36:39], 0 offset:288 ; 4-byte Folded Reload
	v_mov_b32_e32 v147, 0
	s_waitcnt lgkmcnt(0)
	s_and_b32 s0, s0, 0xffff
	s_waitcnt vmcnt(1)
	v_mad_u32_u24 v2, v133, s0, v0
	v_and_b32_e32 v2, 63, v2
	v_cmp_gt_u32_e32 vcc, 32, v2
	s_and_saveexec_b64 s[0:1], vcc
	s_cbranch_execz .LBB143_154
; %bb.151:                              ;   in Loop: Header=BB143_149 Depth=1
	v_add_co_u32_e32 v133, vcc, v131, v2
	s_waitcnt vmcnt(0)
	v_addc_co_u32_e32 v134, vcc, 0, v132, vcc
	v_cmp_gt_i64_e32 vcc, s[12:13], v[133:134]
	v_mov_b32_e32 v147, 0
	s_and_saveexec_b64 s[18:19], vcc
	s_cbranch_execz .LBB143_153
; %bb.152:                              ;   in Loop: Header=BB143_149 Depth=1
	v_lshlrev_b64 v[133:134], 2, v[133:134]
	v_mov_b32_e32 v2, s21
	v_add_co_u32_e32 v133, vcc, s20, v133
	v_addc_co_u32_e32 v134, vcc, v2, v134, vcc
	global_load_dword v147, v[133:134], off
.LBB143_153:                            ;   in Loop: Header=BB143_149 Depth=1
	s_or_b64 exec, exec, s[18:19]
.LBB143_154:                            ;   in Loop: Header=BB143_149 Depth=1
	s_or_b64 exec, exec, s[0:1]
	v_cmp_gt_i64_e32 vcc, s[12:13], v[131:132]
	v_mov_b32_e32 v133, 0
	s_and_saveexec_b64 s[0:1], vcc
	s_cbranch_execz .LBB143_156
; %bb.155:                              ;   in Loop: Header=BB143_149 Depth=1
	v_add_co_u32_e32 v133, vcc, v205, v4
	s_waitcnt vmcnt(0)
	v_addc_co_u32_e32 v134, vcc, v207, v5, vcc
	global_load_dword v2, v[133:134], off
	v_add_co_u32_e32 v133, vcc, v208, v4
	v_addc_co_u32_e32 v134, vcc, v209, v5, vcc
	global_load_dword v133, v[133:134], off
	s_waitcnt vmcnt(1)
	buffer_store_dword v2, off, s[36:39], 0 offset:280 ; 4-byte Folded Spill
.LBB143_156:                            ;   in Loop: Header=BB143_149 Depth=1
	s_or_b64 exec, exec, s[0:1]
	v_add_co_u32_e32 v137, vcc, 1, v131
	v_addc_co_u32_e32 v138, vcc, 0, v132, vcc
	v_cmp_gt_i64_e32 vcc, s[12:13], v[137:138]
	s_waitcnt vmcnt(0)
	v_mov_b32_e32 v134, 0
	v_mov_b32_e32 v148, 0
	;; [unrolled: 1-line block ×3, first 2 shown]
	s_and_saveexec_b64 s[0:1], vcc
	s_cbranch_execz .LBB143_158
; %bb.157:                              ;   in Loop: Header=BB143_149 Depth=1
	v_add_co_u32_e32 v137, vcc, v141, v4
	v_addc_co_u32_e32 v138, vcc, v142, v5, vcc
	global_load_dword v148, v[137:138], off
	v_add_co_u32_e32 v137, vcc, v143, v4
	v_addc_co_u32_e32 v138, vcc, v144, v5, vcc
	global_load_dword v149, v[137:138], off
.LBB143_158:                            ;   in Loop: Header=BB143_149 Depth=1
	s_or_b64 exec, exec, s[0:1]
	v_add_co_u32_e32 v137, vcc, 2, v131
	v_addc_co_u32_e32 v138, vcc, 0, v132, vcc
	v_cmp_gt_i64_e32 vcc, s[12:13], v[137:138]
	v_mov_b32_e32 v151, 0
	s_and_saveexec_b64 s[0:1], vcc
	s_cbranch_execz .LBB143_160
; %bb.159:                              ;   in Loop: Header=BB143_149 Depth=1
	buffer_load_dword v2, off, s[36:39], 0 offset:264 ; 4-byte Folded Reload
	s_waitcnt vmcnt(0)
	v_add_co_u32_e32 v137, vcc, v2, v4
	buffer_load_dword v2, off, s[36:39], 0 offset:268 ; 4-byte Folded Reload
	s_waitcnt vmcnt(0)
	v_addc_co_u32_e32 v138, vcc, v2, v5, vcc
	buffer_load_dword v2, off, s[36:39], 0 offset:272 ; 4-byte Folded Reload
	global_load_dword v134, v[137:138], off
	s_waitcnt vmcnt(1)
	v_add_co_u32_e32 v137, vcc, v2, v4
	buffer_load_dword v2, off, s[36:39], 0 offset:276 ; 4-byte Folded Reload
	s_waitcnt vmcnt(0)
	v_addc_co_u32_e32 v138, vcc, v2, v5, vcc
	global_load_dword v151, v[137:138], off
.LBB143_160:                            ;   in Loop: Header=BB143_149 Depth=1
	s_or_b64 exec, exec, s[0:1]
	v_add_co_u32_e32 v137, vcc, 3, v131
	v_addc_co_u32_e32 v138, vcc, 0, v132, vcc
	v_cmp_gt_i64_e32 vcc, s[12:13], v[137:138]
	v_mov_b32_e32 v150, 0
	v_mov_b32_e32 v152, 0
	;; [unrolled: 1-line block ×3, first 2 shown]
	s_and_saveexec_b64 s[0:1], vcc
	s_cbranch_execz .LBB143_162
; %bb.161:                              ;   in Loop: Header=BB143_149 Depth=1
	buffer_load_dword v2, off, s[36:39], 0 offset:248 ; 4-byte Folded Reload
	s_waitcnt vmcnt(0)
	v_add_co_u32_e32 v137, vcc, v2, v4
	buffer_load_dword v2, off, s[36:39], 0 offset:252 ; 4-byte Folded Reload
	s_waitcnt vmcnt(0)
	v_addc_co_u32_e32 v138, vcc, v2, v5, vcc
	buffer_load_dword v2, off, s[36:39], 0 offset:256 ; 4-byte Folded Reload
	global_load_dword v152, v[137:138], off
	s_waitcnt vmcnt(1)
	v_add_co_u32_e32 v137, vcc, v2, v4
	buffer_load_dword v2, off, s[36:39], 0 offset:260 ; 4-byte Folded Reload
	s_waitcnt vmcnt(0)
	v_addc_co_u32_e32 v138, vcc, v2, v5, vcc
	global_load_dword v153, v[137:138], off
.LBB143_162:                            ;   in Loop: Header=BB143_149 Depth=1
	s_or_b64 exec, exec, s[0:1]
	v_add_co_u32_e32 v137, vcc, 4, v131
	v_addc_co_u32_e32 v138, vcc, 0, v132, vcc
	v_cmp_gt_i64_e32 vcc, s[12:13], v[137:138]
	v_mov_b32_e32 v154, 0
	s_and_saveexec_b64 s[0:1], vcc
	s_cbranch_execz .LBB143_164
; %bb.163:                              ;   in Loop: Header=BB143_149 Depth=1
	buffer_load_dword v2, off, s[36:39], 0 offset:232 ; 4-byte Folded Reload
	s_waitcnt vmcnt(0)
	v_add_co_u32_e32 v137, vcc, v2, v4
	buffer_load_dword v2, off, s[36:39], 0 offset:236 ; 4-byte Folded Reload
	s_waitcnt vmcnt(0)
	v_addc_co_u32_e32 v138, vcc, v2, v5, vcc
	buffer_load_dword v2, off, s[36:39], 0 offset:240 ; 4-byte Folded Reload
	global_load_dword v150, v[137:138], off
	s_waitcnt vmcnt(1)
	v_add_co_u32_e32 v137, vcc, v2, v4
	buffer_load_dword v2, off, s[36:39], 0 offset:244 ; 4-byte Folded Reload
	s_waitcnt vmcnt(0)
	v_addc_co_u32_e32 v138, vcc, v2, v5, vcc
	global_load_dword v154, v[137:138], off
.LBB143_164:                            ;   in Loop: Header=BB143_149 Depth=1
	s_or_b64 exec, exec, s[0:1]
	v_add_co_u32_e32 v137, vcc, 5, v131
	v_addc_co_u32_e32 v138, vcc, 0, v132, vcc
	v_cmp_gt_i64_e32 vcc, s[12:13], v[137:138]
	v_mov_b32_e32 v2, 0
	v_mov_b32_e32 v155, 0
	;; [unrolled: 1-line block ×3, first 2 shown]
	s_and_saveexec_b64 s[0:1], vcc
	s_cbranch_execz .LBB143_166
; %bb.165:                              ;   in Loop: Header=BB143_149 Depth=1
	buffer_load_dword v130, off, s[36:39], 0 offset:216 ; 4-byte Folded Reload
	s_waitcnt vmcnt(0)
	v_add_co_u32_e32 v137, vcc, v130, v4
	buffer_load_dword v130, off, s[36:39], 0 offset:220 ; 4-byte Folded Reload
	s_waitcnt vmcnt(0)
	v_addc_co_u32_e32 v138, vcc, v130, v5, vcc
	buffer_load_dword v130, off, s[36:39], 0 offset:224 ; 4-byte Folded Reload
	global_load_dword v155, v[137:138], off
	s_waitcnt vmcnt(1)
	v_add_co_u32_e32 v137, vcc, v130, v4
	buffer_load_dword v130, off, s[36:39], 0 offset:228 ; 4-byte Folded Reload
	s_waitcnt vmcnt(0)
	v_addc_co_u32_e32 v138, vcc, v130, v5, vcc
	global_load_dword v137, v[137:138], off
.LBB143_166:                            ;   in Loop: Header=BB143_149 Depth=1
	s_or_b64 exec, exec, s[0:1]
	v_add_co_u32_e32 v138, vcc, 6, v131
	v_addc_co_u32_e32 v139, vcc, 0, v132, vcc
	v_cmp_gt_i64_e32 vcc, s[12:13], v[138:139]
	v_mov_b32_e32 v156, 0
	s_and_saveexec_b64 s[0:1], vcc
	s_cbranch_execz .LBB143_168
; %bb.167:                              ;   in Loop: Header=BB143_149 Depth=1
	buffer_load_dword v2, off, s[36:39], 0 offset:200 ; 4-byte Folded Reload
	buffer_load_dword v130, off, s[36:39], 0 offset:208 ; 4-byte Folded Reload
	s_waitcnt vmcnt(1)
	v_add_co_u32_e32 v138, vcc, v2, v4
	buffer_load_dword v2, off, s[36:39], 0 offset:204 ; 4-byte Folded Reload
	s_waitcnt vmcnt(0)
	v_addc_co_u32_e32 v139, vcc, v2, v5, vcc
	global_load_dword v2, v[138:139], off
	v_add_co_u32_e32 v138, vcc, v130, v4
	buffer_load_dword v130, off, s[36:39], 0 offset:212 ; 4-byte Folded Reload
	s_waitcnt vmcnt(0)
	v_addc_co_u32_e32 v139, vcc, v130, v5, vcc
	global_load_dword v156, v[138:139], off
.LBB143_168:                            ;   in Loop: Header=BB143_149 Depth=1
	s_or_b64 exec, exec, s[0:1]
	v_add_co_u32_e32 v138, vcc, 7, v131
	v_addc_co_u32_e32 v139, vcc, 0, v132, vcc
	v_cmp_gt_i64_e32 vcc, s[12:13], v[138:139]
	v_mov_b32_e32 v138, 0
	v_mov_b32_e32 v157, 0
	;; [unrolled: 1-line block ×3, first 2 shown]
	s_and_saveexec_b64 s[0:1], vcc
	s_cbranch_execz .LBB143_170
; %bb.169:                              ;   in Loop: Header=BB143_149 Depth=1
	buffer_load_dword v130, off, s[36:39], 0 offset:184 ; 4-byte Folded Reload
	s_waitcnt vmcnt(0)
	v_add_co_u32_e32 v157, vcc, v130, v4
	buffer_load_dword v130, off, s[36:39], 0 offset:188 ; 4-byte Folded Reload
	s_waitcnt vmcnt(0)
	v_addc_co_u32_e32 v158, vcc, v130, v5, vcc
	buffer_load_dword v130, off, s[36:39], 0 offset:192 ; 4-byte Folded Reload
	s_nop 0
	global_load_dword v157, v[157:158], off
	s_waitcnt vmcnt(1)
	v_add_co_u32_e32 v158, vcc, v130, v4
	buffer_load_dword v130, off, s[36:39], 0 offset:196 ; 4-byte Folded Reload
	s_waitcnt vmcnt(0)
	v_addc_co_u32_e32 v159, vcc, v130, v5, vcc
	global_load_dword v158, v[158:159], off
.LBB143_170:                            ;   in Loop: Header=BB143_149 Depth=1
	s_or_b64 exec, exec, s[0:1]
	v_add_co_u32_e32 v159, vcc, 8, v131
	v_addc_co_u32_e32 v160, vcc, 0, v132, vcc
	v_cmp_gt_i64_e32 vcc, s[12:13], v[159:160]
	v_mov_b32_e32 v139, 0
	s_and_saveexec_b64 s[0:1], vcc
	s_cbranch_execz .LBB143_172
; %bb.171:                              ;   in Loop: Header=BB143_149 Depth=1
	buffer_load_dword v130, off, s[36:39], 0 offset:168 ; 4-byte Folded Reload
	s_waitcnt vmcnt(0)
	v_add_co_u32_e32 v138, vcc, v130, v4
	buffer_load_dword v130, off, s[36:39], 0 offset:172 ; 4-byte Folded Reload
	s_waitcnt vmcnt(0)
	v_addc_co_u32_e32 v139, vcc, v130, v5, vcc
	buffer_load_dword v130, off, s[36:39], 0 offset:176 ; 4-byte Folded Reload
	s_waitcnt vmcnt(0)
	v_add_co_u32_e32 v159, vcc, v130, v4
	buffer_load_dword v130, off, s[36:39], 0 offset:180 ; 4-byte Folded Reload
	s_waitcnt vmcnt(0)
	v_addc_co_u32_e32 v160, vcc, v130, v5, vcc
	global_load_dword v138, v[138:139], off
	s_nop 0
	global_load_dword v139, v[159:160], off
.LBB143_172:                            ;   in Loop: Header=BB143_149 Depth=1
	s_or_b64 exec, exec, s[0:1]
	v_add_co_u32_e32 v159, vcc, 9, v131
	v_addc_co_u32_e32 v160, vcc, 0, v132, vcc
	v_cmp_gt_i64_e32 vcc, s[12:13], v[159:160]
	v_mov_b32_e32 v159, 0
	v_mov_b32_e32 v160, 0
	v_mov_b32_e32 v161, 0
	s_and_saveexec_b64 s[0:1], vcc
	s_cbranch_execz .LBB143_174
; %bb.173:                              ;   in Loop: Header=BB143_149 Depth=1
	buffer_load_dword v130, off, s[36:39], 0 offset:152 ; 4-byte Folded Reload
	s_waitcnt vmcnt(0)
	v_add_co_u32_e32 v160, vcc, v130, v4
	buffer_load_dword v130, off, s[36:39], 0 offset:156 ; 4-byte Folded Reload
	s_waitcnt vmcnt(0)
	v_addc_co_u32_e32 v161, vcc, v130, v5, vcc
	buffer_load_dword v130, off, s[36:39], 0 offset:160 ; 4-byte Folded Reload
	s_nop 0
	global_load_dword v160, v[160:161], off
	s_waitcnt vmcnt(1)
	v_add_co_u32_e32 v161, vcc, v130, v4
	buffer_load_dword v130, off, s[36:39], 0 offset:164 ; 4-byte Folded Reload
	s_waitcnt vmcnt(0)
	v_addc_co_u32_e32 v162, vcc, v130, v5, vcc
	global_load_dword v161, v[161:162], off
.LBB143_174:                            ;   in Loop: Header=BB143_149 Depth=1
	s_or_b64 exec, exec, s[0:1]
	v_add_co_u32_e32 v162, vcc, 10, v131
	v_addc_co_u32_e32 v163, vcc, 0, v132, vcc
	v_cmp_gt_i64_e32 vcc, s[12:13], v[162:163]
	v_mov_b32_e32 v163, 0
	s_and_saveexec_b64 s[0:1], vcc
	s_cbranch_execz .LBB143_176
; %bb.175:                              ;   in Loop: Header=BB143_149 Depth=1
	buffer_load_dword v130, off, s[36:39], 0 offset:136 ; 4-byte Folded Reload
	s_waitcnt vmcnt(0)
	v_add_co_u32_e32 v162, vcc, v130, v4
	buffer_load_dword v130, off, s[36:39], 0 offset:140 ; 4-byte Folded Reload
	s_waitcnt vmcnt(0)
	v_addc_co_u32_e32 v163, vcc, v130, v5, vcc
	buffer_load_dword v130, off, s[36:39], 0 offset:144 ; 4-byte Folded Reload
	global_load_dword v159, v[162:163], off
	s_waitcnt vmcnt(1)
	v_add_co_u32_e32 v162, vcc, v130, v4
	buffer_load_dword v130, off, s[36:39], 0 offset:148 ; 4-byte Folded Reload
	s_waitcnt vmcnt(0)
	v_addc_co_u32_e32 v163, vcc, v130, v5, vcc
	global_load_dword v163, v[162:163], off
.LBB143_176:                            ;   in Loop: Header=BB143_149 Depth=1
	s_or_b64 exec, exec, s[0:1]
	v_add_co_u32_e32 v164, vcc, 11, v131
	v_addc_co_u32_e32 v165, vcc, 0, v132, vcc
	v_cmp_gt_i64_e32 vcc, s[12:13], v[164:165]
	v_mov_b32_e32 v162, 0
	v_mov_b32_e32 v164, 0
	v_mov_b32_e32 v165, 0
	s_and_saveexec_b64 s[0:1], vcc
	s_cbranch_execz .LBB143_178
; %bb.177:                              ;   in Loop: Header=BB143_149 Depth=1
	buffer_load_dword v130, off, s[36:39], 0 offset:120 ; 4-byte Folded Reload
	s_waitcnt vmcnt(0)
	v_add_co_u32_e32 v164, vcc, v130, v4
	buffer_load_dword v130, off, s[36:39], 0 offset:124 ; 4-byte Folded Reload
	s_waitcnt vmcnt(0)
	v_addc_co_u32_e32 v165, vcc, v130, v5, vcc
	buffer_load_dword v130, off, s[36:39], 0 offset:128 ; 4-byte Folded Reload
	s_nop 0
	global_load_dword v164, v[164:165], off
	s_waitcnt vmcnt(1)
	v_add_co_u32_e32 v165, vcc, v130, v4
	buffer_load_dword v130, off, s[36:39], 0 offset:132 ; 4-byte Folded Reload
	s_waitcnt vmcnt(0)
	v_addc_co_u32_e32 v166, vcc, v130, v5, vcc
	global_load_dword v165, v[165:166], off
.LBB143_178:                            ;   in Loop: Header=BB143_149 Depth=1
	s_or_b64 exec, exec, s[0:1]
	v_add_co_u32_e32 v166, vcc, 12, v131
	v_addc_co_u32_e32 v167, vcc, 0, v132, vcc
	v_cmp_gt_i64_e32 vcc, s[12:13], v[166:167]
	v_mov_b32_e32 v167, 0
	s_and_saveexec_b64 s[0:1], vcc
	s_cbranch_execz .LBB143_180
; %bb.179:                              ;   in Loop: Header=BB143_149 Depth=1
	buffer_load_dword v130, off, s[36:39], 0 offset:104 ; 4-byte Folded Reload
	s_waitcnt vmcnt(0)
	v_add_co_u32_e32 v166, vcc, v130, v4
	buffer_load_dword v130, off, s[36:39], 0 offset:108 ; 4-byte Folded Reload
	s_waitcnt vmcnt(0)
	v_addc_co_u32_e32 v167, vcc, v130, v5, vcc
	buffer_load_dword v130, off, s[36:39], 0 offset:112 ; 4-byte Folded Reload
	global_load_dword v162, v[166:167], off
	s_waitcnt vmcnt(1)
	v_add_co_u32_e32 v166, vcc, v130, v4
	buffer_load_dword v130, off, s[36:39], 0 offset:116 ; 4-byte Folded Reload
	s_waitcnt vmcnt(0)
	v_addc_co_u32_e32 v167, vcc, v130, v5, vcc
	global_load_dword v167, v[166:167], off
.LBB143_180:                            ;   in Loop: Header=BB143_149 Depth=1
	;; [unrolled: 49-line block ×5, first 2 shown]
	s_or_b64 exec, exec, s[0:1]
	v_add_co_u32_e32 v180, vcc, 19, v131
	v_addc_co_u32_e32 v181, vcc, 0, v132, vcc
	v_cmp_gt_i64_e32 vcc, s[12:13], v[180:181]
	v_mov_b32_e32 v178, 0
	v_mov_b32_e32 v180, 0
	;; [unrolled: 1-line block ×3, first 2 shown]
	s_and_saveexec_b64 s[0:1], vcc
	s_cbranch_execz .LBB143_194
; %bb.193:                              ;   in Loop: Header=BB143_149 Depth=1
	buffer_load_dword v130, off, s[36:39], 0 ; 4-byte Folded Reload
	v_add_co_u32_e32 v180, vcc, v206, v4
	v_addc_co_u32_e32 v181, vcc, v1, v5, vcc
	global_load_dword v180, v[180:181], off
	s_waitcnt vmcnt(1)
	v_add_co_u32_e32 v181, vcc, v130, v4
	buffer_load_dword v130, off, s[36:39], 0 offset:4 ; 4-byte Folded Reload
	s_waitcnt vmcnt(0)
	v_addc_co_u32_e32 v182, vcc, v130, v5, vcc
	global_load_dword v181, v[181:182], off
.LBB143_194:                            ;   in Loop: Header=BB143_149 Depth=1
	s_or_b64 exec, exec, s[0:1]
	v_add_co_u32_e32 v182, vcc, 20, v131
	v_addc_co_u32_e32 v183, vcc, 0, v132, vcc
	v_cmp_gt_i64_e32 vcc, s[12:13], v[182:183]
	v_mov_b32_e32 v183, 0
	s_and_saveexec_b64 s[0:1], vcc
	s_cbranch_execz .LBB143_196
; %bb.195:                              ;   in Loop: Header=BB143_149 Depth=1
	v_add_co_u32_e32 v182, vcc, v254, v4
	v_addc_co_u32_e32 v183, vcc, v255, v5, vcc
	global_load_dword v178, v[182:183], off
	v_add_co_u32_e32 v182, vcc, v3, v4
	v_addc_co_u32_e32 v183, vcc, v140, v5, vcc
	global_load_dword v183, v[182:183], off
.LBB143_196:                            ;   in Loop: Header=BB143_149 Depth=1
	s_or_b64 exec, exec, s[0:1]
	v_add_co_u32_e32 v184, vcc, 21, v131
	v_addc_co_u32_e32 v185, vcc, 0, v132, vcc
	v_cmp_gt_i64_e32 vcc, s[12:13], v[184:185]
	v_mov_b32_e32 v182, 0
	v_mov_b32_e32 v184, 0
	v_mov_b32_e32 v185, 0
	s_and_saveexec_b64 s[0:1], vcc
	s_cbranch_execz .LBB143_198
; %bb.197:                              ;   in Loop: Header=BB143_149 Depth=1
	v_add_co_u32_e32 v184, vcc, v250, v4
	v_addc_co_u32_e32 v185, vcc, v251, v5, vcc
	global_load_dword v184, v[184:185], off
	v_add_co_u32_e32 v185, vcc, v252, v4
	v_addc_co_u32_e32 v186, vcc, v253, v5, vcc
	global_load_dword v185, v[185:186], off
.LBB143_198:                            ;   in Loop: Header=BB143_149 Depth=1
	s_or_b64 exec, exec, s[0:1]
	v_add_co_u32_e32 v186, vcc, 22, v131
	v_addc_co_u32_e32 v187, vcc, 0, v132, vcc
	v_cmp_gt_i64_e32 vcc, s[12:13], v[186:187]
	v_mov_b32_e32 v187, 0
	s_and_saveexec_b64 s[0:1], vcc
	s_cbranch_execz .LBB143_200
; %bb.199:                              ;   in Loop: Header=BB143_149 Depth=1
	v_add_co_u32_e32 v186, vcc, v246, v4
	v_addc_co_u32_e32 v187, vcc, v247, v5, vcc
	global_load_dword v182, v[186:187], off
	v_add_co_u32_e32 v186, vcc, v248, v4
	v_addc_co_u32_e32 v187, vcc, v249, v5, vcc
	global_load_dword v187, v[186:187], off
.LBB143_200:                            ;   in Loop: Header=BB143_149 Depth=1
	s_or_b64 exec, exec, s[0:1]
	v_add_co_u32_e32 v188, vcc, 23, v131
	v_addc_co_u32_e32 v189, vcc, 0, v132, vcc
	v_cmp_gt_i64_e32 vcc, s[12:13], v[188:189]
	v_mov_b32_e32 v186, 0
	v_mov_b32_e32 v188, 0
	v_mov_b32_e32 v189, 0
	s_and_saveexec_b64 s[0:1], vcc
	s_cbranch_execz .LBB143_202
; %bb.201:                              ;   in Loop: Header=BB143_149 Depth=1
	v_add_co_u32_e32 v188, vcc, v242, v4
	v_addc_co_u32_e32 v189, vcc, v243, v5, vcc
	global_load_dword v188, v[188:189], off
	v_add_co_u32_e32 v189, vcc, v244, v4
	v_addc_co_u32_e32 v190, vcc, v245, v5, vcc
	global_load_dword v189, v[189:190], off
.LBB143_202:                            ;   in Loop: Header=BB143_149 Depth=1
	;; [unrolled: 32-line block ×5, first 2 shown]
	s_or_b64 exec, exec, s[0:1]
	v_add_co_u32_e32 v202, vcc, 30, v131
	v_addc_co_u32_e32 v203, vcc, 0, v132, vcc
	v_cmp_gt_i64_e32 vcc, s[12:13], v[202:203]
	v_mov_b32_e32 v202, 0
	s_and_saveexec_b64 s[0:1], vcc
	s_cbranch_execz .LBB143_216
; %bb.215:                              ;   in Loop: Header=BB143_149 Depth=1
	v_add_co_u32_e32 v202, vcc, v214, v4
	v_addc_co_u32_e32 v203, vcc, v215, v5, vcc
	global_load_dword v199, v[202:203], off
	v_add_co_u32_e32 v202, vcc, v216, v4
	v_addc_co_u32_e32 v203, vcc, v217, v5, vcc
	global_load_dword v202, v[202:203], off
.LBB143_216:                            ;   in Loop: Header=BB143_149 Depth=1
	s_or_b64 exec, exec, s[0:1]
	v_add_co_u32_e32 v203, vcc, 31, v131
	v_addc_co_u32_e32 v204, vcc, 0, v132, vcc
	v_cmp_gt_i64_e32 vcc, s[12:13], v[203:204]
	v_mov_b32_e32 v203, 0
	s_and_saveexec_b64 s[0:1], vcc
	s_cbranch_execz .LBB143_218
; %bb.217:                              ;   in Loop: Header=BB143_149 Depth=1
	v_add_co_u32_e32 v203, vcc, v210, v4
	v_addc_co_u32_e32 v204, vcc, v211, v5, vcc
	v_mov_b32_e32 v130, v1
	v_mov_b32_e32 v1, v206
	v_mov_b32_e32 v206, v140
	v_mov_b32_e32 v140, v3
	v_mov_b32_e32 v3, v255
	v_mov_b32_e32 v255, v254
	v_mov_b32_e32 v254, v253
	v_mov_b32_e32 v253, v252
	v_mov_b32_e32 v252, v251
	v_mov_b32_e32 v251, v250
	v_mov_b32_e32 v250, v249
	v_mov_b32_e32 v249, v248
	v_mov_b32_e32 v248, v247
	v_mov_b32_e32 v247, v246
	v_mov_b32_e32 v246, v245
	v_mov_b32_e32 v245, v244
	v_mov_b32_e32 v244, v243
	v_mov_b32_e32 v243, v242
	v_mov_b32_e32 v242, v241
	v_mov_b32_e32 v241, v240
	v_mov_b32_e32 v240, v239
	v_mov_b32_e32 v239, v238
	v_mov_b32_e32 v238, v237
	v_mov_b32_e32 v237, v236
	v_mov_b32_e32 v236, v235
	v_mov_b32_e32 v235, v234
	v_mov_b32_e32 v234, v233
	v_mov_b32_e32 v233, v232
	v_mov_b32_e32 v232, v231
	v_mov_b32_e32 v231, v230
	v_mov_b32_e32 v230, v229
	v_mov_b32_e32 v229, v228
	v_mov_b32_e32 v228, v227
	v_mov_b32_e32 v227, v226
	v_mov_b32_e32 v226, v225
	v_mov_b32_e32 v225, v224
	v_mov_b32_e32 v224, v223
	v_mov_b32_e32 v223, v222
	v_mov_b32_e32 v222, v221
	v_mov_b32_e32 v221, v220
	v_mov_b32_e32 v220, v219
	v_mov_b32_e32 v219, v218
	v_mov_b32_e32 v218, v217
	v_mov_b32_e32 v217, v216
	v_mov_b32_e32 v216, v135
	v_mov_b32_e32 v135, v211
	v_mov_b32_e32 v211, v210
	v_mov_b32_e32 v210, v209
	v_mov_b32_e32 v209, v208
	v_mov_b32_e32 v208, v136
	v_mov_b32_e32 v136, v207
	v_mov_b32_e32 v207, v205
	global_load_dword v205, v[203:204], off
	v_add_co_u32_e32 v203, vcc, v212, v4
	v_addc_co_u32_e32 v204, vcc, v213, v5, vcc
	global_load_dword v203, v[203:204], off
	s_waitcnt vmcnt(0)
	v_mul_f32_e32 v203, v205, v203
	v_mov_b32_e32 v205, v207
	v_mov_b32_e32 v207, v136
	;; [unrolled: 1-line block ×52, first 2 shown]
.LBB143_218:                            ;   in Loop: Header=BB143_149 Depth=1
	s_or_b64 exec, exec, s[0:1]
	buffer_load_dword v130, off, s[36:39], 0 offset:280 ; 4-byte Folded Reload
	ds_bpermute_b32 v204, v145, v147
	s_waitcnt vmcnt(1)
	v_mul_f32_e32 v148, v148, v149
	v_mul_f32_e32 v134, v134, v151
	;; [unrolled: 1-line block ×3, first 2 shown]
	s_mov_b64 s[0:1], 0
	s_waitcnt vmcnt(0)
	v_mul_f32_e32 v130, v130, v133
	ds_bpermute_b32 v133, v145, v147 offset:4
	s_waitcnt lgkmcnt(1)
	v_fma_f32 v130, v130, v204, v146
	s_waitcnt lgkmcnt(0)
	v_fmac_f32_e32 v130, v148, v133
	ds_bpermute_b32 v133, v145, v147 offset:8
	s_waitcnt lgkmcnt(0)
	v_fmac_f32_e32 v130, v134, v133
	ds_bpermute_b32 v133, v145, v147 offset:12
	v_mul_f32_e32 v134, v152, v153
	s_waitcnt lgkmcnt(0)
	v_fmac_f32_e32 v130, v134, v133
	ds_bpermute_b32 v133, v145, v147 offset:16
	v_mul_f32_e32 v134, v150, v154
	;; [unrolled: 4-line block ×3, first 2 shown]
	s_waitcnt lgkmcnt(0)
	v_fmac_f32_e32 v130, v134, v133
	ds_bpermute_b32 v133, v145, v147 offset:24
	s_waitcnt lgkmcnt(0)
	v_fmac_f32_e32 v130, v2, v133
	ds_bpermute_b32 v2, v145, v147 offset:28
	v_mul_f32_e32 v133, v157, v158
	s_waitcnt lgkmcnt(0)
	v_fmac_f32_e32 v130, v133, v2
	ds_bpermute_b32 v2, v145, v147 offset:32
	v_mul_f32_e32 v133, v138, v139
	;; [unrolled: 4-line block ×24, first 2 shown]
	s_waitcnt lgkmcnt(0)
	v_fmac_f32_e32 v130, v133, v2
	ds_bpermute_b32 v2, v145, v147 offset:124
	s_waitcnt lgkmcnt(0)
	v_fmac_f32_e32 v130, v203, v2
.LBB143_219:                            ;   in Loop: Header=BB143_149 Depth=1
	s_and_b64 vcc, exec, s[0:1]
	s_cbranch_vccz .LBB143_225
; %bb.220:                              ;   in Loop: Header=BB143_149 Depth=1
	s_load_dword s0, s[10:11], 0x0
	buffer_load_dword v133, off, s[36:39], 0 offset:292 ; 4-byte Folded Reload
	buffer_load_dword v134, off, s[36:39], 0 offset:296 ; 4-byte Folded Reload
	s_waitcnt lgkmcnt(0)
	s_cmp_lt_u32 s6, s0
	s_cselect_b32 s0, 12, 18
	s_add_u32 s0, s10, s0
	s_addc_u32 s1, s11, 0
	s_waitcnt vmcnt(0)
	global_load_ushort v2, v134, s[0:1]
	s_nop 0
	buffer_load_dword v133, off, s[36:39], 0 offset:284 ; 4-byte Folded Reload
	buffer_load_dword v134, off, s[36:39], 0 offset:288 ; 4-byte Folded Reload
	s_waitcnt vmcnt(1)
	v_mad_u32_u24 v2, v133, v2, v0
	v_and_b32_e32 v130, 63, v2
	v_cmp_gt_u32_e32 vcc, 32, v130
	v_mov_b32_e32 v2, 0
	s_and_saveexec_b64 s[0:1], vcc
	s_cbranch_execz .LBB143_224
; %bb.221:                              ;   in Loop: Header=BB143_149 Depth=1
	v_add_co_u32_e32 v130, vcc, v131, v130
	v_addc_co_u32_e32 v131, vcc, 0, v132, vcc
	v_cmp_gt_i64_e32 vcc, s[12:13], v[130:131]
	v_mov_b32_e32 v2, 0
	s_and_saveexec_b64 s[18:19], vcc
	s_cbranch_execz .LBB143_223
; %bb.222:                              ;   in Loop: Header=BB143_149 Depth=1
	v_lshlrev_b64 v[130:131], 2, v[130:131]
	v_mov_b32_e32 v2, s21
	v_add_co_u32_e32 v130, vcc, s20, v130
	v_addc_co_u32_e32 v131, vcc, v2, v131, vcc
	global_load_dword v2, v[130:131], off
.LBB143_223:                            ;   in Loop: Header=BB143_149 Depth=1
	s_or_b64 exec, exec, s[18:19]
.LBB143_224:                            ;   in Loop: Header=BB143_149 Depth=1
	s_or_b64 exec, exec, s[0:1]
	v_add_co_u32_e32 v130, vcc, v205, v4
	v_addc_co_u32_e32 v131, vcc, v207, v5, vcc
	global_load_dword v133, v[130:131], off
	v_add_co_u32_e32 v130, vcc, v208, v4
	v_addc_co_u32_e32 v131, vcc, v209, v5, vcc
	global_load_dword v134, v[130:131], off
	;; [unrolled: 3-line block ×64, first 2 shown]
	s_waitcnt vmcnt(62)
	ds_bpermute_b32 v132, v145, v2
	v_mul_f32_e32 v133, v133, v134
	s_waitcnt lgkmcnt(0)
	v_fmac_f32_e32 v146, v133, v132
	ds_bpermute_b32 v132, v145, v2 offset:4
	s_waitcnt vmcnt(60)
	v_mul_f32_e32 v133, v137, v138
	s_waitcnt lgkmcnt(0)
	v_fmac_f32_e32 v146, v133, v132
	ds_bpermute_b32 v132, v145, v2 offset:8
	s_waitcnt vmcnt(58)
	;; [unrolled: 5-line block ×13, first 2 shown]
	v_mul_f32_e32 v133, v168, v169
	s_waitcnt vmcnt(0)
	v_mul_f32_e32 v130, v130, v131
	s_waitcnt lgkmcnt(0)
	v_fmac_f32_e32 v146, v133, v132
	ds_bpermute_b32 v132, v145, v2 offset:56
	v_mul_f32_e32 v133, v170, v171
	s_waitcnt lgkmcnt(0)
	v_fmac_f32_e32 v146, v133, v132
	ds_bpermute_b32 v132, v145, v2 offset:60
	v_mul_f32_e32 v133, v172, v173
	s_waitcnt lgkmcnt(0)
	v_fmac_f32_e32 v146, v133, v132
	ds_bpermute_b32 v132, v145, v2 offset:64
	v_mul_f32_e32 v133, v174, v175
	s_waitcnt lgkmcnt(0)
	v_fmac_f32_e32 v146, v133, v132
	ds_bpermute_b32 v132, v145, v2 offset:68
	v_mul_f32_e32 v133, v176, v177
	s_waitcnt lgkmcnt(0)
	v_fmac_f32_e32 v146, v133, v132
	ds_bpermute_b32 v132, v145, v2 offset:72
	v_mul_f32_e32 v133, v178, v179
	s_waitcnt lgkmcnt(0)
	v_fmac_f32_e32 v146, v133, v132
	ds_bpermute_b32 v132, v145, v2 offset:76
	v_mul_f32_e32 v133, v180, v181
	s_waitcnt lgkmcnt(0)
	v_fmac_f32_e32 v146, v133, v132
	ds_bpermute_b32 v132, v145, v2 offset:80
	v_mul_f32_e32 v133, v182, v183
	s_waitcnt lgkmcnt(0)
	v_fmac_f32_e32 v146, v133, v132
	ds_bpermute_b32 v132, v145, v2 offset:84
	v_mul_f32_e32 v133, v184, v185
	s_waitcnt lgkmcnt(0)
	v_fmac_f32_e32 v146, v133, v132
	ds_bpermute_b32 v132, v145, v2 offset:88
	v_mul_f32_e32 v133, v186, v187
	s_waitcnt lgkmcnt(0)
	v_fmac_f32_e32 v146, v133, v132
	ds_bpermute_b32 v132, v145, v2 offset:92
	v_mul_f32_e32 v133, v188, v189
	s_waitcnt lgkmcnt(0)
	v_fmac_f32_e32 v146, v133, v132
	ds_bpermute_b32 v132, v145, v2 offset:96
	v_mul_f32_e32 v133, v190, v191
	s_waitcnt lgkmcnt(0)
	v_fmac_f32_e32 v146, v133, v132
	ds_bpermute_b32 v132, v145, v2 offset:100
	v_mul_f32_e32 v133, v192, v193
	s_waitcnt lgkmcnt(0)
	v_fmac_f32_e32 v146, v133, v132
	ds_bpermute_b32 v132, v145, v2 offset:104
	v_mul_f32_e32 v133, v194, v195
	s_waitcnt lgkmcnt(0)
	v_fmac_f32_e32 v146, v133, v132
	ds_bpermute_b32 v132, v145, v2 offset:108
	v_mul_f32_e32 v133, v196, v197
	s_waitcnt lgkmcnt(0)
	v_fmac_f32_e32 v146, v133, v132
	ds_bpermute_b32 v132, v145, v2 offset:112
	v_mul_f32_e32 v133, v198, v199
	s_waitcnt lgkmcnt(0)
	v_fmac_f32_e32 v146, v133, v132
	ds_bpermute_b32 v132, v145, v2 offset:116
	v_mul_f32_e32 v133, v200, v201
	s_waitcnt lgkmcnt(0)
	v_fmac_f32_e32 v146, v133, v132
	ds_bpermute_b32 v132, v145, v2 offset:120
	ds_bpermute_b32 v2, v145, v2 offset:124
	v_mul_f32_e32 v133, v202, v203
	s_waitcnt lgkmcnt(1)
	v_fmac_f32_e32 v146, v133, v132
	s_waitcnt lgkmcnt(0)
	v_fmac_f32_e32 v146, v130, v2
	v_mov_b32_e32 v130, v146
.LBB143_225:                            ;   in Loop: Header=BB143_149 Depth=1
	v_add_co_u32_e32 v205, vcc, s24, v205
	v_mov_b32_e32 v2, s25
	v_addc_co_u32_e32 v207, vcc, v207, v2, vcc
	v_add_co_u32_e32 v208, vcc, s24, v208
	v_addc_co_u32_e32 v209, vcc, v209, v2, vcc
	v_add_co_u32_e32 v135, vcc, s7, v135
	;; [unrolled: 2-line block ×50, first 2 shown]
	buffer_load_dword v131, off, s[36:39], 0 ; 4-byte Folded Reload
	v_addc_co_u32_e32 v101, vcc, v101, v2, vcc
	v_add_co_u32_e32 v102, vcc, s24, v102
	v_addc_co_u32_e32 v103, vcc, v103, v2, vcc
	v_add_co_u32_e32 v104, vcc, s24, v104
	;; [unrolled: 2-line block ×39, first 2 shown]
	v_addc_co_u32_e32 v1, vcc, v1, v2, vcc
	s_waitcnt vmcnt(0)
	v_add_co_u32_e32 v131, vcc, s24, v131
	buffer_store_dword v131, off, s[36:39], 0 ; 4-byte Folded Spill
	buffer_load_dword v131, off, s[36:39], 0 offset:4 ; 4-byte Folded Reload
	s_add_u32 s16, s16, s7
	s_addc_u32 s17, s17, 0
	s_add_u32 s26, s26, s7
	s_addc_u32 s27, 0, s27
	s_waitcnt vmcnt(0)
	v_addc_co_u32_e32 v131, vcc, v131, v2, vcc
	buffer_store_dword v131, off, s[36:39], 0 offset:4 ; 4-byte Folded Spill
	buffer_load_dword v131, off, s[36:39], 0 offset:8 ; 4-byte Folded Reload
	s_waitcnt vmcnt(0)
	v_add_co_u32_e32 v131, vcc, s24, v131
	buffer_store_dword v131, off, s[36:39], 0 offset:8 ; 4-byte Folded Spill
	buffer_load_dword v131, off, s[36:39], 0 offset:12 ; 4-byte Folded Reload
	s_waitcnt vmcnt(0)
	v_addc_co_u32_e32 v131, vcc, v131, v2, vcc
	buffer_store_dword v131, off, s[36:39], 0 offset:12 ; 4-byte Folded Spill
	buffer_load_dword v131, off, s[36:39], 0 offset:16 ; 4-byte Folded Reload
	s_waitcnt vmcnt(0)
	v_add_co_u32_e32 v131, vcc, s24, v131
	buffer_store_dword v131, off, s[36:39], 0 offset:16 ; 4-byte Folded Spill
	buffer_load_dword v131, off, s[36:39], 0 offset:20 ; 4-byte Folded Reload
	;; [unrolled: 8-line block ×34, first 2 shown]
	s_waitcnt vmcnt(0)
	v_addc_co_u32_e32 v131, vcc, v131, v2, vcc
	v_add_co_u32_e32 v141, vcc, s24, v141
	v_addc_co_u32_e32 v142, vcc, v142, v2, vcc
	buffer_store_dword v131, off, s[36:39], 0 offset:276 ; 4-byte Folded Spill
	v_add_co_u32_e32 v143, vcc, s24, v143
	v_mov_b32_e32 v132, s13
	v_addc_co_u32_e32 v144, vcc, v144, v2, vcc
	v_mov_b32_e32 v131, s12
	v_cmp_ge_i64_e32 vcc, s[16:17], v[131:132]
	s_cbranch_vccnz .LBB143_227
; %bb.226:                              ;   in Loop: Header=BB143_149 Depth=1
	v_mov_b32_e32 v146, v130
	s_branch .LBB143_149
.LBB143_227:
	buffer_load_dword v1, off, s[36:39], 0 offset:284 ; 4-byte Folded Reload
	buffer_load_dword v2, off, s[36:39], 0 offset:288 ; 4-byte Folded Reload
.LBB143_228:
	s_mov_b32 s7, 0
	s_lshl_b64 s[0:1], s[6:7], 6
	v_or_b32_e32 v3, s0, v0
	v_mov_b32_e32 v4, s1
	v_cmp_gt_i64_e32 vcc, s[14:15], v[3:4]
	s_waitcnt lgkmcnt(0)
	s_cmp_lg_u64 s[2:3], 0
	s_cselect_b64 s[0:1], -1, 0
	s_and_b64 s[0:1], vcc, s[0:1]
	s_and_saveexec_b64 s[6:7], s[0:1]
	s_cbranch_execz .LBB143_230
; %bb.229:
	s_load_dword s0, s[4:5], 0x4c
	s_waitcnt vmcnt(0)
	v_mov_b32_e32 v2, 0
	v_mov_b32_e32 v0, s8
	;; [unrolled: 1-line block ×3, first 2 shown]
	s_waitcnt lgkmcnt(0)
	s_lshr_b32 s0, s0, 16
	v_mad_u64_u32 v[0:1], s[0:1], s0, v0, v[1:2]
	v_lshlrev_b64 v[2:3], 2, v[3:4]
	v_mul_lo_u32 v5, v1, s14
	v_mul_lo_u32 v6, v0, s15
	v_mad_u64_u32 v[0:1], s[0:1], v0, s14, 0
	v_add3_u32 v1, v1, v6, v5
	v_lshlrev_b64 v[0:1], 2, v[0:1]
	v_add_co_u32_e32 v0, vcc, s2, v0
	v_addc_co_u32_e32 v1, vcc, v7, v1, vcc
	v_add_co_u32_e32 v0, vcc, v0, v2
	v_addc_co_u32_e32 v1, vcc, v1, v3, vcc
	global_store_dword v[0:1], v130, off
.LBB143_230:
	s_endpgm
	.section	.rodata,"a",@progbits
	.p2align	6, 0x0
	.amdhsa_kernel _ZN2at6native12_GLOBAL__N_135GammaBetaBackwardCUDAKernelTemplateIffLj64ELj1ELj32ELb1ELb0ELb1EEEvllPKT_S5_PKT0_S8_PS3_S9_
		.amdhsa_group_segment_fixed_size 0
		.amdhsa_private_segment_fixed_size 304
		.amdhsa_kernarg_size 320
		.amdhsa_user_sgpr_count 6
		.amdhsa_user_sgpr_private_segment_buffer 1
		.amdhsa_user_sgpr_dispatch_ptr 0
		.amdhsa_user_sgpr_queue_ptr 0
		.amdhsa_user_sgpr_kernarg_segment_ptr 1
		.amdhsa_user_sgpr_dispatch_id 0
		.amdhsa_user_sgpr_flat_scratch_init 0
		.amdhsa_user_sgpr_private_segment_size 0
		.amdhsa_uses_dynamic_stack 0
		.amdhsa_system_sgpr_private_segment_wavefront_offset 1
		.amdhsa_system_sgpr_workgroup_id_x 1
		.amdhsa_system_sgpr_workgroup_id_y 1
		.amdhsa_system_sgpr_workgroup_id_z 0
		.amdhsa_system_sgpr_workgroup_info 0
		.amdhsa_system_vgpr_workitem_id 1
		.amdhsa_next_free_vgpr 256
		.amdhsa_next_free_sgpr 40
		.amdhsa_reserve_vcc 1
		.amdhsa_reserve_flat_scratch 0
		.amdhsa_float_round_mode_32 0
		.amdhsa_float_round_mode_16_64 0
		.amdhsa_float_denorm_mode_32 3
		.amdhsa_float_denorm_mode_16_64 3
		.amdhsa_dx10_clamp 1
		.amdhsa_ieee_mode 1
		.amdhsa_fp16_overflow 0
		.amdhsa_exception_fp_ieee_invalid_op 0
		.amdhsa_exception_fp_denorm_src 0
		.amdhsa_exception_fp_ieee_div_zero 0
		.amdhsa_exception_fp_ieee_overflow 0
		.amdhsa_exception_fp_ieee_underflow 0
		.amdhsa_exception_fp_ieee_inexact 0
		.amdhsa_exception_int_div_zero 0
	.end_amdhsa_kernel
	.section	.text._ZN2at6native12_GLOBAL__N_135GammaBetaBackwardCUDAKernelTemplateIffLj64ELj1ELj32ELb1ELb0ELb1EEEvllPKT_S5_PKT0_S8_PS3_S9_,"axG",@progbits,_ZN2at6native12_GLOBAL__N_135GammaBetaBackwardCUDAKernelTemplateIffLj64ELj1ELj32ELb1ELb0ELb1EEEvllPKT_S5_PKT0_S8_PS3_S9_,comdat
.Lfunc_end143:
	.size	_ZN2at6native12_GLOBAL__N_135GammaBetaBackwardCUDAKernelTemplateIffLj64ELj1ELj32ELb1ELb0ELb1EEEvllPKT_S5_PKT0_S8_PS3_S9_, .Lfunc_end143-_ZN2at6native12_GLOBAL__N_135GammaBetaBackwardCUDAKernelTemplateIffLj64ELj1ELj32ELb1ELb0ELb1EEEvllPKT_S5_PKT0_S8_PS3_S9_
                                        ; -- End function
	.set _ZN2at6native12_GLOBAL__N_135GammaBetaBackwardCUDAKernelTemplateIffLj64ELj1ELj32ELb1ELb0ELb1EEEvllPKT_S5_PKT0_S8_PS3_S9_.num_vgpr, 256
	.set _ZN2at6native12_GLOBAL__N_135GammaBetaBackwardCUDAKernelTemplateIffLj64ELj1ELj32ELb1ELb0ELb1EEEvllPKT_S5_PKT0_S8_PS3_S9_.num_agpr, 0
	.set _ZN2at6native12_GLOBAL__N_135GammaBetaBackwardCUDAKernelTemplateIffLj64ELj1ELj32ELb1ELb0ELb1EEEvllPKT_S5_PKT0_S8_PS3_S9_.numbered_sgpr, 40
	.set _ZN2at6native12_GLOBAL__N_135GammaBetaBackwardCUDAKernelTemplateIffLj64ELj1ELj32ELb1ELb0ELb1EEEvllPKT_S5_PKT0_S8_PS3_S9_.num_named_barrier, 0
	.set _ZN2at6native12_GLOBAL__N_135GammaBetaBackwardCUDAKernelTemplateIffLj64ELj1ELj32ELb1ELb0ELb1EEEvllPKT_S5_PKT0_S8_PS3_S9_.private_seg_size, 304
	.set _ZN2at6native12_GLOBAL__N_135GammaBetaBackwardCUDAKernelTemplateIffLj64ELj1ELj32ELb1ELb0ELb1EEEvllPKT_S5_PKT0_S8_PS3_S9_.uses_vcc, 1
	.set _ZN2at6native12_GLOBAL__N_135GammaBetaBackwardCUDAKernelTemplateIffLj64ELj1ELj32ELb1ELb0ELb1EEEvllPKT_S5_PKT0_S8_PS3_S9_.uses_flat_scratch, 0
	.set _ZN2at6native12_GLOBAL__N_135GammaBetaBackwardCUDAKernelTemplateIffLj64ELj1ELj32ELb1ELb0ELb1EEEvllPKT_S5_PKT0_S8_PS3_S9_.has_dyn_sized_stack, 0
	.set _ZN2at6native12_GLOBAL__N_135GammaBetaBackwardCUDAKernelTemplateIffLj64ELj1ELj32ELb1ELb0ELb1EEEvllPKT_S5_PKT0_S8_PS3_S9_.has_recursion, 0
	.set _ZN2at6native12_GLOBAL__N_135GammaBetaBackwardCUDAKernelTemplateIffLj64ELj1ELj32ELb1ELb0ELb1EEEvllPKT_S5_PKT0_S8_PS3_S9_.has_indirect_call, 0
	.section	.AMDGPU.csdata,"",@progbits
; Kernel info:
; codeLenInByte = 22104
; TotalNumSgprs: 44
; NumVgprs: 256
; ScratchSize: 304
; MemoryBound: 0
; FloatMode: 240
; IeeeMode: 1
; LDSByteSize: 0 bytes/workgroup (compile time only)
; SGPRBlocks: 5
; VGPRBlocks: 63
; NumSGPRsForWavesPerEU: 44
; NumVGPRsForWavesPerEU: 256
; Occupancy: 1
; WaveLimiterHint : 0
; COMPUTE_PGM_RSRC2:SCRATCH_EN: 1
; COMPUTE_PGM_RSRC2:USER_SGPR: 6
; COMPUTE_PGM_RSRC2:TRAP_HANDLER: 0
; COMPUTE_PGM_RSRC2:TGID_X_EN: 1
; COMPUTE_PGM_RSRC2:TGID_Y_EN: 1
; COMPUTE_PGM_RSRC2:TGID_Z_EN: 0
; COMPUTE_PGM_RSRC2:TIDIG_COMP_CNT: 1
	.section	.text._ZN2at6native12_GLOBAL__N_135GammaBetaBackwardCUDAKernelTemplateIffLj64ELj1ELj8ELb1ELb1ELb1EEEvllPKT_S5_PKT0_S8_PS3_S9_,"axG",@progbits,_ZN2at6native12_GLOBAL__N_135GammaBetaBackwardCUDAKernelTemplateIffLj64ELj1ELj8ELb1ELb1ELb1EEEvllPKT_S5_PKT0_S8_PS3_S9_,comdat
	.globl	_ZN2at6native12_GLOBAL__N_135GammaBetaBackwardCUDAKernelTemplateIffLj64ELj1ELj8ELb1ELb1ELb1EEEvllPKT_S5_PKT0_S8_PS3_S9_ ; -- Begin function _ZN2at6native12_GLOBAL__N_135GammaBetaBackwardCUDAKernelTemplateIffLj64ELj1ELj8ELb1ELb1ELb1EEEvllPKT_S5_PKT0_S8_PS3_S9_
	.p2align	8
	.type	_ZN2at6native12_GLOBAL__N_135GammaBetaBackwardCUDAKernelTemplateIffLj64ELj1ELj8ELb1ELb1ELb1EEEvllPKT_S5_PKT0_S8_PS3_S9_,@function
_ZN2at6native12_GLOBAL__N_135GammaBetaBackwardCUDAKernelTemplateIffLj64ELj1ELj8ELb1ELb1ELb1EEEvllPKT_S5_PKT0_S8_PS3_S9_: ; @_ZN2at6native12_GLOBAL__N_135GammaBetaBackwardCUDAKernelTemplateIffLj64ELj1ELj8ELb1ELb1ELb1EEEvllPKT_S5_PKT0_S8_PS3_S9_
; %bb.0:
	s_load_dwordx4 s[8:11], s[4:5], 0x0
	s_load_dwordx2 s[16:17], s[4:5], 0x30
	s_lshl_b32 s18, s7, 3
	s_mov_b32 s19, 0
	v_mov_b32_e32 v2, s18
	v_mov_b32_e32 v3, s19
	s_waitcnt lgkmcnt(0)
	v_cmp_le_i64_e32 vcc, s[8:9], v[2:3]
	v_mov_b32_e32 v3, 0
	s_cbranch_vccnz .LBB144_7
; %bb.1:
	s_load_dword s0, s[4:5], 0x4c
	s_load_dword s22, s[4:5], 0x44
	s_load_dwordx4 s[12:15], s[4:5], 0x10
	s_load_dwordx2 s[2:3], s[4:5], 0x28
	v_lshlrev_b32_e32 v4, 3, v1
	s_waitcnt lgkmcnt(0)
	s_and_b32 s0, s0, 0xffff
	v_mad_u32_u24 v2, v1, s0, v0
	v_and_b32_e32 v5, 63, v2
	v_add_co_u32_e32 v9, vcc, s18, v4
	v_mbcnt_lo_u32_b32 v6, -1, 0
	v_addc_co_u32_e64 v10, s[20:21], 0, 0, vcc
	v_add_co_u32_e32 v4, vcc, v9, v5
	v_cmp_gt_u32_e64 s[0:1], 8, v5
	v_mbcnt_hi_u32_b32 v6, -1, v6
	v_addc_co_u32_e32 v5, vcc, 0, v10, vcc
	v_mul_lo_u32 v13, s11, v9
	v_mul_lo_u32 v14, s10, v10
	v_mad_u64_u32 v[10:11], s[20:21], s10, v9, 0
	v_lshlrev_b32_e32 v6, 2, v6
	v_and_b32_e32 v8, 0x100, v6
	v_lshlrev_b64 v[6:7], 2, v[4:5]
	v_mov_b32_e32 v3, 0
	v_lshl_or_b32 v2, s6, 6, v0
	v_mov_b32_e32 v12, s3
	v_add_co_u32_e32 v6, vcc, s2, v6
	v_add3_u32 v11, v11, v14, v13
	v_addc_co_u32_e32 v7, vcc, v12, v7, vcc
	v_lshlrev_b64 v[10:11], 2, v[10:11]
	v_lshlrev_b64 v[12:13], 2, v[2:3]
	s_lshl_b32 s20, s22, 3
	s_mul_i32 s2, s11, s20
	s_mul_hi_u32 s3, s10, s20
	v_add_co_u32_e32 v2, vcc, v10, v12
	s_mov_b32 s21, s19
	s_add_i32 s3, s3, s2
	s_mul_i32 s2, s10, s20
	v_or_b32_e32 v9, 20, v8
	v_addc_co_u32_e32 v10, vcc, v11, v13, vcc
	v_or_b32_e32 v11, 24, v8
	v_or_b32_e32 v12, 28, v8
	s_lshl_b64 s[22:23], s[20:21], 2
	s_lshl_b64 s[24:25], s[2:3], 2
	;; [unrolled: 1-line block ×3, first 2 shown]
	s_branch .LBB144_4
.LBB144_2:                              ;   in Loop: Header=BB144_4 Depth=1
	s_or_b64 exec, exec, s[28:29]
.LBB144_3:                              ;   in Loop: Header=BB144_4 Depth=1
	s_or_b64 exec, exec, s[2:3]
	v_mov_b32_e32 v15, s13
	v_add_co_u32_e32 v14, vcc, s12, v2
	v_addc_co_u32_e32 v15, vcc, v15, v10, vcc
	v_mov_b32_e32 v20, s27
	v_add_co_u32_e32 v16, vcc, s26, v14
	v_addc_co_u32_e32 v17, vcc, v15, v20, vcc
	global_load_dword v21, v[14:15], off
	v_mov_b32_e32 v15, s15
	v_add_co_u32_e32 v14, vcc, s14, v2
	v_addc_co_u32_e32 v15, vcc, v15, v10, vcc
	v_add_co_u32_e32 v18, vcc, s26, v14
	global_load_dword v14, v[14:15], off
	v_addc_co_u32_e32 v19, vcc, v15, v20, vcc
	s_waitcnt vmcnt(2)
	ds_bpermute_b32 v15, v8, v13
	s_add_u32 s18, s18, s20
	s_addc_u32 s19, s19, 0
	v_add_co_u32_e64 v6, s[2:3], s22, v6
	s_waitcnt vmcnt(0)
	v_mul_f32_e32 v14, v21, v14
	s_waitcnt lgkmcnt(0)
	v_fmac_f32_e32 v3, v14, v15
	v_add_co_u32_e32 v14, vcc, s26, v16
	v_addc_co_u32_e32 v15, vcc, v17, v20, vcc
	global_load_dword v21, v[16:17], off
	v_add_co_u32_e32 v16, vcc, s26, v18
	global_load_dword v18, v[18:19], off
	v_addc_co_u32_e32 v17, vcc, v19, v20, vcc
	v_or_b32_e32 v19, 4, v8
	ds_bpermute_b32 v19, v19, v13
	s_waitcnt vmcnt(0)
	v_mul_f32_e32 v18, v21, v18
	s_waitcnt lgkmcnt(0)
	v_fmac_f32_e32 v3, v18, v19
	v_add_co_u32_e32 v18, vcc, s26, v14
	v_addc_co_u32_e32 v19, vcc, v15, v20, vcc
	global_load_dword v21, v[14:15], off
	v_add_co_u32_e32 v14, vcc, s26, v16
	global_load_dword v16, v[16:17], off
	v_addc_co_u32_e32 v15, vcc, v17, v20, vcc
	v_or_b32_e32 v17, 8, v8
	ds_bpermute_b32 v17, v17, v13
	;; [unrolled: 12-line block ×3, first 2 shown]
	s_waitcnt vmcnt(0)
	v_mul_f32_e32 v14, v21, v14
	s_waitcnt lgkmcnt(0)
	v_fmac_f32_e32 v3, v14, v15
	v_add_co_u32_e32 v14, vcc, s26, v16
	v_addc_co_u32_e32 v15, vcc, v17, v20, vcc
	global_load_dword v21, v[16:17], off
	v_add_co_u32_e32 v16, vcc, s26, v18
	global_load_dword v18, v[18:19], off
	v_addc_co_u32_e32 v17, vcc, v19, v20, vcc
	global_load_dword v22, v[16:17], off
	v_or_b32_e32 v19, 16, v8
	ds_bpermute_b32 v19, v19, v13
	s_waitcnt vmcnt(1)
	v_mul_f32_e32 v18, v21, v18
	s_waitcnt lgkmcnt(0)
	v_fmac_f32_e32 v3, v18, v19
	v_add_co_u32_e32 v18, vcc, s26, v14
	v_addc_co_u32_e32 v19, vcc, v15, v20, vcc
	global_load_dword v21, v[14:15], off
	v_add_co_u32_e32 v14, vcc, s26, v16
	v_addc_co_u32_e32 v15, vcc, v17, v20, vcc
	v_add_co_u32_e32 v16, vcc, s26, v18
	v_addc_co_u32_e32 v17, vcc, v19, v20, vcc
	global_load_dword v23, v[18:19], off
	v_add_co_u32_e32 v18, vcc, s26, v14
	v_addc_co_u32_e32 v19, vcc, v15, v20, vcc
	global_load_dword v14, v[14:15], off
	s_nop 0
	global_load_dword v15, v[16:17], off
	global_load_dword v20, v[18:19], off
	ds_bpermute_b32 v16, v9, v13
	ds_bpermute_b32 v18, v11, v13
	;; [unrolled: 1-line block ×3, first 2 shown]
	s_waitcnt vmcnt(4)
	v_mul_f32_e32 v17, v21, v22
	s_waitcnt lgkmcnt(2)
	v_fmac_f32_e32 v3, v17, v16
	s_waitcnt vmcnt(2)
	v_mul_f32_e32 v14, v23, v14
	s_waitcnt lgkmcnt(1)
	v_fmac_f32_e32 v3, v14, v18
	;; [unrolled: 4-line block ×3, first 2 shown]
	v_mov_b32_e32 v14, s9
	v_mov_b32_e32 v13, s8
	v_cmp_lt_i64_e32 vcc, s[18:19], v[13:14]
	v_mov_b32_e32 v13, s23
	v_addc_co_u32_e64 v7, s[2:3], v7, v13, s[2:3]
	v_mov_b32_e32 v13, s25
	v_add_co_u32_e64 v2, s[2:3], s24, v2
	v_addc_co_u32_e64 v10, s[2:3], v10, v13, s[2:3]
	v_add_co_u32_e64 v4, s[2:3], s20, v4
	v_addc_co_u32_e64 v5, s[2:3], 0, v5, s[2:3]
	s_cbranch_vccz .LBB144_7
.LBB144_4:                              ; =>This Inner Loop Header: Depth=1
	v_mov_b32_e32 v13, 0
	s_and_saveexec_b64 s[2:3], s[0:1]
	s_cbranch_execz .LBB144_3
; %bb.5:                                ;   in Loop: Header=BB144_4 Depth=1
	v_cmp_gt_i64_e32 vcc, s[8:9], v[4:5]
	v_mov_b32_e32 v13, 0
	s_and_saveexec_b64 s[28:29], vcc
	s_cbranch_execz .LBB144_2
; %bb.6:                                ;   in Loop: Header=BB144_4 Depth=1
	global_load_dword v13, v[6:7], off
	s_branch .LBB144_2
.LBB144_7:
	s_cmp_eq_u64 s[16:17], 0
	s_cbranch_scc1 .LBB144_9
; %bb.8:
	s_load_dword s0, s[4:5], 0x4c
	v_mov_b32_e32 v2, 0
	v_mov_b32_e32 v4, s7
	s_mov_b32 s7, 0
	v_mov_b32_e32 v6, s17
	s_waitcnt lgkmcnt(0)
	s_lshr_b32 s0, s0, 16
	v_mad_u64_u32 v[1:2], s[0:1], s0, v4, v[1:2]
	v_lshlrev_b32_e32 v0, 2, v0
	v_mul_lo_u32 v4, v2, s10
	v_mul_lo_u32 v5, v1, s11
	v_mad_u64_u32 v[1:2], s[0:1], v1, s10, 0
	s_lshl_b64 s[0:1], s[6:7], 8
	v_add3_u32 v2, v2, v5, v4
	v_lshlrev_b64 v[1:2], 2, v[1:2]
	v_mov_b32_e32 v4, s1
	v_add_co_u32_e32 v1, vcc, s16, v1
	v_addc_co_u32_e32 v2, vcc, v6, v2, vcc
	v_add_co_u32_e32 v1, vcc, s0, v1
	v_addc_co_u32_e32 v2, vcc, v2, v4, vcc
	;; [unrolled: 2-line block ×3, first 2 shown]
	global_store_dword v[0:1], v3, off
.LBB144_9:
	s_endpgm
	.section	.rodata,"a",@progbits
	.p2align	6, 0x0
	.amdhsa_kernel _ZN2at6native12_GLOBAL__N_135GammaBetaBackwardCUDAKernelTemplateIffLj64ELj1ELj8ELb1ELb1ELb1EEEvllPKT_S5_PKT0_S8_PS3_S9_
		.amdhsa_group_segment_fixed_size 0
		.amdhsa_private_segment_fixed_size 0
		.amdhsa_kernarg_size 320
		.amdhsa_user_sgpr_count 6
		.amdhsa_user_sgpr_private_segment_buffer 1
		.amdhsa_user_sgpr_dispatch_ptr 0
		.amdhsa_user_sgpr_queue_ptr 0
		.amdhsa_user_sgpr_kernarg_segment_ptr 1
		.amdhsa_user_sgpr_dispatch_id 0
		.amdhsa_user_sgpr_flat_scratch_init 0
		.amdhsa_user_sgpr_private_segment_size 0
		.amdhsa_uses_dynamic_stack 0
		.amdhsa_system_sgpr_private_segment_wavefront_offset 0
		.amdhsa_system_sgpr_workgroup_id_x 1
		.amdhsa_system_sgpr_workgroup_id_y 1
		.amdhsa_system_sgpr_workgroup_id_z 0
		.amdhsa_system_sgpr_workgroup_info 0
		.amdhsa_system_vgpr_workitem_id 1
		.amdhsa_next_free_vgpr 24
		.amdhsa_next_free_sgpr 30
		.amdhsa_reserve_vcc 1
		.amdhsa_reserve_flat_scratch 0
		.amdhsa_float_round_mode_32 0
		.amdhsa_float_round_mode_16_64 0
		.amdhsa_float_denorm_mode_32 3
		.amdhsa_float_denorm_mode_16_64 3
		.amdhsa_dx10_clamp 1
		.amdhsa_ieee_mode 1
		.amdhsa_fp16_overflow 0
		.amdhsa_exception_fp_ieee_invalid_op 0
		.amdhsa_exception_fp_denorm_src 0
		.amdhsa_exception_fp_ieee_div_zero 0
		.amdhsa_exception_fp_ieee_overflow 0
		.amdhsa_exception_fp_ieee_underflow 0
		.amdhsa_exception_fp_ieee_inexact 0
		.amdhsa_exception_int_div_zero 0
	.end_amdhsa_kernel
	.section	.text._ZN2at6native12_GLOBAL__N_135GammaBetaBackwardCUDAKernelTemplateIffLj64ELj1ELj8ELb1ELb1ELb1EEEvllPKT_S5_PKT0_S8_PS3_S9_,"axG",@progbits,_ZN2at6native12_GLOBAL__N_135GammaBetaBackwardCUDAKernelTemplateIffLj64ELj1ELj8ELb1ELb1ELb1EEEvllPKT_S5_PKT0_S8_PS3_S9_,comdat
.Lfunc_end144:
	.size	_ZN2at6native12_GLOBAL__N_135GammaBetaBackwardCUDAKernelTemplateIffLj64ELj1ELj8ELb1ELb1ELb1EEEvllPKT_S5_PKT0_S8_PS3_S9_, .Lfunc_end144-_ZN2at6native12_GLOBAL__N_135GammaBetaBackwardCUDAKernelTemplateIffLj64ELj1ELj8ELb1ELb1ELb1EEEvllPKT_S5_PKT0_S8_PS3_S9_
                                        ; -- End function
	.set _ZN2at6native12_GLOBAL__N_135GammaBetaBackwardCUDAKernelTemplateIffLj64ELj1ELj8ELb1ELb1ELb1EEEvllPKT_S5_PKT0_S8_PS3_S9_.num_vgpr, 24
	.set _ZN2at6native12_GLOBAL__N_135GammaBetaBackwardCUDAKernelTemplateIffLj64ELj1ELj8ELb1ELb1ELb1EEEvllPKT_S5_PKT0_S8_PS3_S9_.num_agpr, 0
	.set _ZN2at6native12_GLOBAL__N_135GammaBetaBackwardCUDAKernelTemplateIffLj64ELj1ELj8ELb1ELb1ELb1EEEvllPKT_S5_PKT0_S8_PS3_S9_.numbered_sgpr, 30
	.set _ZN2at6native12_GLOBAL__N_135GammaBetaBackwardCUDAKernelTemplateIffLj64ELj1ELj8ELb1ELb1ELb1EEEvllPKT_S5_PKT0_S8_PS3_S9_.num_named_barrier, 0
	.set _ZN2at6native12_GLOBAL__N_135GammaBetaBackwardCUDAKernelTemplateIffLj64ELj1ELj8ELb1ELb1ELb1EEEvllPKT_S5_PKT0_S8_PS3_S9_.private_seg_size, 0
	.set _ZN2at6native12_GLOBAL__N_135GammaBetaBackwardCUDAKernelTemplateIffLj64ELj1ELj8ELb1ELb1ELb1EEEvllPKT_S5_PKT0_S8_PS3_S9_.uses_vcc, 1
	.set _ZN2at6native12_GLOBAL__N_135GammaBetaBackwardCUDAKernelTemplateIffLj64ELj1ELj8ELb1ELb1ELb1EEEvllPKT_S5_PKT0_S8_PS3_S9_.uses_flat_scratch, 0
	.set _ZN2at6native12_GLOBAL__N_135GammaBetaBackwardCUDAKernelTemplateIffLj64ELj1ELj8ELb1ELb1ELb1EEEvllPKT_S5_PKT0_S8_PS3_S9_.has_dyn_sized_stack, 0
	.set _ZN2at6native12_GLOBAL__N_135GammaBetaBackwardCUDAKernelTemplateIffLj64ELj1ELj8ELb1ELb1ELb1EEEvllPKT_S5_PKT0_S8_PS3_S9_.has_recursion, 0
	.set _ZN2at6native12_GLOBAL__N_135GammaBetaBackwardCUDAKernelTemplateIffLj64ELj1ELj8ELb1ELb1ELb1EEEvllPKT_S5_PKT0_S8_PS3_S9_.has_indirect_call, 0
	.section	.AMDGPU.csdata,"",@progbits
; Kernel info:
; codeLenInByte = 1052
; TotalNumSgprs: 34
; NumVgprs: 24
; ScratchSize: 0
; MemoryBound: 0
; FloatMode: 240
; IeeeMode: 1
; LDSByteSize: 0 bytes/workgroup (compile time only)
; SGPRBlocks: 4
; VGPRBlocks: 5
; NumSGPRsForWavesPerEU: 34
; NumVGPRsForWavesPerEU: 24
; Occupancy: 10
; WaveLimiterHint : 0
; COMPUTE_PGM_RSRC2:SCRATCH_EN: 0
; COMPUTE_PGM_RSRC2:USER_SGPR: 6
; COMPUTE_PGM_RSRC2:TRAP_HANDLER: 0
; COMPUTE_PGM_RSRC2:TGID_X_EN: 1
; COMPUTE_PGM_RSRC2:TGID_Y_EN: 1
; COMPUTE_PGM_RSRC2:TGID_Z_EN: 0
; COMPUTE_PGM_RSRC2:TIDIG_COMP_CNT: 1
	.section	.text._ZN2at6native12_GLOBAL__N_135GammaBetaBackwardCUDAKernelTemplateIffLj64ELj1ELj8ELb1ELb0ELb1EEEvllPKT_S5_PKT0_S8_PS3_S9_,"axG",@progbits,_ZN2at6native12_GLOBAL__N_135GammaBetaBackwardCUDAKernelTemplateIffLj64ELj1ELj8ELb1ELb0ELb1EEEvllPKT_S5_PKT0_S8_PS3_S9_,comdat
	.globl	_ZN2at6native12_GLOBAL__N_135GammaBetaBackwardCUDAKernelTemplateIffLj64ELj1ELj8ELb1ELb0ELb1EEEvllPKT_S5_PKT0_S8_PS3_S9_ ; -- Begin function _ZN2at6native12_GLOBAL__N_135GammaBetaBackwardCUDAKernelTemplateIffLj64ELj1ELj8ELb1ELb0ELb1EEEvllPKT_S5_PKT0_S8_PS3_S9_
	.p2align	8
	.type	_ZN2at6native12_GLOBAL__N_135GammaBetaBackwardCUDAKernelTemplateIffLj64ELj1ELj8ELb1ELb0ELb1EEEvllPKT_S5_PKT0_S8_PS3_S9_,@function
_ZN2at6native12_GLOBAL__N_135GammaBetaBackwardCUDAKernelTemplateIffLj64ELj1ELj8ELb1ELb0ELb1EEEvllPKT_S5_PKT0_S8_PS3_S9_: ; @_ZN2at6native12_GLOBAL__N_135GammaBetaBackwardCUDAKernelTemplateIffLj64ELj1ELj8ELb1ELb0ELb1EEEvllPKT_S5_PKT0_S8_PS3_S9_
; %bb.0:
	s_mov_b32 s8, s7
	s_load_dwordx8 s[12:19], s[4:5], 0x0
	s_load_dwordx2 s[20:21], s[4:5], 0x28
	s_lshl_b32 s22, s8, 3
	s_lshl_b32 s7, s6, 6
	s_mov_b32 s23, 0
	v_mov_b32_e32 v2, s22
	s_or_b32 s0, s7, 63
	v_mov_b32_e32 v3, s23
	v_mov_b32_e32 v48, s0
	;; [unrolled: 1-line block ×3, first 2 shown]
	s_waitcnt lgkmcnt(0)
	v_cmp_gt_i64_e64 s[0:1], s[12:13], v[2:3]
	v_cmp_le_i64_e32 vcc, s[14:15], v[48:49]
	v_cndmask_b32_e64 v2, 0, 1, s[0:1]
	v_cmp_ne_u32_e64 s[0:1], 1, v2
	s_cbranch_vccz .LBB145_49
; %bb.1:
	s_and_b64 vcc, exec, s[0:1]
	s_cbranch_vccnz .LBB145_50
; %bb.2:
	v_lshlrev_b32_e32 v23, 3, v1
	v_add_co_u32_e32 v9, vcc, s22, v23
	v_addc_co_u32_e64 v10, s[2:3], 0, 0, vcc
	v_mul_lo_u32 v7, s15, v9
	v_mul_lo_u32 v8, s14, v10
	v_mad_u64_u32 v[5:6], s[2:3], s14, v9, 0
	v_mov_b32_e32 v2, 0
	s_load_dword s9, s[4:5], 0x44
	v_add_u32_e32 v3, s7, v0
	v_mov_b32_e32 v4, v2
	v_add3_u32 v6, v6, v8, v7
	v_cmp_gt_i64_e64 s[2:3], s[14:15], v[3:4]
	v_lshlrev_b64 v[19:20], 2, v[3:4]
	v_lshlrev_b64 v[3:4], 2, v[5:6]
	s_add_u32 s24, s4, 64
	v_mov_b32_e32 v7, s17
	v_add_co_u32_e32 v25, vcc, s16, v3
	s_addc_u32 s25, s5, 0
	s_waitcnt lgkmcnt(0)
	s_lshl_b32 s9, s9, 3
	v_addc_co_u32_e32 v26, vcc, v7, v4, vcc
	s_mul_i32 s10, s15, s9
	s_mul_hi_u32 s11, s14, s9
	v_add_co_u32_e32 v7, vcc, 7, v9
	s_add_i32 s11, s11, s10
	s_mul_i32 s10, s14, s9
	v_addc_co_u32_e32 v8, vcc, 0, v10, vcc
	s_lshl_b64 s[26:27], s[10:11], 2
	v_mul_lo_u32 v12, s15, v7
	v_mul_lo_u32 v13, s14, v8
	v_mad_u64_u32 v[7:8], s[10:11], s14, v7, 0
	v_mov_b32_e32 v11, s19
	v_add_co_u32_e32 v27, vcc, s18, v3
	v_add3_u32 v8, v8, v13, v12
	v_addc_co_u32_e32 v28, vcc, v11, v4, vcc
	v_lshlrev_b64 v[3:4], 2, v[7:8]
	v_mov_b32_e32 v7, s17
	v_add_co_u32_e32 v29, vcc, s16, v3
	v_addc_co_u32_e32 v30, vcc, v7, v4, vcc
	v_add_co_u32_e32 v7, vcc, 6, v9
	v_addc_co_u32_e32 v8, vcc, 0, v10, vcc
	v_mul_lo_u32 v12, s15, v7
	v_mul_lo_u32 v13, s14, v8
	v_mad_u64_u32 v[7:8], s[10:11], s14, v7, 0
	v_add_co_u32_e32 v31, vcc, s18, v3
	v_add3_u32 v8, v8, v13, v12
	v_addc_co_u32_e32 v32, vcc, v11, v4, vcc
	v_lshlrev_b64 v[3:4], 2, v[7:8]
	v_mov_b32_e32 v7, s17
	v_add_co_u32_e32 v33, vcc, s16, v3
	v_addc_co_u32_e32 v34, vcc, v7, v4, vcc
	v_add_co_u32_e32 v7, vcc, 5, v9
	v_addc_co_u32_e32 v8, vcc, 0, v10, vcc
	v_mul_lo_u32 v12, s15, v7
	v_mul_lo_u32 v13, s14, v8
	v_mad_u64_u32 v[7:8], s[10:11], s14, v7, 0
	;; [unrolled: 12-line block ×5, first 2 shown]
	v_add_co_u32_e32 v47, vcc, s18, v3
	v_add3_u32 v8, v8, v10, v9
	v_addc_co_u32_e32 v48, vcc, v11, v4, vcc
	v_lshlrev_b64 v[3:4], 2, v[7:8]
	v_mov_b32_e32 v7, s17
	v_add_co_u32_e32 v50, vcc, s16, v3
	v_addc_co_u32_e32 v51, vcc, v7, v4, vcc
	v_mov_b32_e32 v7, s19
	v_add_co_u32_e32 v52, vcc, s18, v3
	v_addc_co_u32_e32 v53, vcc, v7, v4, vcc
	;; [unrolled: 3-line block ×3, first 2 shown]
	v_lshlrev_b64 v[3:4], 2, v[3:4]
	v_mov_b32_e32 v5, s17
	v_add_co_u32_e32 v54, vcc, s16, v3
	v_addc_co_u32_e32 v55, vcc, v5, v4, vcc
	v_add_co_u32_e32 v56, vcc, s18, v3
	v_mbcnt_lo_u32_b32 v3, -1, 0
	v_mbcnt_hi_u32_b32 v3, -1, v3
	v_mov_b32_e32 v5, s19
	v_lshlrev_b32_e32 v3, 2, v3
	v_mov_b32_e32 v24, v2
	s_mov_b64 s[28:29], 7
	v_addc_co_u32_e32 v57, vcc, v5, v4, vcc
	v_and_b32_e32 v58, 0x100, v3
	s_mov_b64 s[30:31], s[22:23]
	v_mov_b32_e32 v59, 0
.LBB145_3:                              ; =>This Inner Loop Header: Depth=1
	s_add_u32 s10, s22, s28
	v_mov_b32_e32 v3, s12
	s_addc_u32 s11, 0, s29
	v_mov_b32_e32 v4, s13
	v_cmp_ge_i64_e32 vcc, s[10:11], v[3:4]
	v_add_co_u32_e64 v21, s[10:11], s22, v23
	v_addc_co_u32_e64 v22, s[10:11], 0, v24, s[10:11]
	s_mov_b64 s[10:11], -1
	s_and_b64 vcc, exec, vcc
                                        ; implicit-def: $vgpr3_vgpr4_vgpr5_vgpr6_vgpr7_vgpr8_vgpr9_vgpr10
                                        ; implicit-def: $vgpr49
                                        ; implicit-def: $vgpr11_vgpr12_vgpr13_vgpr14_vgpr15_vgpr16_vgpr17_vgpr18
                                        ; implicit-def: $vgpr3
	s_cbranch_vccz .LBB145_25
; %bb.4:                                ;   in Loop: Header=BB145_3 Depth=1
	s_load_dword s10, s[24:25], 0xc
	v_mov_b32_e32 v60, 0
	s_waitcnt lgkmcnt(0)
	s_and_b32 s10, s10, 0xffff
	v_mad_u32_u24 v3, v1, s10, v0
	v_and_b32_e32 v3, 63, v3
	v_cmp_gt_u32_e32 vcc, 8, v3
	s_and_saveexec_b64 s[10:11], vcc
	s_cbranch_execz .LBB145_8
; %bb.5:                                ;   in Loop: Header=BB145_3 Depth=1
	v_add_co_u32_e32 v3, vcc, v21, v3
	v_addc_co_u32_e32 v4, vcc, 0, v22, vcc
	v_cmp_gt_i64_e32 vcc, s[12:13], v[3:4]
	v_mov_b32_e32 v60, 0
	s_and_saveexec_b64 s[34:35], vcc
	s_cbranch_execz .LBB145_7
; %bb.6:                                ;   in Loop: Header=BB145_3 Depth=1
	v_lshlrev_b64 v[3:4], 2, v[3:4]
	v_mov_b32_e32 v5, s21
	v_add_co_u32_e32 v3, vcc, s20, v3
	v_addc_co_u32_e32 v4, vcc, v5, v4, vcc
	global_load_dword v60, v[3:4], off
.LBB145_7:                              ;   in Loop: Header=BB145_3 Depth=1
	s_or_b64 exec, exec, s[34:35]
.LBB145_8:                              ;   in Loop: Header=BB145_3 Depth=1
	s_or_b64 exec, exec, s[10:11]
	v_mov_b32_e32 v9, v2
	v_cmp_gt_i64_e32 vcc, s[12:13], v[21:22]
	v_mov_b32_e32 v3, v2
	v_mov_b32_e32 v4, v2
	;; [unrolled: 1-line block ×15, first 2 shown]
	s_and_b64 s[34:35], s[2:3], vcc
	v_mov_b32_e32 v9, v8
	v_mov_b32_e32 v8, v7
	;; [unrolled: 1-line block ×7, first 2 shown]
	s_and_saveexec_b64 s[10:11], s[34:35]
	s_cbranch_execz .LBB145_10
; %bb.9:                                ;   in Loop: Header=BB145_3 Depth=1
	v_add_co_u32_e32 v3, vcc, v25, v19
	v_addc_co_u32_e32 v4, vcc, v26, v20, vcc
	global_load_dword v3, v[3:4], off
	v_add_co_u32_e32 v4, vcc, v27, v19
	v_addc_co_u32_e32 v5, vcc, v28, v20, vcc
	global_load_dword v11, v[4:5], off
	v_mov_b32_e32 v4, v2
	v_mov_b32_e32 v5, v2
	;; [unrolled: 1-line block ×14, first 2 shown]
.LBB145_10:                             ;   in Loop: Header=BB145_3 Depth=1
	s_or_b64 exec, exec, s[10:11]
	v_add_co_u32_e32 v61, vcc, 1, v21
	v_addc_co_u32_e32 v62, vcc, 0, v22, vcc
	v_cmp_gt_i64_e32 vcc, s[12:13], v[61:62]
	s_and_b64 s[34:35], s[2:3], vcc
	s_and_saveexec_b64 s[10:11], s[34:35]
	s_cbranch_execz .LBB145_12
; %bb.11:                               ;   in Loop: Header=BB145_3 Depth=1
	v_add_co_u32_e32 v61, vcc, v54, v19
	v_addc_co_u32_e32 v62, vcc, v55, v20, vcc
	global_load_dword v4, v[61:62], off
	v_add_co_u32_e32 v61, vcc, v56, v19
	v_addc_co_u32_e32 v62, vcc, v57, v20, vcc
	global_load_dword v12, v[61:62], off
.LBB145_12:                             ;   in Loop: Header=BB145_3 Depth=1
	s_or_b64 exec, exec, s[10:11]
	v_add_co_u32_e32 v61, vcc, 2, v21
	v_addc_co_u32_e32 v62, vcc, 0, v22, vcc
	v_cmp_gt_i64_e32 vcc, s[12:13], v[61:62]
	s_and_b64 s[34:35], s[2:3], vcc
	s_and_saveexec_b64 s[10:11], s[34:35]
	s_cbranch_execz .LBB145_14
; %bb.13:                               ;   in Loop: Header=BB145_3 Depth=1
	v_add_co_u32_e32 v61, vcc, v50, v19
	v_addc_co_u32_e32 v62, vcc, v51, v20, vcc
	global_load_dword v5, v[61:62], off
	v_add_co_u32_e32 v61, vcc, v52, v19
	v_addc_co_u32_e32 v62, vcc, v53, v20, vcc
	global_load_dword v13, v[61:62], off
.LBB145_14:                             ;   in Loop: Header=BB145_3 Depth=1
	;; [unrolled: 15-line block ×7, first 2 shown]
	s_or_b64 exec, exec, s[10:11]
	s_waitcnt vmcnt(0)
	ds_bpermute_b32 v49, v58, v60
	ds_bpermute_b32 v61, v58, v60 offset:4
	v_mul_f32_e32 v3, v11, v3
	ds_bpermute_b32 v11, v58, v60 offset:8
	v_mul_f32_e32 v4, v12, v4
	s_waitcnt lgkmcnt(2)
	v_fma_f32 v49, v3, v49, v59
	s_waitcnt lgkmcnt(1)
	v_fmac_f32_e32 v49, v4, v61
	ds_bpermute_b32 v3, v58, v60 offset:12
	v_mul_f32_e32 v4, v13, v5
	s_waitcnt lgkmcnt(1)
	v_fmac_f32_e32 v49, v4, v11
	ds_bpermute_b32 v4, v58, v60 offset:16
	v_mul_f32_e32 v5, v14, v6
	s_waitcnt lgkmcnt(1)
	v_fmac_f32_e32 v49, v5, v3
	v_mul_f32_e32 v3, v15, v7
	ds_bpermute_b32 v5, v58, v60 offset:20
	s_waitcnt lgkmcnt(1)
	v_fmac_f32_e32 v49, v3, v4
	ds_bpermute_b32 v4, v58, v60 offset:24
	ds_bpermute_b32 v3, v58, v60 offset:28
	v_mul_f32_e32 v6, v16, v8
	s_waitcnt lgkmcnt(2)
	v_fmac_f32_e32 v49, v6, v5
	v_mul_f32_e32 v5, v17, v9
	s_waitcnt lgkmcnt(1)
	v_fmac_f32_e32 v49, v5, v4
	s_mov_b64 s[10:11], 0
.LBB145_25:                             ;   in Loop: Header=BB145_3 Depth=1
	s_and_b64 vcc, exec, s[10:11]
	s_cbranch_vccz .LBB145_40
; %bb.26:                               ;   in Loop: Header=BB145_3 Depth=1
	s_load_dword s10, s[24:25], 0x0
	v_mov_b32_e32 v49, 0
	s_waitcnt lgkmcnt(0)
	s_cmp_lt_u32 s6, s10
	s_cselect_b32 s10, 12, 18
	s_add_u32 s10, s24, s10
	s_addc_u32 s11, s25, 0
	global_load_ushort v3, v2, s[10:11]
	s_waitcnt vmcnt(0)
	v_mad_u32_u24 v3, v1, v3, v0
	v_and_b32_e32 v3, 63, v3
	v_cmp_gt_u32_e32 vcc, 8, v3
	s_and_saveexec_b64 s[10:11], vcc
	s_cbranch_execz .LBB145_30
; %bb.27:                               ;   in Loop: Header=BB145_3 Depth=1
	v_add_co_u32_e32 v3, vcc, v21, v3
	v_addc_co_u32_e32 v4, vcc, 0, v22, vcc
	v_cmp_gt_i64_e32 vcc, s[12:13], v[3:4]
	v_mov_b32_e32 v49, 0
	s_and_saveexec_b64 s[34:35], vcc
	s_cbranch_execz .LBB145_29
; %bb.28:                               ;   in Loop: Header=BB145_3 Depth=1
	v_lshlrev_b64 v[3:4], 2, v[3:4]
	v_mov_b32_e32 v5, s21
	v_add_co_u32_e32 v3, vcc, s20, v3
	v_addc_co_u32_e32 v4, vcc, v5, v4, vcc
	global_load_dword v49, v[3:4], off
.LBB145_29:                             ;   in Loop: Header=BB145_3 Depth=1
	s_or_b64 exec, exec, s[34:35]
.LBB145_30:                             ;   in Loop: Header=BB145_3 Depth=1
	s_or_b64 exec, exec, s[10:11]
	v_mov_b32_e32 v9, v2
	v_mov_b32_e32 v3, v2
	;; [unrolled: 1-line block ×23, first 2 shown]
	s_and_saveexec_b64 s[10:11], s[2:3]
	s_cbranch_execnz .LBB145_42
; %bb.31:                               ;   in Loop: Header=BB145_3 Depth=1
	s_or_b64 exec, exec, s[10:11]
	s_and_saveexec_b64 s[10:11], s[2:3]
	s_cbranch_execnz .LBB145_43
.LBB145_32:                             ;   in Loop: Header=BB145_3 Depth=1
	s_or_b64 exec, exec, s[10:11]
	s_and_saveexec_b64 s[10:11], s[2:3]
	s_cbranch_execnz .LBB145_44
.LBB145_33:                             ;   in Loop: Header=BB145_3 Depth=1
	s_or_b64 exec, exec, s[10:11]
	s_and_saveexec_b64 s[10:11], s[2:3]
	s_cbranch_execnz .LBB145_45
.LBB145_34:                             ;   in Loop: Header=BB145_3 Depth=1
	s_or_b64 exec, exec, s[10:11]
	s_and_saveexec_b64 s[10:11], s[2:3]
	s_cbranch_execnz .LBB145_46
.LBB145_35:                             ;   in Loop: Header=BB145_3 Depth=1
	s_or_b64 exec, exec, s[10:11]
	s_and_saveexec_b64 s[10:11], s[2:3]
	s_cbranch_execnz .LBB145_47
.LBB145_36:                             ;   in Loop: Header=BB145_3 Depth=1
	s_or_b64 exec, exec, s[10:11]
	s_and_saveexec_b64 s[10:11], s[2:3]
	s_cbranch_execnz .LBB145_48
.LBB145_37:                             ;   in Loop: Header=BB145_3 Depth=1
	s_or_b64 exec, exec, s[10:11]
	s_and_saveexec_b64 s[10:11], s[2:3]
	s_cbranch_execz .LBB145_39
.LBB145_38:                             ;   in Loop: Header=BB145_3 Depth=1
	v_add_co_u32_e32 v21, vcc, v29, v19
	v_addc_co_u32_e32 v22, vcc, v30, v20, vcc
	global_load_dword v10, v[21:22], off
	v_add_co_u32_e32 v21, vcc, v31, v19
	v_addc_co_u32_e32 v22, vcc, v32, v20, vcc
	global_load_dword v18, v[21:22], off
.LBB145_39:                             ;   in Loop: Header=BB145_3 Depth=1
	s_or_b64 exec, exec, s[10:11]
	s_waitcnt vmcnt(0)
	ds_bpermute_b32 v21, v58, v49
	ds_bpermute_b32 v22, v58, v49 offset:4
	v_mul_f32_e32 v3, v11, v3
	ds_bpermute_b32 v11, v58, v49 offset:8
	v_mul_f32_e32 v4, v12, v4
	s_waitcnt lgkmcnt(2)
	v_fmac_f32_e32 v59, v3, v21
	s_waitcnt lgkmcnt(1)
	v_fmac_f32_e32 v59, v4, v22
	ds_bpermute_b32 v3, v58, v49 offset:12
	v_mul_f32_e32 v4, v13, v5
	s_waitcnt lgkmcnt(1)
	v_fmac_f32_e32 v59, v4, v11
	ds_bpermute_b32 v4, v58, v49 offset:16
	v_mul_f32_e32 v5, v14, v6
	s_waitcnt lgkmcnt(1)
	v_fmac_f32_e32 v59, v5, v3
	v_mul_f32_e32 v3, v15, v7
	ds_bpermute_b32 v5, v58, v49 offset:20
	s_waitcnt lgkmcnt(1)
	v_fmac_f32_e32 v59, v3, v4
	ds_bpermute_b32 v4, v58, v49 offset:24
	ds_bpermute_b32 v3, v58, v49 offset:28
	v_mul_f32_e32 v6, v16, v8
	s_waitcnt lgkmcnt(2)
	v_fmac_f32_e32 v59, v6, v5
	v_mul_f32_e32 v5, v17, v9
	s_waitcnt lgkmcnt(1)
	v_fmac_f32_e32 v59, v5, v4
	v_mov_b32_e32 v49, v59
.LBB145_40:                             ;   in Loop: Header=BB145_3 Depth=1
	v_mul_f32_e32 v4, v10, v18
	s_waitcnt lgkmcnt(0)
	v_fmac_f32_e32 v49, v4, v3
	v_mov_b32_e32 v3, s27
	v_add_co_u32_e32 v25, vcc, s26, v25
	v_addc_co_u32_e32 v26, vcc, v26, v3, vcc
	v_add_co_u32_e32 v27, vcc, s26, v27
	v_addc_co_u32_e32 v28, vcc, v28, v3, vcc
	;; [unrolled: 2-line block ×16, first 2 shown]
	s_add_u32 s30, s30, s9
	v_add_co_u32_e32 v23, vcc, s9, v23
	v_mov_b32_e32 v3, s12
	s_addc_u32 s31, s31, 0
	v_addc_co_u32_e32 v24, vcc, 0, v24, vcc
	v_mov_b32_e32 v4, s13
	v_cmp_lt_i64_e32 vcc, s[30:31], v[3:4]
	s_add_u32 s28, s28, s9
	s_addc_u32 s29, 0, s29
	s_cbranch_vccz .LBB145_50
; %bb.41:                               ;   in Loop: Header=BB145_3 Depth=1
	v_mov_b32_e32 v59, v49
	s_branch .LBB145_3
.LBB145_42:                             ;   in Loop: Header=BB145_3 Depth=1
	v_add_co_u32_e32 v3, vcc, v25, v19
	v_addc_co_u32_e32 v4, vcc, v26, v20, vcc
	global_load_dword v3, v[3:4], off
	v_add_co_u32_e32 v4, vcc, v27, v19
	v_addc_co_u32_e32 v5, vcc, v28, v20, vcc
	global_load_dword v11, v[4:5], off
	v_mov_b32_e32 v4, v2
	v_mov_b32_e32 v5, v2
	;; [unrolled: 1-line block ×14, first 2 shown]
	s_or_b64 exec, exec, s[10:11]
	s_and_saveexec_b64 s[10:11], s[2:3]
	s_cbranch_execz .LBB145_32
.LBB145_43:                             ;   in Loop: Header=BB145_3 Depth=1
	v_add_co_u32_e32 v21, vcc, v54, v19
	v_addc_co_u32_e32 v22, vcc, v55, v20, vcc
	global_load_dword v4, v[21:22], off
	v_add_co_u32_e32 v21, vcc, v56, v19
	v_addc_co_u32_e32 v22, vcc, v57, v20, vcc
	global_load_dword v12, v[21:22], off
	s_or_b64 exec, exec, s[10:11]
	s_and_saveexec_b64 s[10:11], s[2:3]
	s_cbranch_execz .LBB145_33
.LBB145_44:                             ;   in Loop: Header=BB145_3 Depth=1
	v_add_co_u32_e32 v21, vcc, v50, v19
	v_addc_co_u32_e32 v22, vcc, v51, v20, vcc
	global_load_dword v5, v[21:22], off
	v_add_co_u32_e32 v21, vcc, v52, v19
	v_addc_co_u32_e32 v22, vcc, v53, v20, vcc
	global_load_dword v13, v[21:22], off
	s_or_b64 exec, exec, s[10:11]
	s_and_saveexec_b64 s[10:11], s[2:3]
	s_cbranch_execz .LBB145_34
.LBB145_45:                             ;   in Loop: Header=BB145_3 Depth=1
	v_add_co_u32_e32 v21, vcc, v45, v19
	v_addc_co_u32_e32 v22, vcc, v46, v20, vcc
	global_load_dword v6, v[21:22], off
	v_add_co_u32_e32 v21, vcc, v47, v19
	v_addc_co_u32_e32 v22, vcc, v48, v20, vcc
	global_load_dword v14, v[21:22], off
	s_or_b64 exec, exec, s[10:11]
	s_and_saveexec_b64 s[10:11], s[2:3]
	s_cbranch_execz .LBB145_35
.LBB145_46:                             ;   in Loop: Header=BB145_3 Depth=1
	v_add_co_u32_e32 v21, vcc, v41, v19
	v_addc_co_u32_e32 v22, vcc, v42, v20, vcc
	global_load_dword v7, v[21:22], off
	v_add_co_u32_e32 v21, vcc, v43, v19
	v_addc_co_u32_e32 v22, vcc, v44, v20, vcc
	global_load_dword v15, v[21:22], off
	s_or_b64 exec, exec, s[10:11]
	s_and_saveexec_b64 s[10:11], s[2:3]
	s_cbranch_execz .LBB145_36
.LBB145_47:                             ;   in Loop: Header=BB145_3 Depth=1
	v_add_co_u32_e32 v21, vcc, v37, v19
	v_addc_co_u32_e32 v22, vcc, v38, v20, vcc
	global_load_dword v8, v[21:22], off
	v_add_co_u32_e32 v21, vcc, v39, v19
	v_addc_co_u32_e32 v22, vcc, v40, v20, vcc
	global_load_dword v16, v[21:22], off
	s_or_b64 exec, exec, s[10:11]
	s_and_saveexec_b64 s[10:11], s[2:3]
	s_cbranch_execz .LBB145_37
.LBB145_48:                             ;   in Loop: Header=BB145_3 Depth=1
	v_add_co_u32_e32 v21, vcc, v33, v19
	v_addc_co_u32_e32 v22, vcc, v34, v20, vcc
	global_load_dword v9, v[21:22], off
	v_add_co_u32_e32 v21, vcc, v35, v19
	v_addc_co_u32_e32 v22, vcc, v36, v20, vcc
	global_load_dword v17, v[21:22], off
	s_or_b64 exec, exec, s[10:11]
	s_and_saveexec_b64 s[10:11], s[2:3]
	s_cbranch_execnz .LBB145_38
	s_branch .LBB145_39
.LBB145_49:
                                        ; implicit-def: $vgpr49
	s_load_dwordx2 s[2:3], s[4:5], 0x30
	s_branch .LBB145_51
.LBB145_50:
	s_load_dwordx2 s[2:3], s[4:5], 0x30
	s_cbranch_execnz .LBB145_83
.LBB145_51:
	s_and_b64 vcc, exec, s[0:1]
	v_mov_b32_e32 v49, 0
	s_cbranch_vccnz .LBB145_83
; %bb.52:
	v_lshlrev_b32_e32 v52, 3, v1
	v_add_co_u32_e32 v8, vcc, s22, v52
	v_addc_co_u32_e64 v9, s[0:1], 0, 0, vcc
	v_mul_lo_u32 v4, s15, v8
	v_mul_lo_u32 v5, s14, v9
	v_mad_u64_u32 v[2:3], s[0:1], s14, v8, 0
	v_mov_b32_e32 v6, s17
	s_add_u32 s10, s4, 64
	v_add3_u32 v3, v3, v5, v4
	v_lshlrev_b64 v[4:5], 2, v[2:3]
	s_addc_u32 s11, s5, 0
	v_add_co_u32_e32 v53, vcc, s16, v4
	v_addc_co_u32_e32 v54, vcc, v6, v5, vcc
	v_mov_b32_e32 v6, s19
	v_add_co_u32_e32 v55, vcc, s18, v4
	v_addc_co_u32_e32 v56, vcc, v6, v5, vcc
	v_lshlrev_b32_e32 v4, 5, v1
	s_lshl_b64 s[0:1], s[22:23], 2
	v_mov_b32_e32 v5, s1
	v_add_co_u32_e32 v10, vcc, s0, v4
	v_addc_co_u32_e32 v11, vcc, 0, v5, vcc
	v_add_co_u32_e32 v12, vcc, 4, v10
	v_addc_co_u32_e32 v6, vcc, 0, v11, vcc
	v_mov_b32_e32 v4, s16
	v_mul_lo_u32 v14, s14, v6
	v_mov_b32_e32 v6, s18
	v_mov_b32_e32 v5, s17
	;; [unrolled: 1-line block ×3, first 2 shown]
	v_mad_u64_u32 v[19:20], s[0:1], s14, v12, v[4:5]
	v_mul_lo_u32 v15, s15, v12
	v_mad_u64_u32 v[21:22], s[0:1], s14, v12, v[6:7]
	v_add_co_u32_e32 v12, vcc, 8, v10
	v_addc_co_u32_e32 v16, vcc, 0, v11, vcc
	v_mov_b32_e32 v13, s15
	v_add_co_u32_e32 v2, vcc, s14, v2
	v_addc_co_u32_e32 v3, vcc, v3, v13, vcc
	v_mul_lo_u32 v17, s15, v12
	v_mad_u64_u32 v[23:24], s[0:1], s14, v12, v[4:5]
	v_mad_u64_u32 v[25:26], s[0:1], s14, v12, v[6:7]
	v_add_co_u32_e32 v12, vcc, 12, v10
	v_addc_co_u32_e32 v13, vcc, 0, v11, vcc
	v_add3_u32 v20, v15, v20, v14
	v_add3_u32 v22, v15, v22, v14
	v_mul_lo_u32 v13, s14, v13
	v_mul_lo_u32 v14, s15, v12
	v_mad_u64_u32 v[27:28], s[0:1], s14, v12, v[4:5]
	v_mad_u64_u32 v[29:30], s[0:1], s14, v12, v[6:7]
	v_add_co_u32_e32 v12, vcc, 16, v10
	v_mul_lo_u32 v16, s14, v16
	v_addc_co_u32_e32 v15, vcc, 0, v11, vcc
	v_mul_lo_u32 v18, s15, v12
	v_mad_u64_u32 v[31:32], s[0:1], s14, v12, v[4:5]
	v_mad_u64_u32 v[33:34], s[0:1], s14, v12, v[6:7]
	v_add_co_u32_e32 v12, vcc, 20, v10
	v_add3_u32 v28, v14, v28, v13
	v_add3_u32 v30, v14, v30, v13
	v_addc_co_u32_e32 v13, vcc, 0, v11, vcc
	v_mul_lo_u32 v14, s15, v12
	v_mad_u64_u32 v[35:36], s[0:1], s14, v12, v[4:5]
	v_mad_u64_u32 v[37:38], s[0:1], s14, v12, v[6:7]
	v_add_co_u32_e32 v12, vcc, 24, v10
	v_add3_u32 v24, v17, v24, v16
	v_add3_u32 v26, v17, v26, v16
	v_addc_co_u32_e32 v16, vcc, 0, v11, vcc
	v_add_co_u32_e32 v10, vcc, 28, v10
	v_addc_co_u32_e32 v11, vcc, 0, v11, vcc
	v_mad_u64_u32 v[39:40], s[0:1], s14, v12, v[4:5]
	v_mad_u64_u32 v[43:44], s[0:1], s14, v10, v[4:5]
	v_add_co_u32_e32 v4, vcc, 7, v8
	v_addc_co_u32_e32 v5, vcc, 0, v9, vcc
	v_mad_u64_u32 v[41:42], s[0:1], s14, v12, v[6:7]
	v_mad_u64_u32 v[45:46], s[0:1], s14, v10, v[6:7]
	v_mul_lo_u32 v6, s15, v10
	v_mul_lo_u32 v7, s14, v5
	;; [unrolled: 1-line block ×3, first 2 shown]
	v_mad_u64_u32 v[4:5], s[0:1], s14, v4, 0
	v_mul_lo_u32 v11, s14, v11
	v_mul_lo_u32 v17, s15, v12
	v_add3_u32 v5, v5, v7, v10
	v_lshlrev_b64 v[4:5], 2, v[4:5]
	v_add3_u32 v44, v6, v44, v11
	v_add3_u32 v46, v6, v46, v11
	v_mov_b32_e32 v6, s17
	v_add_co_u32_e32 v57, vcc, s16, v4
	v_addc_co_u32_e32 v58, vcc, v6, v5, vcc
	v_add_co_u32_e32 v6, vcc, 6, v8
	v_addc_co_u32_e32 v7, vcc, 0, v9, vcc
	v_mul_lo_u32 v11, s14, v7
	v_mul_lo_u32 v12, s15, v6
	v_mad_u64_u32 v[6:7], s[0:1], s14, v6, 0
	v_mov_b32_e32 v10, s19
	v_add_co_u32_e32 v59, vcc, s18, v4
	v_add3_u32 v7, v7, v11, v12
	v_addc_co_u32_e32 v60, vcc, v10, v5, vcc
	v_lshlrev_b64 v[4:5], 2, v[6:7]
	v_mov_b32_e32 v6, s17
	v_add_co_u32_e32 v61, vcc, s16, v4
	v_addc_co_u32_e32 v62, vcc, v6, v5, vcc
	v_add_co_u32_e32 v6, vcc, 5, v8
	v_addc_co_u32_e32 v7, vcc, 0, v9, vcc
	v_mul_lo_u32 v11, s14, v7
	v_mul_lo_u32 v12, s15, v6
	v_mad_u64_u32 v[6:7], s[0:1], s14, v6, 0
	v_add_co_u32_e32 v63, vcc, s18, v4
	v_add3_u32 v7, v7, v11, v12
	v_addc_co_u32_e32 v64, vcc, v10, v5, vcc
	v_lshlrev_b64 v[4:5], 2, v[6:7]
	v_mov_b32_e32 v6, s17
	v_add_co_u32_e32 v65, vcc, s16, v4
	v_addc_co_u32_e32 v66, vcc, v6, v5, vcc
	v_add_co_u32_e32 v6, vcc, 4, v8
	v_addc_co_u32_e32 v7, vcc, 0, v9, vcc
	v_mul_lo_u32 v11, s14, v7
	v_mul_lo_u32 v12, s15, v6
	v_mad_u64_u32 v[6:7], s[0:1], s14, v6, 0
	;; [unrolled: 12-line block ×4, first 2 shown]
	v_add_co_u32_e32 v75, vcc, s18, v4
	v_add3_u32 v7, v7, v8, v9
	v_addc_co_u32_e32 v76, vcc, v10, v5, vcc
	v_lshlrev_b64 v[4:5], 2, v[6:7]
	v_mov_b32_e32 v6, s17
	v_add_co_u32_e32 v77, vcc, s16, v4
	v_addc_co_u32_e32 v78, vcc, v6, v5, vcc
	v_mov_b32_e32 v6, s19
	v_add_co_u32_e32 v79, vcc, s18, v4
	v_lshlrev_b64 v[2:3], 2, v[2:3]
	v_addc_co_u32_e32 v80, vcc, v6, v5, vcc
	s_load_dword s0, s[4:5], 0x44
	v_mov_b32_e32 v4, s17
	v_add_co_u32_e32 v81, vcc, s16, v2
	v_addc_co_u32_e32 v82, vcc, v4, v3, vcc
	v_mov_b32_e32 v4, s19
	v_add_co_u32_e32 v83, vcc, s18, v2
	v_mov_b32_e32 v2, 0
	v_mul_lo_u32 v15, s14, v15
	v_mul_lo_u32 v13, s14, v13
	;; [unrolled: 1-line block ×3, first 2 shown]
	v_addc_co_u32_e32 v84, vcc, v4, v3, vcc
	v_add_u32_e32 v3, s7, v0
	v_mov_b32_e32 v4, v2
	s_waitcnt lgkmcnt(0)
	s_lshl_b32 s7, s0, 3
	v_lshlrev_b64 v[47:48], 2, v[3:4]
	v_mbcnt_lo_u32_b32 v3, -1, 0
	s_mul_i32 s0, s15, s7
	s_mul_hi_u32 s1, s14, s7
	v_mbcnt_hi_u32_b32 v3, -1, v3
	s_add_i32 s1, s1, s0
	s_mul_i32 s0, s14, s7
	v_lshlrev_b32_e32 v3, 2, v3
	v_add3_u32 v32, v18, v32, v15
	v_add3_u32 v34, v18, v34, v15
	;; [unrolled: 1-line block ×6, first 2 shown]
	s_lshl_b64 s[16:17], s[0:1], 2
	s_mov_b64 s[18:19], 7
	v_and_b32_e32 v85, 0x100, v3
	s_mov_b64 s[24:25], s[22:23]
	v_mov_b32_e32 v86, v2
	v_mov_b32_e32 v87, 0
.LBB145_53:                             ; =>This Inner Loop Header: Depth=1
	s_add_u32 s0, s22, s18
	v_mov_b32_e32 v3, s12
	s_addc_u32 s1, 0, s19
	v_mov_b32_e32 v4, s13
	v_cmp_ge_i64_e32 vcc, s[0:1], v[3:4]
	v_add_co_u32_e64 v50, s[0:1], s22, v52
	v_addc_co_u32_e64 v51, s[0:1], 0, v86, s[0:1]
	s_mov_b64 s[0:1], -1
                                        ; implicit-def: $vgpr49
	s_cbranch_vccz .LBB145_75
; %bb.54:                               ;   in Loop: Header=BB145_53 Depth=1
	s_load_dword s0, s[10:11], 0xc
	v_mov_b32_e32 v88, 0
	s_waitcnt lgkmcnt(0)
	s_and_b32 s0, s0, 0xffff
	v_mad_u32_u24 v3, v1, s0, v0
	v_and_b32_e32 v3, 63, v3
	v_cmp_gt_u32_e32 vcc, 8, v3
	s_and_saveexec_b64 s[0:1], vcc
	s_cbranch_execz .LBB145_58
; %bb.55:                               ;   in Loop: Header=BB145_53 Depth=1
	v_add_co_u32_e32 v3, vcc, v50, v3
	v_addc_co_u32_e32 v4, vcc, 0, v51, vcc
	v_cmp_gt_i64_e32 vcc, s[12:13], v[3:4]
	v_mov_b32_e32 v88, 0
	s_and_saveexec_b64 s[26:27], vcc
	s_cbranch_execz .LBB145_57
; %bb.56:                               ;   in Loop: Header=BB145_53 Depth=1
	v_lshlrev_b64 v[3:4], 2, v[3:4]
	v_mov_b32_e32 v5, s21
	v_add_co_u32_e32 v3, vcc, s20, v3
	v_addc_co_u32_e32 v4, vcc, v5, v4, vcc
	global_load_dword v88, v[3:4], off
.LBB145_57:                             ;   in Loop: Header=BB145_53 Depth=1
	s_or_b64 exec, exec, s[26:27]
.LBB145_58:                             ;   in Loop: Header=BB145_53 Depth=1
	s_or_b64 exec, exec, s[0:1]
	v_mov_b32_e32 v9, v2
	v_mov_b32_e32 v3, v2
	;; [unrolled: 1-line block ×8, first 2 shown]
	v_cmp_gt_i64_e32 vcc, s[12:13], v[50:51]
	v_mov_b32_e32 v17, v8
	v_mov_b32_e32 v16, v7
	;; [unrolled: 1-line block ×15, first 2 shown]
	s_and_saveexec_b64 s[0:1], vcc
	s_cbranch_execz .LBB145_60
; %bb.59:                               ;   in Loop: Header=BB145_53 Depth=1
	v_add_co_u32_e32 v3, vcc, v53, v47
	v_addc_co_u32_e32 v4, vcc, v54, v48, vcc
	global_load_dword v3, v[3:4], off
	v_add_co_u32_e32 v4, vcc, v55, v47
	v_addc_co_u32_e32 v5, vcc, v56, v48, vcc
	global_load_dword v11, v[4:5], off
	v_mov_b32_e32 v4, v2
	v_mov_b32_e32 v5, v2
	;; [unrolled: 1-line block ×14, first 2 shown]
.LBB145_60:                             ;   in Loop: Header=BB145_53 Depth=1
	s_or_b64 exec, exec, s[0:1]
	v_add_co_u32_e32 v89, vcc, 1, v50
	v_addc_co_u32_e32 v90, vcc, 0, v51, vcc
	v_cmp_gt_i64_e32 vcc, s[12:13], v[89:90]
	s_and_saveexec_b64 s[0:1], vcc
	s_cbranch_execz .LBB145_62
; %bb.61:                               ;   in Loop: Header=BB145_53 Depth=1
	v_add_co_u32_e32 v89, vcc, v81, v47
	v_addc_co_u32_e32 v90, vcc, v82, v48, vcc
	global_load_dword v4, v[89:90], off
	v_add_co_u32_e32 v89, vcc, v83, v47
	v_addc_co_u32_e32 v90, vcc, v84, v48, vcc
	global_load_dword v12, v[89:90], off
.LBB145_62:                             ;   in Loop: Header=BB145_53 Depth=1
	s_or_b64 exec, exec, s[0:1]
	v_add_co_u32_e32 v89, vcc, 2, v50
	v_addc_co_u32_e32 v90, vcc, 0, v51, vcc
	v_cmp_gt_i64_e32 vcc, s[12:13], v[89:90]
	s_and_saveexec_b64 s[0:1], vcc
	s_cbranch_execz .LBB145_64
; %bb.63:                               ;   in Loop: Header=BB145_53 Depth=1
	v_add_co_u32_e32 v89, vcc, v77, v47
	v_addc_co_u32_e32 v90, vcc, v78, v48, vcc
	global_load_dword v5, v[89:90], off
	v_add_co_u32_e32 v89, vcc, v79, v47
	v_addc_co_u32_e32 v90, vcc, v80, v48, vcc
	global_load_dword v13, v[89:90], off
.LBB145_64:                             ;   in Loop: Header=BB145_53 Depth=1
	;; [unrolled: 14-line block ×7, first 2 shown]
	s_or_b64 exec, exec, s[0:1]
	s_waitcnt vmcnt(0)
	ds_bpermute_b32 v49, v85, v88
	ds_bpermute_b32 v89, v85, v88 offset:4
	v_mul_f32_e32 v3, v11, v3
	ds_bpermute_b32 v11, v85, v88 offset:8
	v_mul_f32_e32 v4, v12, v4
	s_waitcnt lgkmcnt(2)
	v_fma_f32 v49, v3, v49, v87
	s_waitcnt lgkmcnt(1)
	v_fmac_f32_e32 v49, v4, v89
	ds_bpermute_b32 v3, v85, v88 offset:12
	v_mul_f32_e32 v4, v13, v5
	s_waitcnt lgkmcnt(1)
	v_fmac_f32_e32 v49, v4, v11
	ds_bpermute_b32 v4, v85, v88 offset:16
	v_mul_f32_e32 v5, v14, v6
	s_waitcnt lgkmcnt(1)
	v_fmac_f32_e32 v49, v5, v3
	v_mul_f32_e32 v3, v15, v7
	ds_bpermute_b32 v5, v85, v88 offset:20
	s_waitcnt lgkmcnt(1)
	v_fmac_f32_e32 v49, v3, v4
	ds_bpermute_b32 v3, v85, v88 offset:24
	ds_bpermute_b32 v6, v85, v88 offset:28
	v_mul_f32_e32 v4, v16, v8
	s_waitcnt lgkmcnt(2)
	v_fmac_f32_e32 v49, v4, v5
	v_mul_f32_e32 v4, v17, v9
	s_waitcnt lgkmcnt(1)
	v_fmac_f32_e32 v49, v4, v3
	;; [unrolled: 3-line block ×3, first 2 shown]
	s_mov_b64 s[0:1], 0
.LBB145_75:                             ;   in Loop: Header=BB145_53 Depth=1
	s_and_b64 vcc, exec, s[0:1]
	s_cbranch_vccz .LBB145_81
; %bb.76:                               ;   in Loop: Header=BB145_53 Depth=1
	s_load_dword s0, s[10:11], 0x0
	v_mov_b32_e32 v5, 0
	s_waitcnt lgkmcnt(0)
	s_cmp_lt_u32 s6, s0
	s_cselect_b32 s0, 12, 18
	s_add_u32 s0, s10, s0
	s_addc_u32 s1, s11, 0
	global_load_ushort v3, v2, s[0:1]
	s_waitcnt vmcnt(0)
	v_mad_u32_u24 v3, v1, v3, v0
	v_and_b32_e32 v3, 63, v3
	v_cmp_gt_u32_e32 vcc, 8, v3
	s_and_saveexec_b64 s[0:1], vcc
	s_cbranch_execz .LBB145_80
; %bb.77:                               ;   in Loop: Header=BB145_53 Depth=1
	v_add_co_u32_e32 v3, vcc, v50, v3
	v_addc_co_u32_e32 v4, vcc, 0, v51, vcc
	v_cmp_gt_i64_e32 vcc, s[12:13], v[3:4]
	v_mov_b32_e32 v5, 0
	s_and_saveexec_b64 s[26:27], vcc
	s_cbranch_execz .LBB145_79
; %bb.78:                               ;   in Loop: Header=BB145_53 Depth=1
	v_lshlrev_b64 v[3:4], 2, v[3:4]
	v_mov_b32_e32 v5, s21
	v_add_co_u32_e32 v3, vcc, s20, v3
	v_addc_co_u32_e32 v4, vcc, v5, v4, vcc
	global_load_dword v5, v[3:4], off
.LBB145_79:                             ;   in Loop: Header=BB145_53 Depth=1
	s_or_b64 exec, exec, s[26:27]
.LBB145_80:                             ;   in Loop: Header=BB145_53 Depth=1
	s_or_b64 exec, exec, s[0:1]
	v_add_co_u32_e32 v3, vcc, v53, v47
	v_addc_co_u32_e32 v4, vcc, v54, v48, vcc
	global_load_dword v6, v[3:4], off
	v_add_co_u32_e32 v3, vcc, v55, v47
	v_addc_co_u32_e32 v4, vcc, v56, v48, vcc
	global_load_dword v7, v[3:4], off
	;; [unrolled: 3-line block ×16, first 2 shown]
	s_waitcnt vmcnt(16)
	ds_bpermute_b32 v4, v85, v5
	ds_bpermute_b32 v51, v85, v5 offset:4
	s_waitcnt vmcnt(14)
	v_mul_f32_e32 v6, v6, v7
	s_waitcnt lgkmcnt(1)
	v_fmac_f32_e32 v87, v6, v4
	ds_bpermute_b32 v4, v85, v5 offset:8
	s_waitcnt vmcnt(12)
	v_mul_f32_e32 v6, v8, v9
	s_waitcnt lgkmcnt(1)
	v_fmac_f32_e32 v87, v6, v51
	;; [unrolled: 5-line block ×5, first 2 shown]
	ds_bpermute_b32 v4, v85, v5 offset:24
	ds_bpermute_b32 v5, v85, v5 offset:28
	s_waitcnt vmcnt(4)
	v_mul_f32_e32 v6, v16, v17
	s_waitcnt lgkmcnt(2)
	v_fmac_f32_e32 v87, v6, v7
	s_waitcnt vmcnt(2)
	v_mul_f32_e32 v6, v18, v49
	s_waitcnt lgkmcnt(1)
	v_fmac_f32_e32 v87, v6, v4
	s_waitcnt vmcnt(0)
	v_mul_f32_e32 v3, v50, v3
	s_waitcnt lgkmcnt(0)
	v_fmac_f32_e32 v87, v3, v5
	v_mov_b32_e32 v49, v87
.LBB145_81:                             ;   in Loop: Header=BB145_53 Depth=1
	v_mov_b32_e32 v3, s17
	v_add_co_u32_e32 v53, vcc, s16, v53
	v_addc_co_u32_e32 v54, vcc, v54, v3, vcc
	v_add_co_u32_e32 v55, vcc, s16, v55
	v_addc_co_u32_e32 v56, vcc, v56, v3, vcc
	;; [unrolled: 2-line block ×30, first 2 shown]
	v_add_co_u32_e32 v83, vcc, s16, v83
	s_add_u32 s24, s24, s7
	v_addc_co_u32_e32 v84, vcc, v84, v3, vcc
	v_mov_b32_e32 v3, s12
	s_addc_u32 s25, s25, 0
	v_mov_b32_e32 v4, s13
	v_cmp_ge_i64_e32 vcc, s[24:25], v[3:4]
	s_add_u32 s18, s18, s7
	s_addc_u32 s19, 0, s19
	s_cbranch_vccnz .LBB145_83
; %bb.82:                               ;   in Loop: Header=BB145_53 Depth=1
	v_mov_b32_e32 v87, v49
	s_branch .LBB145_53
.LBB145_83:
	s_mov_b32 s7, 0
	s_lshl_b64 s[0:1], s[6:7], 6
	v_or_b32_e32 v3, s0, v0
	v_mov_b32_e32 v4, s1
	v_cmp_gt_i64_e32 vcc, s[14:15], v[3:4]
	s_waitcnt lgkmcnt(0)
	s_cmp_lg_u64 s[2:3], 0
	s_cselect_b64 s[0:1], -1, 0
	s_and_b64 s[0:1], vcc, s[0:1]
	s_and_saveexec_b64 s[6:7], s[0:1]
	s_cbranch_execz .LBB145_85
; %bb.84:
	s_load_dword s0, s[4:5], 0x4c
	v_mov_b32_e32 v2, 0
	v_mov_b32_e32 v0, s8
	;; [unrolled: 1-line block ×3, first 2 shown]
	s_waitcnt lgkmcnt(0)
	s_lshr_b32 s0, s0, 16
	v_mad_u64_u32 v[0:1], s[0:1], s0, v0, v[1:2]
	v_lshlrev_b64 v[2:3], 2, v[3:4]
	v_mul_lo_u32 v5, v1, s14
	v_mul_lo_u32 v6, v0, s15
	v_mad_u64_u32 v[0:1], s[0:1], v0, s14, 0
	v_add3_u32 v1, v1, v6, v5
	v_lshlrev_b64 v[0:1], 2, v[0:1]
	v_add_co_u32_e32 v0, vcc, s2, v0
	v_addc_co_u32_e32 v1, vcc, v7, v1, vcc
	v_add_co_u32_e32 v0, vcc, v0, v2
	v_addc_co_u32_e32 v1, vcc, v1, v3, vcc
	global_store_dword v[0:1], v49, off
.LBB145_85:
	s_endpgm
	.section	.rodata,"a",@progbits
	.p2align	6, 0x0
	.amdhsa_kernel _ZN2at6native12_GLOBAL__N_135GammaBetaBackwardCUDAKernelTemplateIffLj64ELj1ELj8ELb1ELb0ELb1EEEvllPKT_S5_PKT0_S8_PS3_S9_
		.amdhsa_group_segment_fixed_size 0
		.amdhsa_private_segment_fixed_size 0
		.amdhsa_kernarg_size 320
		.amdhsa_user_sgpr_count 6
		.amdhsa_user_sgpr_private_segment_buffer 1
		.amdhsa_user_sgpr_dispatch_ptr 0
		.amdhsa_user_sgpr_queue_ptr 0
		.amdhsa_user_sgpr_kernarg_segment_ptr 1
		.amdhsa_user_sgpr_dispatch_id 0
		.amdhsa_user_sgpr_flat_scratch_init 0
		.amdhsa_user_sgpr_private_segment_size 0
		.amdhsa_uses_dynamic_stack 0
		.amdhsa_system_sgpr_private_segment_wavefront_offset 0
		.amdhsa_system_sgpr_workgroup_id_x 1
		.amdhsa_system_sgpr_workgroup_id_y 1
		.amdhsa_system_sgpr_workgroup_id_z 0
		.amdhsa_system_sgpr_workgroup_info 0
		.amdhsa_system_vgpr_workitem_id 1
		.amdhsa_next_free_vgpr 91
		.amdhsa_next_free_sgpr 36
		.amdhsa_reserve_vcc 1
		.amdhsa_reserve_flat_scratch 0
		.amdhsa_float_round_mode_32 0
		.amdhsa_float_round_mode_16_64 0
		.amdhsa_float_denorm_mode_32 3
		.amdhsa_float_denorm_mode_16_64 3
		.amdhsa_dx10_clamp 1
		.amdhsa_ieee_mode 1
		.amdhsa_fp16_overflow 0
		.amdhsa_exception_fp_ieee_invalid_op 0
		.amdhsa_exception_fp_denorm_src 0
		.amdhsa_exception_fp_ieee_div_zero 0
		.amdhsa_exception_fp_ieee_overflow 0
		.amdhsa_exception_fp_ieee_underflow 0
		.amdhsa_exception_fp_ieee_inexact 0
		.amdhsa_exception_int_div_zero 0
	.end_amdhsa_kernel
	.section	.text._ZN2at6native12_GLOBAL__N_135GammaBetaBackwardCUDAKernelTemplateIffLj64ELj1ELj8ELb1ELb0ELb1EEEvllPKT_S5_PKT0_S8_PS3_S9_,"axG",@progbits,_ZN2at6native12_GLOBAL__N_135GammaBetaBackwardCUDAKernelTemplateIffLj64ELj1ELj8ELb1ELb0ELb1EEEvllPKT_S5_PKT0_S8_PS3_S9_,comdat
.Lfunc_end145:
	.size	_ZN2at6native12_GLOBAL__N_135GammaBetaBackwardCUDAKernelTemplateIffLj64ELj1ELj8ELb1ELb0ELb1EEEvllPKT_S5_PKT0_S8_PS3_S9_, .Lfunc_end145-_ZN2at6native12_GLOBAL__N_135GammaBetaBackwardCUDAKernelTemplateIffLj64ELj1ELj8ELb1ELb0ELb1EEEvllPKT_S5_PKT0_S8_PS3_S9_
                                        ; -- End function
	.set _ZN2at6native12_GLOBAL__N_135GammaBetaBackwardCUDAKernelTemplateIffLj64ELj1ELj8ELb1ELb0ELb1EEEvllPKT_S5_PKT0_S8_PS3_S9_.num_vgpr, 91
	.set _ZN2at6native12_GLOBAL__N_135GammaBetaBackwardCUDAKernelTemplateIffLj64ELj1ELj8ELb1ELb0ELb1EEEvllPKT_S5_PKT0_S8_PS3_S9_.num_agpr, 0
	.set _ZN2at6native12_GLOBAL__N_135GammaBetaBackwardCUDAKernelTemplateIffLj64ELj1ELj8ELb1ELb0ELb1EEEvllPKT_S5_PKT0_S8_PS3_S9_.numbered_sgpr, 36
	.set _ZN2at6native12_GLOBAL__N_135GammaBetaBackwardCUDAKernelTemplateIffLj64ELj1ELj8ELb1ELb0ELb1EEEvllPKT_S5_PKT0_S8_PS3_S9_.num_named_barrier, 0
	.set _ZN2at6native12_GLOBAL__N_135GammaBetaBackwardCUDAKernelTemplateIffLj64ELj1ELj8ELb1ELb0ELb1EEEvllPKT_S5_PKT0_S8_PS3_S9_.private_seg_size, 0
	.set _ZN2at6native12_GLOBAL__N_135GammaBetaBackwardCUDAKernelTemplateIffLj64ELj1ELj8ELb1ELb0ELb1EEEvllPKT_S5_PKT0_S8_PS3_S9_.uses_vcc, 1
	.set _ZN2at6native12_GLOBAL__N_135GammaBetaBackwardCUDAKernelTemplateIffLj64ELj1ELj8ELb1ELb0ELb1EEEvllPKT_S5_PKT0_S8_PS3_S9_.uses_flat_scratch, 0
	.set _ZN2at6native12_GLOBAL__N_135GammaBetaBackwardCUDAKernelTemplateIffLj64ELj1ELj8ELb1ELb0ELb1EEEvllPKT_S5_PKT0_S8_PS3_S9_.has_dyn_sized_stack, 0
	.set _ZN2at6native12_GLOBAL__N_135GammaBetaBackwardCUDAKernelTemplateIffLj64ELj1ELj8ELb1ELb0ELb1EEEvllPKT_S5_PKT0_S8_PS3_S9_.has_recursion, 0
	.set _ZN2at6native12_GLOBAL__N_135GammaBetaBackwardCUDAKernelTemplateIffLj64ELj1ELj8ELb1ELb0ELb1EEEvllPKT_S5_PKT0_S8_PS3_S9_.has_indirect_call, 0
	.section	.AMDGPU.csdata,"",@progbits
; Kernel info:
; codeLenInByte = 5820
; TotalNumSgprs: 40
; NumVgprs: 91
; ScratchSize: 0
; MemoryBound: 0
; FloatMode: 240
; IeeeMode: 1
; LDSByteSize: 0 bytes/workgroup (compile time only)
; SGPRBlocks: 4
; VGPRBlocks: 22
; NumSGPRsForWavesPerEU: 40
; NumVGPRsForWavesPerEU: 91
; Occupancy: 2
; WaveLimiterHint : 0
; COMPUTE_PGM_RSRC2:SCRATCH_EN: 0
; COMPUTE_PGM_RSRC2:USER_SGPR: 6
; COMPUTE_PGM_RSRC2:TRAP_HANDLER: 0
; COMPUTE_PGM_RSRC2:TGID_X_EN: 1
; COMPUTE_PGM_RSRC2:TGID_Y_EN: 1
; COMPUTE_PGM_RSRC2:TGID_Z_EN: 0
; COMPUTE_PGM_RSRC2:TIDIG_COMP_CNT: 1
	.section	.text._ZN2at6native12_GLOBAL__N_135GammaBetaBackwardCUDAKernelTemplateIffLj64ELj8ELj64ELb0ELb1ELb1EEEvllPKT_S5_PKT0_S8_PS3_S9_,"axG",@progbits,_ZN2at6native12_GLOBAL__N_135GammaBetaBackwardCUDAKernelTemplateIffLj64ELj8ELj64ELb0ELb1ELb1EEEvllPKT_S5_PKT0_S8_PS3_S9_,comdat
	.globl	_ZN2at6native12_GLOBAL__N_135GammaBetaBackwardCUDAKernelTemplateIffLj64ELj8ELj64ELb0ELb1ELb1EEEvllPKT_S5_PKT0_S8_PS3_S9_ ; -- Begin function _ZN2at6native12_GLOBAL__N_135GammaBetaBackwardCUDAKernelTemplateIffLj64ELj8ELj64ELb0ELb1ELb1EEEvllPKT_S5_PKT0_S8_PS3_S9_
	.p2align	8
	.type	_ZN2at6native12_GLOBAL__N_135GammaBetaBackwardCUDAKernelTemplateIffLj64ELj8ELj64ELb0ELb1ELb1EEEvllPKT_S5_PKT0_S8_PS3_S9_,@function
_ZN2at6native12_GLOBAL__N_135GammaBetaBackwardCUDAKernelTemplateIffLj64ELj8ELj64ELb0ELb1ELb1EEEvllPKT_S5_PKT0_S8_PS3_S9_: ; @_ZN2at6native12_GLOBAL__N_135GammaBetaBackwardCUDAKernelTemplateIffLj64ELj8ELj64ELb0ELb1ELb1EEEvllPKT_S5_PKT0_S8_PS3_S9_
; %bb.0:
	s_load_dwordx4 s[8:11], s[4:5], 0x0
	s_lshl_b32 s18, s7, 6
	s_mov_b32 s19, 0
	v_mov_b32_e32 v2, s18
	v_mov_b32_e32 v3, s19
	s_waitcnt lgkmcnt(0)
	v_cmp_gt_i64_e32 vcc, s[8:9], v[2:3]
	s_cbranch_vccnz .LBB146_2
; %bb.1:
	s_mov_b64 s[0:1], 0
	s_branch .LBB146_3
.LBB146_2:
	s_mov_b64 s[0:1], -1
.LBB146_3:
	s_load_dwordx2 s[16:17], s[4:5], 0x30
	v_mov_b32_e32 v3, 0
	s_andn2_b64 vcc, exec, s[0:1]
	v_mbcnt_lo_u32_b32 v8, -1, 0
	s_cbranch_vccnz .LBB146_10
; %bb.4:
	s_load_dword s0, s[4:5], 0x4c
	s_load_dword s7, s[4:5], 0x44
	s_load_dwordx4 s[12:15], s[4:5], 0x10
	s_load_dwordx2 s[2:3], s[4:5], 0x28
	v_lshlrev_b32_e32 v4, 3, v1
	s_waitcnt lgkmcnt(0)
	s_and_b32 s0, s0, 0xffff
	v_mad_u32_u24 v2, v1, s0, v0
	v_and_b32_e32 v5, 63, v2
	v_add_co_u32_e32 v10, vcc, s18, v4
	v_addc_co_u32_e64 v11, s[20:21], 0, 0, vcc
	v_add_co_u32_e32 v4, vcc, v10, v5
	v_cmp_gt_u32_e64 s[0:1], 8, v5
	v_mbcnt_hi_u32_b32 v6, -1, v8
	v_addc_co_u32_e32 v5, vcc, 0, v11, vcc
	v_mul_lo_u32 v14, s11, v10
	v_mul_lo_u32 v15, s10, v11
	v_mad_u64_u32 v[11:12], s[20:21], s10, v10, 0
	v_lshlrev_b32_e32 v6, 2, v6
	v_and_b32_e32 v9, 0x100, v6
	v_lshlrev_b64 v[6:7], 2, v[4:5]
	v_mov_b32_e32 v3, 0
	v_lshl_add_u32 v2, s6, 6, v0
	v_mov_b32_e32 v13, s3
	v_add_co_u32_e32 v6, vcc, s2, v6
	v_add3_u32 v12, v12, v15, v14
	v_addc_co_u32_e32 v7, vcc, v13, v7, vcc
	v_lshlrev_b64 v[11:12], 2, v[11:12]
	v_lshlrev_b64 v[13:14], 2, v[2:3]
	s_lshl_b32 s4, s7, 6
	s_mul_i32 s2, s11, s4
	s_mul_hi_u32 s3, s10, s4
	s_mov_b32 s5, 0
	v_add_co_u32_e32 v2, vcc, v11, v13
	s_add_i32 s3, s3, s2
	s_mul_i32 s2, s10, s4
	v_or_b32_e32 v10, 20, v9
	v_addc_co_u32_e32 v11, vcc, v12, v14, vcc
	v_or_b32_e32 v12, 24, v9
	v_or_b32_e32 v13, 28, v9
	s_lshl_b64 s[20:21], s[4:5], 2
	s_lshl_b64 s[22:23], s[2:3], 2
	;; [unrolled: 1-line block ×3, first 2 shown]
	s_branch .LBB146_7
.LBB146_5:                              ;   in Loop: Header=BB146_7 Depth=1
	s_or_b64 exec, exec, s[24:25]
.LBB146_6:                              ;   in Loop: Header=BB146_7 Depth=1
	s_or_b64 exec, exec, s[2:3]
	v_mov_b32_e32 v16, s13
	v_add_co_u32_e32 v15, vcc, s12, v2
	v_addc_co_u32_e32 v16, vcc, v16, v11, vcc
	v_mov_b32_e32 v21, s11
	v_add_co_u32_e32 v17, vcc, s10, v15
	v_addc_co_u32_e32 v18, vcc, v16, v21, vcc
	global_load_dword v22, v[15:16], off
	v_mov_b32_e32 v16, s15
	v_add_co_u32_e32 v15, vcc, s14, v2
	v_addc_co_u32_e32 v16, vcc, v16, v11, vcc
	v_add_co_u32_e32 v19, vcc, s10, v15
	global_load_dword v15, v[15:16], off
	v_addc_co_u32_e32 v20, vcc, v16, v21, vcc
	s_waitcnt vmcnt(2)
	ds_bpermute_b32 v16, v9, v14
	s_add_u32 s18, s18, s4
	s_addc_u32 s19, s19, 0
	v_add_co_u32_e64 v6, s[2:3], s20, v6
	s_waitcnt vmcnt(0)
	v_mul_f32_e32 v15, v22, v15
	s_waitcnt lgkmcnt(0)
	v_fmac_f32_e32 v3, v15, v16
	v_add_co_u32_e32 v15, vcc, s10, v17
	v_addc_co_u32_e32 v16, vcc, v18, v21, vcc
	global_load_dword v22, v[17:18], off
	v_add_co_u32_e32 v17, vcc, s10, v19
	global_load_dword v19, v[19:20], off
	v_addc_co_u32_e32 v18, vcc, v20, v21, vcc
	v_or_b32_e32 v20, 4, v9
	ds_bpermute_b32 v20, v20, v14
	s_waitcnt vmcnt(0)
	v_mul_f32_e32 v19, v22, v19
	s_waitcnt lgkmcnt(0)
	v_fmac_f32_e32 v3, v19, v20
	v_add_co_u32_e32 v19, vcc, s10, v15
	v_addc_co_u32_e32 v20, vcc, v16, v21, vcc
	global_load_dword v22, v[15:16], off
	v_add_co_u32_e32 v15, vcc, s10, v17
	global_load_dword v17, v[17:18], off
	v_addc_co_u32_e32 v16, vcc, v18, v21, vcc
	v_or_b32_e32 v18, 8, v9
	ds_bpermute_b32 v18, v18, v14
	;; [unrolled: 12-line block ×4, first 2 shown]
	s_waitcnt vmcnt(0)
	v_mul_f32_e32 v19, v22, v19
	s_waitcnt lgkmcnt(0)
	v_fmac_f32_e32 v3, v19, v20
	v_add_co_u32_e32 v19, vcc, s10, v15
	v_addc_co_u32_e32 v20, vcc, v16, v21, vcc
	global_load_dword v22, v[15:16], off
	v_add_co_u32_e32 v15, vcc, s10, v17
	global_load_dword v17, v[17:18], off
	v_addc_co_u32_e32 v16, vcc, v18, v21, vcc
	ds_bpermute_b32 v18, v10, v14
	s_waitcnt vmcnt(0)
	v_mul_f32_e32 v17, v22, v17
	s_waitcnt lgkmcnt(0)
	v_fmac_f32_e32 v3, v17, v18
	v_add_co_u32_e32 v17, vcc, s10, v19
	v_addc_co_u32_e32 v18, vcc, v20, v21, vcc
	global_load_dword v22, v[19:20], off
	v_add_co_u32_e32 v19, vcc, s10, v15
	global_load_dword v15, v[15:16], off
	v_addc_co_u32_e32 v20, vcc, v16, v21, vcc
	ds_bpermute_b32 v16, v12, v14
	ds_bpermute_b32 v14, v13, v14
	s_waitcnt vmcnt(0)
	v_mul_f32_e32 v15, v22, v15
	s_waitcnt lgkmcnt(1)
	v_fmac_f32_e32 v3, v15, v16
	global_load_dword v15, v[17:18], off
	global_load_dword v16, v[19:20], off
	s_waitcnt vmcnt(0)
	v_mul_f32_e32 v15, v15, v16
	s_waitcnt lgkmcnt(0)
	v_fmac_f32_e32 v3, v15, v14
	v_mov_b32_e32 v15, s9
	v_mov_b32_e32 v14, s8
	v_cmp_lt_i64_e32 vcc, s[18:19], v[14:15]
	v_mov_b32_e32 v14, s21
	v_addc_co_u32_e64 v7, s[2:3], v7, v14, s[2:3]
	v_add_co_u32_e64 v2, s[2:3], s22, v2
	v_mov_b32_e32 v14, s23
	v_addc_co_u32_e64 v11, s[2:3], v11, v14, s[2:3]
	v_add_co_u32_e64 v4, s[2:3], s4, v4
	v_addc_co_u32_e64 v5, s[2:3], 0, v5, s[2:3]
	s_cbranch_vccz .LBB146_10
.LBB146_7:                              ; =>This Inner Loop Header: Depth=1
	v_mov_b32_e32 v14, 0
	s_and_saveexec_b64 s[2:3], s[0:1]
	s_cbranch_execz .LBB146_6
; %bb.8:                                ;   in Loop: Header=BB146_7 Depth=1
	v_cmp_gt_i64_e32 vcc, s[8:9], v[4:5]
	v_mov_b32_e32 v14, 0
	s_and_saveexec_b64 s[24:25], vcc
	s_cbranch_execz .LBB146_5
; %bb.9:                                ;   in Loop: Header=BB146_7 Depth=1
	global_load_dword v14, v[6:7], off
	s_branch .LBB146_5
.LBB146_10:
	s_movk_i32 s0, 0x41
	v_mad_u32_u24 v2, v1, s0, v0
	v_lshl_add_u32 v2, v2, 2, 0
	ds_write_b32 v2, v3
	v_mov_b32_e32 v3, 0
	ds_write_b32 v2, v3 offset:2080
	v_lshrrev_b32_e32 v2, 6, v0
	v_add_u32_e32 v1, v2, v1
	v_cmp_gt_u32_e32 vcc, 64, v1
	s_waitcnt lgkmcnt(0)
	s_barrier
	s_and_saveexec_b64 s[0:1], vcc
	s_cbranch_execz .LBB146_50
; %bb.11:
	v_and_b32_e32 v2, 63, v0
	v_cmp_gt_u32_e32 vcc, 8, v2
	v_mul_u32_u24_e32 v3, 0x41, v2
                                        ; implicit-def: $vgpr2
	s_and_saveexec_b64 s[0:1], vcc
; %bb.12:
	v_lshlrev_b32_e32 v2, 2, v1
	v_lshlrev_b32_e32 v4, 2, v3
	v_add3_u32 v2, 0, v2, v4
	ds_read_b32 v2, v2
; %bb.13:
	s_or_b64 exec, exec, s[0:1]
	v_mbcnt_hi_u32_b32 v6, -1, v8
	v_and_b32_e32 v4, 64, v6
	v_add_u32_e32 v7, 64, v4
	v_xor_b32_e32 v4, 4, v6
	v_cmp_lt_i32_e64 s[0:1], v4, v7
	v_cndmask_b32_e64 v4, v6, v4, s[0:1]
	v_lshlrev_b32_e32 v4, 2, v4
	s_waitcnt lgkmcnt(0)
	ds_bpermute_b32 v5, v4, v2
	v_xor_b32_e32 v8, 2, v6
	v_cmp_lt_i32_e64 s[0:1], v8, v7
	s_cmp_lg_u64 s[16:17], 0
	s_mov_b32 s7, 0
	s_waitcnt lgkmcnt(0)
	v_add_f32_e32 v2, v2, v5
	v_cndmask_b32_e64 v5, v6, v8, s[0:1]
	v_lshlrev_b32_e32 v5, 2, v5
	ds_bpermute_b32 v8, v5, v2
	v_cmp_eq_u32_e64 s[0:1], 0, v0
	v_xor_b32_e32 v0, 1, v6
	v_cmp_lt_i32_e64 s[2:3], v0, v7
	v_cndmask_b32_e64 v0, v6, v0, s[2:3]
	s_waitcnt lgkmcnt(0)
	v_add_f32_e32 v2, v2, v8
	v_lshlrev_b32_e32 v0, 2, v0
	ds_bpermute_b32 v6, v0, v2
	s_cselect_b64 s[4:5], -1, 0
	s_and_b64 s[2:3], s[0:1], s[4:5]
	s_lshl_b64 s[0:1], s[6:7], 8
	s_add_u32 s6, s16, s0
	s_addc_u32 s7, s17, s1
	s_waitcnt lgkmcnt(0)
	v_add_f32_e32 v6, v2, v6
	s_and_saveexec_b64 s[4:5], s[2:3]
	s_cbranch_execz .LBB146_15
; %bb.14:
	v_mov_b32_e32 v2, 0
	v_lshlrev_b64 v[7:8], 2, v[1:2]
	v_mov_b32_e32 v2, s7
	v_add_co_u32_e64 v7, s[0:1], s6, v7
	v_addc_co_u32_e64 v8, s[0:1], v2, v8, s[0:1]
	global_store_dword v[7:8], v6, off
.LBB146_15:
	s_or_b64 exec, exec, s[4:5]
	v_cmp_gt_u32_e64 s[0:1], 56, v1
	s_and_b64 exec, exec, s[0:1]
	s_cbranch_execz .LBB146_50
; %bb.16:
	s_and_saveexec_b64 s[0:1], vcc
; %bb.17:
	v_lshlrev_b32_e32 v2, 2, v1
	v_lshlrev_b32_e32 v6, 2, v3
	v_add3_u32 v2, 0, v2, v6
	ds_read_b32 v6, v2 offset:32
; %bb.18:
	s_or_b64 exec, exec, s[0:1]
	s_waitcnt lgkmcnt(0)
	ds_bpermute_b32 v2, v4, v6
	s_waitcnt lgkmcnt(0)
	v_add_f32_e32 v2, v6, v2
	ds_bpermute_b32 v6, v5, v2
	s_waitcnt lgkmcnt(0)
	v_add_f32_e32 v2, v2, v6
	ds_bpermute_b32 v6, v0, v2
	s_waitcnt lgkmcnt(0)
	v_add_f32_e32 v6, v2, v6
	s_and_saveexec_b64 s[4:5], s[2:3]
	s_cbranch_execz .LBB146_20
; %bb.19:
	v_mov_b32_e32 v2, 0
	v_lshlrev_b64 v[7:8], 2, v[1:2]
	v_mov_b32_e32 v2, s7
	v_add_co_u32_e64 v7, s[0:1], s6, v7
	v_addc_co_u32_e64 v8, s[0:1], v2, v8, s[0:1]
	global_store_dword v[7:8], v6, off offset:32
.LBB146_20:
	s_or_b64 exec, exec, s[4:5]
	v_cmp_gt_u32_e64 s[0:1], 48, v1
	s_and_b64 exec, exec, s[0:1]
	s_cbranch_execz .LBB146_50
; %bb.21:
	s_and_saveexec_b64 s[0:1], vcc
; %bb.22:
	v_lshlrev_b32_e32 v2, 2, v1
	v_lshlrev_b32_e32 v6, 2, v3
	v_add3_u32 v2, 0, v2, v6
	ds_read_b32 v6, v2 offset:64
; %bb.23:
	s_or_b64 exec, exec, s[0:1]
	s_waitcnt lgkmcnt(0)
	ds_bpermute_b32 v2, v4, v6
	s_waitcnt lgkmcnt(0)
	v_add_f32_e32 v2, v6, v2
	ds_bpermute_b32 v6, v5, v2
	s_waitcnt lgkmcnt(0)
	v_add_f32_e32 v2, v2, v6
	ds_bpermute_b32 v6, v0, v2
	s_waitcnt lgkmcnt(0)
	v_add_f32_e32 v6, v2, v6
	s_and_saveexec_b64 s[4:5], s[2:3]
	s_cbranch_execz .LBB146_25
; %bb.24:
	v_mov_b32_e32 v2, 0
	v_lshlrev_b64 v[7:8], 2, v[1:2]
	v_mov_b32_e32 v2, s7
	v_add_co_u32_e64 v7, s[0:1], s6, v7
	v_addc_co_u32_e64 v8, s[0:1], v2, v8, s[0:1]
	global_store_dword v[7:8], v6, off offset:64
.LBB146_25:
	;; [unrolled: 33-line block ×6, first 2 shown]
	s_or_b64 exec, exec, s[4:5]
	v_cmp_gt_u32_e64 s[0:1], 8, v1
	s_and_b64 exec, exec, s[0:1]
	s_cbranch_execz .LBB146_50
; %bb.46:
	s_and_saveexec_b64 s[0:1], vcc
; %bb.47:
	v_lshlrev_b32_e32 v2, 2, v1
	v_lshlrev_b32_e32 v3, 2, v3
	v_add3_u32 v2, 0, v2, v3
	ds_read_b32 v6, v2 offset:224
; %bb.48:
	s_or_b64 exec, exec, s[0:1]
	s_waitcnt lgkmcnt(0)
	ds_bpermute_b32 v2, v4, v6
	s_waitcnt lgkmcnt(0)
	v_add_f32_e32 v2, v6, v2
	ds_bpermute_b32 v3, v5, v2
	s_waitcnt lgkmcnt(0)
	v_add_f32_e32 v2, v2, v3
	ds_bpermute_b32 v0, v0, v2
	s_and_saveexec_b64 s[0:1], s[2:3]
	s_xor_b64 s[0:1], exec, s[0:1]
	s_cbranch_execz .LBB146_50
; %bb.49:
	s_waitcnt lgkmcnt(0)
	v_add_f32_e32 v3, v2, v0
	v_mov_b32_e32 v2, 0
	v_lshlrev_b64 v[0:1], 2, v[1:2]
	v_mov_b32_e32 v2, s7
	v_add_co_u32_e32 v0, vcc, s6, v0
	v_addc_co_u32_e32 v1, vcc, v2, v1, vcc
	global_store_dword v[0:1], v3, off offset:224
.LBB146_50:
	s_endpgm
	.section	.rodata,"a",@progbits
	.p2align	6, 0x0
	.amdhsa_kernel _ZN2at6native12_GLOBAL__N_135GammaBetaBackwardCUDAKernelTemplateIffLj64ELj8ELj64ELb0ELb1ELb1EEEvllPKT_S5_PKT0_S8_PS3_S9_
		.amdhsa_group_segment_fixed_size 0
		.amdhsa_private_segment_fixed_size 0
		.amdhsa_kernarg_size 320
		.amdhsa_user_sgpr_count 6
		.amdhsa_user_sgpr_private_segment_buffer 1
		.amdhsa_user_sgpr_dispatch_ptr 0
		.amdhsa_user_sgpr_queue_ptr 0
		.amdhsa_user_sgpr_kernarg_segment_ptr 1
		.amdhsa_user_sgpr_dispatch_id 0
		.amdhsa_user_sgpr_flat_scratch_init 0
		.amdhsa_user_sgpr_private_segment_size 0
		.amdhsa_uses_dynamic_stack 0
		.amdhsa_system_sgpr_private_segment_wavefront_offset 0
		.amdhsa_system_sgpr_workgroup_id_x 1
		.amdhsa_system_sgpr_workgroup_id_y 1
		.amdhsa_system_sgpr_workgroup_id_z 0
		.amdhsa_system_sgpr_workgroup_info 0
		.amdhsa_system_vgpr_workitem_id 1
		.amdhsa_next_free_vgpr 23
		.amdhsa_next_free_sgpr 26
		.amdhsa_reserve_vcc 1
		.amdhsa_reserve_flat_scratch 0
		.amdhsa_float_round_mode_32 0
		.amdhsa_float_round_mode_16_64 0
		.amdhsa_float_denorm_mode_32 3
		.amdhsa_float_denorm_mode_16_64 3
		.amdhsa_dx10_clamp 1
		.amdhsa_ieee_mode 1
		.amdhsa_fp16_overflow 0
		.amdhsa_exception_fp_ieee_invalid_op 0
		.amdhsa_exception_fp_denorm_src 0
		.amdhsa_exception_fp_ieee_div_zero 0
		.amdhsa_exception_fp_ieee_overflow 0
		.amdhsa_exception_fp_ieee_underflow 0
		.amdhsa_exception_fp_ieee_inexact 0
		.amdhsa_exception_int_div_zero 0
	.end_amdhsa_kernel
	.section	.text._ZN2at6native12_GLOBAL__N_135GammaBetaBackwardCUDAKernelTemplateIffLj64ELj8ELj64ELb0ELb1ELb1EEEvllPKT_S5_PKT0_S8_PS3_S9_,"axG",@progbits,_ZN2at6native12_GLOBAL__N_135GammaBetaBackwardCUDAKernelTemplateIffLj64ELj8ELj64ELb0ELb1ELb1EEEvllPKT_S5_PKT0_S8_PS3_S9_,comdat
.Lfunc_end146:
	.size	_ZN2at6native12_GLOBAL__N_135GammaBetaBackwardCUDAKernelTemplateIffLj64ELj8ELj64ELb0ELb1ELb1EEEvllPKT_S5_PKT0_S8_PS3_S9_, .Lfunc_end146-_ZN2at6native12_GLOBAL__N_135GammaBetaBackwardCUDAKernelTemplateIffLj64ELj8ELj64ELb0ELb1ELb1EEEvllPKT_S5_PKT0_S8_PS3_S9_
                                        ; -- End function
	.set _ZN2at6native12_GLOBAL__N_135GammaBetaBackwardCUDAKernelTemplateIffLj64ELj8ELj64ELb0ELb1ELb1EEEvllPKT_S5_PKT0_S8_PS3_S9_.num_vgpr, 23
	.set _ZN2at6native12_GLOBAL__N_135GammaBetaBackwardCUDAKernelTemplateIffLj64ELj8ELj64ELb0ELb1ELb1EEEvllPKT_S5_PKT0_S8_PS3_S9_.num_agpr, 0
	.set _ZN2at6native12_GLOBAL__N_135GammaBetaBackwardCUDAKernelTemplateIffLj64ELj8ELj64ELb0ELb1ELb1EEEvllPKT_S5_PKT0_S8_PS3_S9_.numbered_sgpr, 26
	.set _ZN2at6native12_GLOBAL__N_135GammaBetaBackwardCUDAKernelTemplateIffLj64ELj8ELj64ELb0ELb1ELb1EEEvllPKT_S5_PKT0_S8_PS3_S9_.num_named_barrier, 0
	.set _ZN2at6native12_GLOBAL__N_135GammaBetaBackwardCUDAKernelTemplateIffLj64ELj8ELj64ELb0ELb1ELb1EEEvllPKT_S5_PKT0_S8_PS3_S9_.private_seg_size, 0
	.set _ZN2at6native12_GLOBAL__N_135GammaBetaBackwardCUDAKernelTemplateIffLj64ELj8ELj64ELb0ELb1ELb1EEEvllPKT_S5_PKT0_S8_PS3_S9_.uses_vcc, 1
	.set _ZN2at6native12_GLOBAL__N_135GammaBetaBackwardCUDAKernelTemplateIffLj64ELj8ELj64ELb0ELb1ELb1EEEvllPKT_S5_PKT0_S8_PS3_S9_.uses_flat_scratch, 0
	.set _ZN2at6native12_GLOBAL__N_135GammaBetaBackwardCUDAKernelTemplateIffLj64ELj8ELj64ELb0ELb1ELb1EEEvllPKT_S5_PKT0_S8_PS3_S9_.has_dyn_sized_stack, 0
	.set _ZN2at6native12_GLOBAL__N_135GammaBetaBackwardCUDAKernelTemplateIffLj64ELj8ELj64ELb0ELb1ELb1EEEvllPKT_S5_PKT0_S8_PS3_S9_.has_recursion, 0
	.set _ZN2at6native12_GLOBAL__N_135GammaBetaBackwardCUDAKernelTemplateIffLj64ELj8ELj64ELb0ELb1ELb1EEEvllPKT_S5_PKT0_S8_PS3_S9_.has_indirect_call, 0
	.section	.AMDGPU.csdata,"",@progbits
; Kernel info:
; codeLenInByte = 2336
; TotalNumSgprs: 30
; NumVgprs: 23
; ScratchSize: 0
; MemoryBound: 0
; FloatMode: 240
; IeeeMode: 1
; LDSByteSize: 0 bytes/workgroup (compile time only)
; SGPRBlocks: 3
; VGPRBlocks: 5
; NumSGPRsForWavesPerEU: 30
; NumVGPRsForWavesPerEU: 23
; Occupancy: 10
; WaveLimiterHint : 0
; COMPUTE_PGM_RSRC2:SCRATCH_EN: 0
; COMPUTE_PGM_RSRC2:USER_SGPR: 6
; COMPUTE_PGM_RSRC2:TRAP_HANDLER: 0
; COMPUTE_PGM_RSRC2:TGID_X_EN: 1
; COMPUTE_PGM_RSRC2:TGID_Y_EN: 1
; COMPUTE_PGM_RSRC2:TGID_Z_EN: 0
; COMPUTE_PGM_RSRC2:TIDIG_COMP_CNT: 1
	.section	.text._ZN2at6native12_GLOBAL__N_135GammaBetaBackwardCUDAKernelTemplateIffLj64ELj8ELj64ELb0ELb0ELb1EEEvllPKT_S5_PKT0_S8_PS3_S9_,"axG",@progbits,_ZN2at6native12_GLOBAL__N_135GammaBetaBackwardCUDAKernelTemplateIffLj64ELj8ELj64ELb0ELb0ELb1EEEvllPKT_S5_PKT0_S8_PS3_S9_,comdat
	.globl	_ZN2at6native12_GLOBAL__N_135GammaBetaBackwardCUDAKernelTemplateIffLj64ELj8ELj64ELb0ELb0ELb1EEEvllPKT_S5_PKT0_S8_PS3_S9_ ; -- Begin function _ZN2at6native12_GLOBAL__N_135GammaBetaBackwardCUDAKernelTemplateIffLj64ELj8ELj64ELb0ELb0ELb1EEEvllPKT_S5_PKT0_S8_PS3_S9_
	.p2align	8
	.type	_ZN2at6native12_GLOBAL__N_135GammaBetaBackwardCUDAKernelTemplateIffLj64ELj8ELj64ELb0ELb0ELb1EEEvllPKT_S5_PKT0_S8_PS3_S9_,@function
_ZN2at6native12_GLOBAL__N_135GammaBetaBackwardCUDAKernelTemplateIffLj64ELj8ELj64ELb0ELb0ELb1EEEvllPKT_S5_PKT0_S8_PS3_S9_: ; @_ZN2at6native12_GLOBAL__N_135GammaBetaBackwardCUDAKernelTemplateIffLj64ELj8ELj64ELb0ELb0ELb1EEEvllPKT_S5_PKT0_S8_PS3_S9_
; %bb.0:
	s_load_dwordx8 s[12:19], s[4:5], 0x0
	s_load_dwordx2 s[10:11], s[4:5], 0x28
	s_lshl_b32 s20, s7, 6
	s_lshl_b32 s33, s6, 6
	s_mov_b32 s21, 0
	v_mov_b32_e32 v2, s20
	s_or_b32 s0, s33, 63
	v_mov_b32_e32 v3, s21
	v_mov_b32_e32 v48, s0
	;; [unrolled: 1-line block ×3, first 2 shown]
	s_waitcnt lgkmcnt(0)
	v_cmp_gt_i64_e64 s[0:1], s[12:13], v[2:3]
	v_cmp_le_i64_e32 vcc, s[14:15], v[48:49]
	v_cndmask_b32_e64 v2, 0, 1, s[0:1]
	v_cmp_ne_u32_e64 s[0:1], 1, v2
	s_cbranch_vccz .LBB147_49
; %bb.1:
	s_and_b64 vcc, exec, s[0:1]
	s_cbranch_vccnz .LBB147_50
; %bb.2:
	v_lshlrev_b32_e32 v21, 3, v1
	v_add_co_u32_e32 v9, vcc, s20, v21
	v_addc_co_u32_e64 v10, s[2:3], 0, 0, vcc
	v_mul_lo_u32 v7, s15, v9
	v_mul_lo_u32 v8, s14, v10
	v_mad_u64_u32 v[5:6], s[2:3], s14, v9, 0
	v_mov_b32_e32 v2, 0
	s_load_dword s7, s[4:5], 0x44
	v_add_u32_e32 v3, s33, v0
	v_mov_b32_e32 v4, v2
	v_add3_u32 v6, v6, v8, v7
	v_cmp_gt_i64_e64 s[2:3], s[14:15], v[3:4]
	v_lshlrev_b64 v[19:20], 2, v[3:4]
	v_lshlrev_b64 v[3:4], 2, v[5:6]
	s_add_u32 s22, s4, 64
	v_mov_b32_e32 v7, s17
	v_add_co_u32_e32 v22, vcc, s16, v3
	s_addc_u32 s23, s5, 0
	s_waitcnt lgkmcnt(0)
	s_lshl_b32 s7, s7, 6
	v_addc_co_u32_e32 v23, vcc, v7, v4, vcc
	s_mul_i32 s8, s15, s7
	s_mul_hi_u32 s9, s14, s7
	v_add_co_u32_e32 v7, vcc, 7, v9
	s_add_i32 s9, s9, s8
	s_mul_i32 s8, s14, s7
	v_addc_co_u32_e32 v8, vcc, 0, v10, vcc
	s_lshl_b64 s[24:25], s[8:9], 2
	v_mul_lo_u32 v12, s15, v7
	v_mul_lo_u32 v13, s14, v8
	v_mad_u64_u32 v[7:8], s[8:9], s14, v7, 0
	v_mov_b32_e32 v11, s19
	v_add_co_u32_e32 v24, vcc, s18, v3
	v_add3_u32 v8, v8, v13, v12
	v_addc_co_u32_e32 v25, vcc, v11, v4, vcc
	v_lshlrev_b64 v[3:4], 2, v[7:8]
	v_mov_b32_e32 v7, s17
	v_add_co_u32_e32 v26, vcc, s16, v3
	v_addc_co_u32_e32 v27, vcc, v7, v4, vcc
	v_add_co_u32_e32 v7, vcc, 6, v9
	v_addc_co_u32_e32 v8, vcc, 0, v10, vcc
	v_mul_lo_u32 v12, s15, v7
	v_mul_lo_u32 v13, s14, v8
	v_mad_u64_u32 v[7:8], s[8:9], s14, v7, 0
	v_add_co_u32_e32 v28, vcc, s18, v3
	v_add3_u32 v8, v8, v13, v12
	v_addc_co_u32_e32 v29, vcc, v11, v4, vcc
	v_lshlrev_b64 v[3:4], 2, v[7:8]
	v_mov_b32_e32 v7, s17
	v_add_co_u32_e32 v30, vcc, s16, v3
	v_addc_co_u32_e32 v31, vcc, v7, v4, vcc
	v_add_co_u32_e32 v7, vcc, 5, v9
	v_addc_co_u32_e32 v8, vcc, 0, v10, vcc
	v_mul_lo_u32 v12, s15, v7
	v_mul_lo_u32 v13, s14, v8
	v_mad_u64_u32 v[7:8], s[8:9], s14, v7, 0
	;; [unrolled: 12-line block ×5, first 2 shown]
	v_add_co_u32_e32 v44, vcc, s18, v3
	v_add3_u32 v8, v8, v10, v9
	v_addc_co_u32_e32 v45, vcc, v11, v4, vcc
	v_lshlrev_b64 v[3:4], 2, v[7:8]
	v_mov_b32_e32 v7, s17
	v_add_co_u32_e32 v46, vcc, s16, v3
	v_addc_co_u32_e32 v47, vcc, v7, v4, vcc
	v_mov_b32_e32 v7, s19
	v_add_co_u32_e32 v48, vcc, s18, v3
	v_addc_co_u32_e32 v50, vcc, v7, v4, vcc
	;; [unrolled: 3-line block ×3, first 2 shown]
	v_lshlrev_b64 v[3:4], 2, v[3:4]
	v_mov_b32_e32 v5, s17
	v_add_co_u32_e32 v51, vcc, s16, v3
	v_addc_co_u32_e32 v52, vcc, v5, v4, vcc
	v_add_co_u32_e32 v53, vcc, s18, v3
	v_mbcnt_lo_u32_b32 v3, -1, 0
	v_mbcnt_hi_u32_b32 v3, -1, v3
	v_mov_b32_e32 v5, s19
	s_add_u32 s26, s20, 63
	v_lshlrev_b32_e32 v3, 2, v3
	v_addc_co_u32_e32 v54, vcc, v5, v4, vcc
	s_addc_u32 s27, 0, 0
	v_and_b32_e32 v55, 0x100, v3
	s_mov_b64 s[28:29], s[20:21]
	v_mov_b32_e32 v56, 0
.LBB147_3:                              ; =>This Inner Loop Header: Depth=1
	v_mov_b32_e32 v3, s12
	v_mov_b32_e32 v4, s13
	v_cmp_ge_i64_e32 vcc, s[26:27], v[3:4]
	v_mov_b32_e32 v3, s27
	v_add_co_u32_e64 v57, s[8:9], s26, v21
	v_addc_co_u32_e64 v58, s[8:9], 0, v3, s[8:9]
	s_mov_b64 s[8:9], -1
	s_and_b64 vcc, exec, vcc
                                        ; implicit-def: $vgpr3_vgpr4_vgpr5_vgpr6_vgpr7_vgpr8_vgpr9_vgpr10
                                        ; implicit-def: $vgpr49
                                        ; implicit-def: $vgpr11_vgpr12_vgpr13_vgpr14_vgpr15_vgpr16_vgpr17_vgpr18
                                        ; implicit-def: $vgpr3
	s_cbranch_vccz .LBB147_25
; %bb.4:                                ;   in Loop: Header=BB147_3 Depth=1
	s_load_dword s8, s[22:23], 0xc
	v_mov_b32_e32 v59, 0
	s_waitcnt lgkmcnt(0)
	s_and_b32 s8, s8, 0xffff
	v_mad_u32_u24 v3, v1, s8, v0
	v_and_b32_e32 v3, 63, v3
	v_cmp_gt_u32_e32 vcc, 8, v3
	s_and_saveexec_b64 s[8:9], vcc
	s_cbranch_execz .LBB147_8
; %bb.5:                                ;   in Loop: Header=BB147_3 Depth=1
	v_add_co_u32_e32 v3, vcc, v57, v3
	v_addc_co_u32_e32 v4, vcc, 0, v58, vcc
	v_add_co_u32_e32 v3, vcc, 0xffffffc1, v3
	v_addc_co_u32_e32 v4, vcc, -1, v4, vcc
	v_cmp_gt_i64_e32 vcc, s[12:13], v[3:4]
	v_mov_b32_e32 v59, 0
	s_and_saveexec_b64 s[30:31], vcc
	s_cbranch_execz .LBB147_7
; %bb.6:                                ;   in Loop: Header=BB147_3 Depth=1
	v_lshlrev_b64 v[3:4], 2, v[3:4]
	v_mov_b32_e32 v5, s11
	v_add_co_u32_e32 v3, vcc, s10, v3
	v_addc_co_u32_e32 v4, vcc, v5, v4, vcc
	global_load_dword v59, v[3:4], off
.LBB147_7:                              ;   in Loop: Header=BB147_3 Depth=1
	s_or_b64 exec, exec, s[30:31]
.LBB147_8:                              ;   in Loop: Header=BB147_3 Depth=1
	s_or_b64 exec, exec, s[8:9]
	v_add_co_u32_e32 v3, vcc, 0xffffffc1, v57
	v_addc_co_u32_e32 v4, vcc, -1, v58, vcc
	v_mov_b32_e32 v9, v2
	v_cmp_gt_i64_e32 vcc, s[12:13], v[3:4]
	v_mov_b32_e32 v3, v2
	v_mov_b32_e32 v4, v2
	;; [unrolled: 1-line block ×15, first 2 shown]
	s_and_b64 s[30:31], s[2:3], vcc
	v_mov_b32_e32 v9, v8
	v_mov_b32_e32 v8, v7
	;; [unrolled: 1-line block ×7, first 2 shown]
	s_and_saveexec_b64 s[8:9], s[30:31]
	s_cbranch_execz .LBB147_10
; %bb.9:                                ;   in Loop: Header=BB147_3 Depth=1
	v_add_co_u32_e32 v3, vcc, v22, v19
	v_addc_co_u32_e32 v4, vcc, v23, v20, vcc
	global_load_dword v3, v[3:4], off
	v_add_co_u32_e32 v4, vcc, v24, v19
	v_addc_co_u32_e32 v5, vcc, v25, v20, vcc
	global_load_dword v11, v[4:5], off
	v_mov_b32_e32 v4, v2
	v_mov_b32_e32 v5, v2
	;; [unrolled: 1-line block ×14, first 2 shown]
.LBB147_10:                             ;   in Loop: Header=BB147_3 Depth=1
	s_or_b64 exec, exec, s[8:9]
	v_add_co_u32_e32 v60, vcc, 0xffffffc2, v57
	v_addc_co_u32_e32 v61, vcc, -1, v58, vcc
	v_cmp_gt_i64_e32 vcc, s[12:13], v[60:61]
	s_and_b64 s[30:31], s[2:3], vcc
	s_and_saveexec_b64 s[8:9], s[30:31]
	s_cbranch_execz .LBB147_12
; %bb.11:                               ;   in Loop: Header=BB147_3 Depth=1
	v_add_co_u32_e32 v60, vcc, v51, v19
	v_addc_co_u32_e32 v61, vcc, v52, v20, vcc
	global_load_dword v4, v[60:61], off
	v_add_co_u32_e32 v60, vcc, v53, v19
	v_addc_co_u32_e32 v61, vcc, v54, v20, vcc
	global_load_dword v12, v[60:61], off
.LBB147_12:                             ;   in Loop: Header=BB147_3 Depth=1
	s_or_b64 exec, exec, s[8:9]
	v_add_co_u32_e32 v60, vcc, 0xffffffc3, v57
	v_addc_co_u32_e32 v61, vcc, -1, v58, vcc
	v_cmp_gt_i64_e32 vcc, s[12:13], v[60:61]
	s_and_b64 s[30:31], s[2:3], vcc
	s_and_saveexec_b64 s[8:9], s[30:31]
	s_cbranch_execz .LBB147_14
; %bb.13:                               ;   in Loop: Header=BB147_3 Depth=1
	v_add_co_u32_e32 v60, vcc, v46, v19
	v_addc_co_u32_e32 v61, vcc, v47, v20, vcc
	global_load_dword v5, v[60:61], off
	v_add_co_u32_e32 v60, vcc, v48, v19
	v_addc_co_u32_e32 v61, vcc, v50, v20, vcc
	global_load_dword v13, v[60:61], off
.LBB147_14:                             ;   in Loop: Header=BB147_3 Depth=1
	s_or_b64 exec, exec, s[8:9]
	v_add_co_u32_e32 v60, vcc, 0xffffffc4, v57
	v_addc_co_u32_e32 v61, vcc, -1, v58, vcc
	v_cmp_gt_i64_e32 vcc, s[12:13], v[60:61]
	s_and_b64 s[30:31], s[2:3], vcc
	s_and_saveexec_b64 s[8:9], s[30:31]
	s_cbranch_execz .LBB147_16
; %bb.15:                               ;   in Loop: Header=BB147_3 Depth=1
	v_add_co_u32_e32 v60, vcc, v42, v19
	v_addc_co_u32_e32 v61, vcc, v43, v20, vcc
	global_load_dword v6, v[60:61], off
	v_add_co_u32_e32 v60, vcc, v44, v19
	v_addc_co_u32_e32 v61, vcc, v45, v20, vcc
	global_load_dword v14, v[60:61], off
.LBB147_16:                             ;   in Loop: Header=BB147_3 Depth=1
	s_or_b64 exec, exec, s[8:9]
	v_add_co_u32_e32 v60, vcc, 0xffffffc5, v57
	v_addc_co_u32_e32 v61, vcc, -1, v58, vcc
	v_cmp_gt_i64_e32 vcc, s[12:13], v[60:61]
	s_and_b64 s[30:31], s[2:3], vcc
	s_and_saveexec_b64 s[8:9], s[30:31]
	s_cbranch_execz .LBB147_18
; %bb.17:                               ;   in Loop: Header=BB147_3 Depth=1
	v_add_co_u32_e32 v60, vcc, v38, v19
	v_addc_co_u32_e32 v61, vcc, v39, v20, vcc
	global_load_dword v7, v[60:61], off
	v_add_co_u32_e32 v60, vcc, v40, v19
	v_addc_co_u32_e32 v61, vcc, v41, v20, vcc
	global_load_dword v15, v[60:61], off
.LBB147_18:                             ;   in Loop: Header=BB147_3 Depth=1
	s_or_b64 exec, exec, s[8:9]
	v_add_co_u32_e32 v60, vcc, 0xffffffc6, v57
	v_addc_co_u32_e32 v61, vcc, -1, v58, vcc
	v_cmp_gt_i64_e32 vcc, s[12:13], v[60:61]
	s_and_b64 s[30:31], s[2:3], vcc
	s_and_saveexec_b64 s[8:9], s[30:31]
	s_cbranch_execz .LBB147_20
; %bb.19:                               ;   in Loop: Header=BB147_3 Depth=1
	v_add_co_u32_e32 v60, vcc, v34, v19
	v_addc_co_u32_e32 v61, vcc, v35, v20, vcc
	global_load_dword v8, v[60:61], off
	v_add_co_u32_e32 v60, vcc, v36, v19
	v_addc_co_u32_e32 v61, vcc, v37, v20, vcc
	global_load_dword v16, v[60:61], off
.LBB147_20:                             ;   in Loop: Header=BB147_3 Depth=1
	s_or_b64 exec, exec, s[8:9]
	v_add_co_u32_e32 v60, vcc, 0xffffffc7, v57
	v_addc_co_u32_e32 v61, vcc, -1, v58, vcc
	v_cmp_gt_i64_e32 vcc, s[12:13], v[60:61]
	s_and_b64 s[30:31], s[2:3], vcc
	s_and_saveexec_b64 s[8:9], s[30:31]
	s_cbranch_execz .LBB147_22
; %bb.21:                               ;   in Loop: Header=BB147_3 Depth=1
	v_add_co_u32_e32 v60, vcc, v30, v19
	v_addc_co_u32_e32 v61, vcc, v31, v20, vcc
	global_load_dword v9, v[60:61], off
	v_add_co_u32_e32 v60, vcc, v32, v19
	v_addc_co_u32_e32 v61, vcc, v33, v20, vcc
	global_load_dword v17, v[60:61], off
.LBB147_22:                             ;   in Loop: Header=BB147_3 Depth=1
	s_or_b64 exec, exec, s[8:9]
	v_add_co_u32_e32 v60, vcc, 0xffffffc8, v57
	v_addc_co_u32_e32 v61, vcc, -1, v58, vcc
	v_cmp_gt_i64_e32 vcc, s[12:13], v[60:61]
	s_and_b64 s[30:31], s[2:3], vcc
	s_and_saveexec_b64 s[8:9], s[30:31]
	s_cbranch_execz .LBB147_24
; %bb.23:                               ;   in Loop: Header=BB147_3 Depth=1
	v_add_co_u32_e32 v60, vcc, v26, v19
	v_addc_co_u32_e32 v61, vcc, v27, v20, vcc
	global_load_dword v10, v[60:61], off
	v_add_co_u32_e32 v60, vcc, v28, v19
	v_addc_co_u32_e32 v61, vcc, v29, v20, vcc
	global_load_dword v18, v[60:61], off
.LBB147_24:                             ;   in Loop: Header=BB147_3 Depth=1
	s_or_b64 exec, exec, s[8:9]
	s_waitcnt vmcnt(0)
	ds_bpermute_b32 v49, v55, v59
	ds_bpermute_b32 v60, v55, v59 offset:4
	v_mul_f32_e32 v3, v11, v3
	ds_bpermute_b32 v11, v55, v59 offset:8
	v_mul_f32_e32 v4, v12, v4
	s_waitcnt lgkmcnt(2)
	v_fma_f32 v49, v3, v49, v56
	s_waitcnt lgkmcnt(1)
	v_fmac_f32_e32 v49, v4, v60
	ds_bpermute_b32 v3, v55, v59 offset:12
	v_mul_f32_e32 v4, v13, v5
	s_waitcnt lgkmcnt(1)
	v_fmac_f32_e32 v49, v4, v11
	ds_bpermute_b32 v4, v55, v59 offset:16
	v_mul_f32_e32 v5, v14, v6
	s_waitcnt lgkmcnt(1)
	v_fmac_f32_e32 v49, v5, v3
	v_mul_f32_e32 v3, v15, v7
	ds_bpermute_b32 v5, v55, v59 offset:20
	s_waitcnt lgkmcnt(1)
	v_fmac_f32_e32 v49, v3, v4
	ds_bpermute_b32 v4, v55, v59 offset:24
	ds_bpermute_b32 v3, v55, v59 offset:28
	v_mul_f32_e32 v6, v16, v8
	s_waitcnt lgkmcnt(2)
	v_fmac_f32_e32 v49, v6, v5
	v_mul_f32_e32 v5, v17, v9
	s_waitcnt lgkmcnt(1)
	v_fmac_f32_e32 v49, v5, v4
	s_mov_b64 s[8:9], 0
.LBB147_25:                             ;   in Loop: Header=BB147_3 Depth=1
	s_and_b64 vcc, exec, s[8:9]
	s_cbranch_vccz .LBB147_40
; %bb.26:                               ;   in Loop: Header=BB147_3 Depth=1
	s_load_dword s8, s[22:23], 0x0
	v_mov_b32_e32 v49, 0
	s_waitcnt lgkmcnt(0)
	s_cmp_lt_u32 s6, s8
	s_cselect_b32 s8, 12, 18
	s_add_u32 s8, s22, s8
	s_addc_u32 s9, s23, 0
	global_load_ushort v3, v2, s[8:9]
	s_waitcnt vmcnt(0)
	v_mad_u32_u24 v3, v1, v3, v0
	v_and_b32_e32 v3, 63, v3
	v_cmp_gt_u32_e32 vcc, 8, v3
	s_and_saveexec_b64 s[8:9], vcc
	s_cbranch_execz .LBB147_30
; %bb.27:                               ;   in Loop: Header=BB147_3 Depth=1
	v_add_co_u32_e32 v3, vcc, v57, v3
	v_addc_co_u32_e32 v4, vcc, 0, v58, vcc
	v_add_co_u32_e32 v3, vcc, 0xffffffc1, v3
	v_addc_co_u32_e32 v4, vcc, -1, v4, vcc
	v_cmp_gt_i64_e32 vcc, s[12:13], v[3:4]
	v_mov_b32_e32 v49, 0
	s_and_saveexec_b64 s[30:31], vcc
	s_cbranch_execz .LBB147_29
; %bb.28:                               ;   in Loop: Header=BB147_3 Depth=1
	v_lshlrev_b64 v[3:4], 2, v[3:4]
	v_mov_b32_e32 v5, s11
	v_add_co_u32_e32 v3, vcc, s10, v3
	v_addc_co_u32_e32 v4, vcc, v5, v4, vcc
	global_load_dword v49, v[3:4], off
.LBB147_29:                             ;   in Loop: Header=BB147_3 Depth=1
	s_or_b64 exec, exec, s[30:31]
.LBB147_30:                             ;   in Loop: Header=BB147_3 Depth=1
	s_or_b64 exec, exec, s[8:9]
	v_mov_b32_e32 v9, v2
	v_mov_b32_e32 v3, v2
	;; [unrolled: 1-line block ×23, first 2 shown]
	s_and_saveexec_b64 s[8:9], s[2:3]
	s_cbranch_execnz .LBB147_42
; %bb.31:                               ;   in Loop: Header=BB147_3 Depth=1
	s_or_b64 exec, exec, s[8:9]
	s_and_saveexec_b64 s[8:9], s[2:3]
	s_cbranch_execnz .LBB147_43
.LBB147_32:                             ;   in Loop: Header=BB147_3 Depth=1
	s_or_b64 exec, exec, s[8:9]
	s_and_saveexec_b64 s[8:9], s[2:3]
	s_cbranch_execnz .LBB147_44
.LBB147_33:                             ;   in Loop: Header=BB147_3 Depth=1
	s_or_b64 exec, exec, s[8:9]
	s_and_saveexec_b64 s[8:9], s[2:3]
	s_cbranch_execnz .LBB147_45
.LBB147_34:                             ;   in Loop: Header=BB147_3 Depth=1
	s_or_b64 exec, exec, s[8:9]
	s_and_saveexec_b64 s[8:9], s[2:3]
	s_cbranch_execnz .LBB147_46
.LBB147_35:                             ;   in Loop: Header=BB147_3 Depth=1
	s_or_b64 exec, exec, s[8:9]
	s_and_saveexec_b64 s[8:9], s[2:3]
	s_cbranch_execnz .LBB147_47
.LBB147_36:                             ;   in Loop: Header=BB147_3 Depth=1
	s_or_b64 exec, exec, s[8:9]
	s_and_saveexec_b64 s[8:9], s[2:3]
	s_cbranch_execnz .LBB147_48
.LBB147_37:                             ;   in Loop: Header=BB147_3 Depth=1
	s_or_b64 exec, exec, s[8:9]
	s_and_saveexec_b64 s[8:9], s[2:3]
	s_cbranch_execz .LBB147_39
.LBB147_38:                             ;   in Loop: Header=BB147_3 Depth=1
	v_add_co_u32_e32 v57, vcc, v26, v19
	v_addc_co_u32_e32 v58, vcc, v27, v20, vcc
	global_load_dword v10, v[57:58], off
	v_add_co_u32_e32 v57, vcc, v28, v19
	v_addc_co_u32_e32 v58, vcc, v29, v20, vcc
	global_load_dword v18, v[57:58], off
.LBB147_39:                             ;   in Loop: Header=BB147_3 Depth=1
	s_or_b64 exec, exec, s[8:9]
	s_waitcnt vmcnt(0)
	ds_bpermute_b32 v57, v55, v49
	ds_bpermute_b32 v58, v55, v49 offset:4
	v_mul_f32_e32 v3, v11, v3
	ds_bpermute_b32 v11, v55, v49 offset:8
	v_mul_f32_e32 v4, v12, v4
	s_waitcnt lgkmcnt(2)
	v_fmac_f32_e32 v56, v3, v57
	s_waitcnt lgkmcnt(1)
	v_fmac_f32_e32 v56, v4, v58
	ds_bpermute_b32 v3, v55, v49 offset:12
	v_mul_f32_e32 v4, v13, v5
	s_waitcnt lgkmcnt(1)
	v_fmac_f32_e32 v56, v4, v11
	ds_bpermute_b32 v4, v55, v49 offset:16
	v_mul_f32_e32 v5, v14, v6
	s_waitcnt lgkmcnt(1)
	v_fmac_f32_e32 v56, v5, v3
	v_mul_f32_e32 v3, v15, v7
	ds_bpermute_b32 v5, v55, v49 offset:20
	s_waitcnt lgkmcnt(1)
	v_fmac_f32_e32 v56, v3, v4
	ds_bpermute_b32 v4, v55, v49 offset:24
	ds_bpermute_b32 v3, v55, v49 offset:28
	v_mul_f32_e32 v6, v16, v8
	s_waitcnt lgkmcnt(2)
	v_fmac_f32_e32 v56, v6, v5
	v_mul_f32_e32 v5, v17, v9
	s_waitcnt lgkmcnt(1)
	v_fmac_f32_e32 v56, v5, v4
	v_mov_b32_e32 v49, v56
.LBB147_40:                             ;   in Loop: Header=BB147_3 Depth=1
	v_mul_f32_e32 v4, v10, v18
	s_waitcnt lgkmcnt(0)
	v_fmac_f32_e32 v49, v4, v3
	v_mov_b32_e32 v3, s25
	v_add_co_u32_e32 v22, vcc, s24, v22
	v_addc_co_u32_e32 v23, vcc, v23, v3, vcc
	v_add_co_u32_e32 v24, vcc, s24, v24
	v_addc_co_u32_e32 v25, vcc, v25, v3, vcc
	;; [unrolled: 2-line block ×15, first 2 shown]
	v_add_co_u32_e32 v53, vcc, s24, v53
	s_add_u32 s28, s28, s7
	v_addc_co_u32_e32 v54, vcc, v54, v3, vcc
	v_mov_b32_e32 v3, s12
	s_addc_u32 s29, s29, 0
	v_mov_b32_e32 v4, s13
	v_cmp_lt_i64_e32 vcc, s[28:29], v[3:4]
	s_add_u32 s26, s26, s7
	s_addc_u32 s27, s27, 0
	s_cbranch_vccz .LBB147_50
; %bb.41:                               ;   in Loop: Header=BB147_3 Depth=1
	v_mov_b32_e32 v56, v49
	s_branch .LBB147_3
.LBB147_42:                             ;   in Loop: Header=BB147_3 Depth=1
	v_add_co_u32_e32 v3, vcc, v22, v19
	v_addc_co_u32_e32 v4, vcc, v23, v20, vcc
	global_load_dword v3, v[3:4], off
	v_add_co_u32_e32 v4, vcc, v24, v19
	v_addc_co_u32_e32 v5, vcc, v25, v20, vcc
	global_load_dword v11, v[4:5], off
	v_mov_b32_e32 v4, v2
	v_mov_b32_e32 v5, v2
	;; [unrolled: 1-line block ×14, first 2 shown]
	s_or_b64 exec, exec, s[8:9]
	s_and_saveexec_b64 s[8:9], s[2:3]
	s_cbranch_execz .LBB147_32
.LBB147_43:                             ;   in Loop: Header=BB147_3 Depth=1
	v_add_co_u32_e32 v57, vcc, v51, v19
	v_addc_co_u32_e32 v58, vcc, v52, v20, vcc
	global_load_dword v4, v[57:58], off
	v_add_co_u32_e32 v57, vcc, v53, v19
	v_addc_co_u32_e32 v58, vcc, v54, v20, vcc
	global_load_dword v12, v[57:58], off
	s_or_b64 exec, exec, s[8:9]
	s_and_saveexec_b64 s[8:9], s[2:3]
	s_cbranch_execz .LBB147_33
.LBB147_44:                             ;   in Loop: Header=BB147_3 Depth=1
	v_add_co_u32_e32 v57, vcc, v46, v19
	v_addc_co_u32_e32 v58, vcc, v47, v20, vcc
	global_load_dword v5, v[57:58], off
	v_add_co_u32_e32 v57, vcc, v48, v19
	v_addc_co_u32_e32 v58, vcc, v50, v20, vcc
	global_load_dword v13, v[57:58], off
	s_or_b64 exec, exec, s[8:9]
	s_and_saveexec_b64 s[8:9], s[2:3]
	s_cbranch_execz .LBB147_34
.LBB147_45:                             ;   in Loop: Header=BB147_3 Depth=1
	v_add_co_u32_e32 v57, vcc, v42, v19
	v_addc_co_u32_e32 v58, vcc, v43, v20, vcc
	global_load_dword v6, v[57:58], off
	v_add_co_u32_e32 v57, vcc, v44, v19
	v_addc_co_u32_e32 v58, vcc, v45, v20, vcc
	global_load_dword v14, v[57:58], off
	s_or_b64 exec, exec, s[8:9]
	s_and_saveexec_b64 s[8:9], s[2:3]
	s_cbranch_execz .LBB147_35
.LBB147_46:                             ;   in Loop: Header=BB147_3 Depth=1
	v_add_co_u32_e32 v57, vcc, v38, v19
	v_addc_co_u32_e32 v58, vcc, v39, v20, vcc
	global_load_dword v7, v[57:58], off
	v_add_co_u32_e32 v57, vcc, v40, v19
	v_addc_co_u32_e32 v58, vcc, v41, v20, vcc
	global_load_dword v15, v[57:58], off
	s_or_b64 exec, exec, s[8:9]
	s_and_saveexec_b64 s[8:9], s[2:3]
	s_cbranch_execz .LBB147_36
.LBB147_47:                             ;   in Loop: Header=BB147_3 Depth=1
	v_add_co_u32_e32 v57, vcc, v34, v19
	v_addc_co_u32_e32 v58, vcc, v35, v20, vcc
	global_load_dword v8, v[57:58], off
	v_add_co_u32_e32 v57, vcc, v36, v19
	v_addc_co_u32_e32 v58, vcc, v37, v20, vcc
	global_load_dword v16, v[57:58], off
	s_or_b64 exec, exec, s[8:9]
	s_and_saveexec_b64 s[8:9], s[2:3]
	s_cbranch_execz .LBB147_37
.LBB147_48:                             ;   in Loop: Header=BB147_3 Depth=1
	v_add_co_u32_e32 v57, vcc, v30, v19
	v_addc_co_u32_e32 v58, vcc, v31, v20, vcc
	global_load_dword v9, v[57:58], off
	v_add_co_u32_e32 v57, vcc, v32, v19
	v_addc_co_u32_e32 v58, vcc, v33, v20, vcc
	global_load_dword v17, v[57:58], off
	s_or_b64 exec, exec, s[8:9]
	s_and_saveexec_b64 s[8:9], s[2:3]
	s_cbranch_execnz .LBB147_38
	s_branch .LBB147_39
.LBB147_49:
                                        ; implicit-def: $vgpr49
	s_branch .LBB147_51
.LBB147_50:
	s_cbranch_execnz .LBB147_83
.LBB147_51:
	s_and_b64 vcc, exec, s[0:1]
	v_mov_b32_e32 v49, 0
	s_cbranch_vccnz .LBB147_83
; %bb.52:
	v_lshlrev_b32_e32 v50, 3, v1
	v_add_co_u32_e32 v6, vcc, s20, v50
	v_addc_co_u32_e64 v7, s[0:1], 0, 0, vcc
	s_load_dword s7, s[4:5], 0x44
	v_mul_lo_u32 v2, s15, v6
	v_mul_lo_u32 v3, s14, v7
	v_mad_u64_u32 v[4:5], s[0:1], s14, v6, 0
	s_add_u32 s2, s4, 64
	s_addc_u32 s3, s5, 0
	v_add3_u32 v5, v5, v3, v2
	s_waitcnt lgkmcnt(0)
	s_lshl_b32 s7, s7, 6
	v_lshlrev_b64 v[2:3], 2, v[4:5]
	s_mul_i32 s0, s15, s7
	s_mul_hi_u32 s1, s14, s7
	v_mov_b32_e32 v8, s17
	v_add_co_u32_e32 v51, vcc, s16, v2
	s_add_i32 s1, s1, s0
	s_mul_i32 s0, s14, s7
	v_addc_co_u32_e32 v52, vcc, v8, v3, vcc
	s_lshl_b64 s[8:9], s[0:1], 2
	v_mov_b32_e32 v8, s19
	v_add_co_u32_e32 v53, vcc, s18, v2
	s_add_u32 s22, s20, 63
	v_addc_co_u32_e32 v54, vcc, v8, v3, vcc
	s_addc_u32 s23, 0, 0
	v_lshlrev_b32_e32 v2, 5, v1
	s_lshl_b64 s[0:1], s[20:21], 2
	v_mov_b32_e32 v3, s1
	v_add_co_u32_e32 v8, vcc, s0, v2
	v_addc_co_u32_e32 v9, vcc, 0, v3, vcc
	v_add_co_u32_e32 v12, vcc, 4, v8
	v_addc_co_u32_e32 v10, vcc, 0, v9, vcc
	v_mov_b32_e32 v2, s16
	v_mul_lo_u32 v14, s14, v10
	v_mov_b32_e32 v10, s18
	v_mov_b32_e32 v3, s17
	;; [unrolled: 1-line block ×3, first 2 shown]
	v_mad_u64_u32 v[19:20], s[0:1], s14, v12, v[2:3]
	v_mul_lo_u32 v15, s15, v12
	v_mad_u64_u32 v[21:22], s[0:1], s14, v12, v[10:11]
	v_add_co_u32_e32 v12, vcc, 8, v8
	v_addc_co_u32_e32 v16, vcc, 0, v9, vcc
	v_mov_b32_e32 v13, s15
	v_add_co_u32_e32 v4, vcc, s14, v4
	v_addc_co_u32_e32 v5, vcc, v5, v13, vcc
	v_mul_lo_u32 v17, s15, v12
	v_mad_u64_u32 v[23:24], s[0:1], s14, v12, v[2:3]
	v_mad_u64_u32 v[25:26], s[0:1], s14, v12, v[10:11]
	v_add_co_u32_e32 v12, vcc, 12, v8
	v_addc_co_u32_e32 v13, vcc, 0, v9, vcc
	v_add3_u32 v20, v15, v20, v14
	v_add3_u32 v22, v15, v22, v14
	v_mul_lo_u32 v13, s14, v13
	v_mul_lo_u32 v14, s15, v12
	v_mad_u64_u32 v[27:28], s[0:1], s14, v12, v[2:3]
	v_mad_u64_u32 v[29:30], s[0:1], s14, v12, v[10:11]
	v_add_co_u32_e32 v12, vcc, 16, v8
	v_mul_lo_u32 v16, s14, v16
	v_addc_co_u32_e32 v15, vcc, 0, v9, vcc
	v_mul_lo_u32 v18, s15, v12
	v_mad_u64_u32 v[31:32], s[0:1], s14, v12, v[2:3]
	v_mad_u64_u32 v[33:34], s[0:1], s14, v12, v[10:11]
	v_add_co_u32_e32 v12, vcc, 20, v8
	v_add3_u32 v28, v14, v28, v13
	v_add3_u32 v30, v14, v30, v13
	v_addc_co_u32_e32 v13, vcc, 0, v9, vcc
	v_mul_lo_u32 v14, s15, v12
	v_mad_u64_u32 v[35:36], s[0:1], s14, v12, v[2:3]
	v_mad_u64_u32 v[37:38], s[0:1], s14, v12, v[10:11]
	v_add_co_u32_e32 v12, vcc, 24, v8
	v_add3_u32 v24, v17, v24, v16
	v_add3_u32 v26, v17, v26, v16
	v_addc_co_u32_e32 v16, vcc, 0, v9, vcc
	v_add_co_u32_e32 v8, vcc, 28, v8
	v_addc_co_u32_e32 v9, vcc, 0, v9, vcc
	v_mad_u64_u32 v[39:40], s[0:1], s14, v12, v[2:3]
	v_mad_u64_u32 v[43:44], s[0:1], s14, v8, v[2:3]
	v_add_co_u32_e32 v2, vcc, 7, v6
	v_addc_co_u32_e32 v3, vcc, 0, v7, vcc
	v_mad_u64_u32 v[41:42], s[0:1], s14, v12, v[10:11]
	v_mad_u64_u32 v[45:46], s[0:1], s14, v8, v[10:11]
	v_mul_lo_u32 v10, s14, v3
	v_mul_lo_u32 v11, s15, v2
	v_mad_u64_u32 v[2:3], s[0:1], s14, v2, 0
	v_mul_lo_u32 v9, s14, v9
	v_mul_lo_u32 v8, s15, v8
	v_add3_u32 v3, v3, v10, v11
	v_lshlrev_b64 v[2:3], 2, v[2:3]
	v_mul_lo_u32 v17, s15, v12
	v_add3_u32 v44, v8, v44, v9
	v_add3_u32 v46, v8, v46, v9
	v_mov_b32_e32 v8, s17
	v_add_co_u32_e32 v55, vcc, s16, v2
	v_addc_co_u32_e32 v56, vcc, v8, v3, vcc
	v_add_co_u32_e32 v8, vcc, 6, v6
	v_addc_co_u32_e32 v9, vcc, 0, v7, vcc
	v_mul_lo_u32 v11, s14, v9
	v_mul_lo_u32 v12, s15, v8
	v_mad_u64_u32 v[8:9], s[0:1], s14, v8, 0
	v_mov_b32_e32 v10, s19
	v_add_co_u32_e32 v57, vcc, s18, v2
	v_add3_u32 v9, v9, v11, v12
	v_addc_co_u32_e32 v58, vcc, v10, v3, vcc
	v_lshlrev_b64 v[2:3], 2, v[8:9]
	v_mov_b32_e32 v8, s17
	v_add_co_u32_e32 v59, vcc, s16, v2
	v_addc_co_u32_e32 v60, vcc, v8, v3, vcc
	v_add_co_u32_e32 v8, vcc, 5, v6
	v_addc_co_u32_e32 v9, vcc, 0, v7, vcc
	v_mul_lo_u32 v11, s14, v9
	v_mul_lo_u32 v12, s15, v8
	v_mad_u64_u32 v[8:9], s[0:1], s14, v8, 0
	v_add_co_u32_e32 v61, vcc, s18, v2
	v_add3_u32 v9, v9, v11, v12
	v_addc_co_u32_e32 v62, vcc, v10, v3, vcc
	v_lshlrev_b64 v[2:3], 2, v[8:9]
	v_mov_b32_e32 v8, s17
	v_add_co_u32_e32 v63, vcc, s16, v2
	v_addc_co_u32_e32 v64, vcc, v8, v3, vcc
	v_add_co_u32_e32 v8, vcc, 4, v6
	v_addc_co_u32_e32 v9, vcc, 0, v7, vcc
	v_mul_lo_u32 v11, s14, v9
	v_mul_lo_u32 v12, s15, v8
	v_mad_u64_u32 v[8:9], s[0:1], s14, v8, 0
	;; [unrolled: 12-line block ×4, first 2 shown]
	v_mov_b32_e32 v8, s19
	v_add_co_u32_e32 v73, vcc, s18, v2
	v_add3_u32 v7, v7, v9, v10
	v_addc_co_u32_e32 v74, vcc, v8, v3, vcc
	v_lshlrev_b64 v[2:3], 2, v[6:7]
	v_mov_b32_e32 v6, s17
	v_add_co_u32_e32 v75, vcc, s16, v2
	v_addc_co_u32_e32 v76, vcc, v6, v3, vcc
	v_mov_b32_e32 v6, s19
	v_add_co_u32_e32 v77, vcc, s18, v2
	v_addc_co_u32_e32 v78, vcc, v6, v3, vcc
	v_lshlrev_b64 v[2:3], 2, v[4:5]
	v_mov_b32_e32 v4, s17
	v_add_co_u32_e32 v79, vcc, s16, v2
	v_addc_co_u32_e32 v80, vcc, v4, v3, vcc
	v_mov_b32_e32 v4, s19
	v_add_co_u32_e32 v81, vcc, s18, v2
	v_mov_b32_e32 v2, 0
	v_mul_lo_u32 v15, s14, v15
	v_mul_lo_u32 v13, s14, v13
	;; [unrolled: 1-line block ×3, first 2 shown]
	v_addc_co_u32_e32 v82, vcc, v4, v3, vcc
	v_add_u32_e32 v3, s33, v0
	v_mov_b32_e32 v4, v2
	v_lshlrev_b64 v[47:48], 2, v[3:4]
	v_mbcnt_lo_u32_b32 v3, -1, 0
	v_mbcnt_hi_u32_b32 v3, -1, v3
	v_lshlrev_b32_e32 v3, 2, v3
	v_add3_u32 v32, v18, v32, v15
	v_add3_u32 v34, v18, v34, v15
	v_add3_u32 v36, v14, v36, v13
	v_add3_u32 v38, v14, v38, v13
	v_add3_u32 v40, v17, v40, v16
	v_add3_u32 v42, v17, v42, v16
	v_and_b32_e32 v83, 0x100, v3
	v_mov_b32_e32 v84, 0
.LBB147_53:                             ; =>This Inner Loop Header: Depth=1
	v_mov_b32_e32 v3, s12
	v_mov_b32_e32 v4, s13
	v_cmp_ge_i64_e32 vcc, s[22:23], v[3:4]
	v_mov_b32_e32 v3, s23
	v_add_co_u32_e64 v85, s[0:1], s22, v50
	v_addc_co_u32_e64 v86, s[0:1], 0, v3, s[0:1]
	s_mov_b64 s[0:1], -1
                                        ; implicit-def: $vgpr49
	s_cbranch_vccz .LBB147_75
; %bb.54:                               ;   in Loop: Header=BB147_53 Depth=1
	s_load_dword s0, s[2:3], 0xc
	v_mov_b32_e32 v87, 0
	s_waitcnt lgkmcnt(0)
	s_and_b32 s0, s0, 0xffff
	v_mad_u32_u24 v3, v1, s0, v0
	v_and_b32_e32 v3, 63, v3
	v_cmp_gt_u32_e32 vcc, 8, v3
	s_and_saveexec_b64 s[0:1], vcc
	s_cbranch_execz .LBB147_58
; %bb.55:                               ;   in Loop: Header=BB147_53 Depth=1
	v_add_co_u32_e32 v3, vcc, v85, v3
	v_addc_co_u32_e32 v4, vcc, 0, v86, vcc
	v_add_co_u32_e32 v3, vcc, 0xffffffc1, v3
	v_addc_co_u32_e32 v4, vcc, -1, v4, vcc
	v_cmp_gt_i64_e32 vcc, s[12:13], v[3:4]
	v_mov_b32_e32 v87, 0
	s_and_saveexec_b64 s[16:17], vcc
	s_cbranch_execz .LBB147_57
; %bb.56:                               ;   in Loop: Header=BB147_53 Depth=1
	v_lshlrev_b64 v[3:4], 2, v[3:4]
	v_mov_b32_e32 v5, s11
	v_add_co_u32_e32 v3, vcc, s10, v3
	v_addc_co_u32_e32 v4, vcc, v5, v4, vcc
	global_load_dword v87, v[3:4], off
.LBB147_57:                             ;   in Loop: Header=BB147_53 Depth=1
	s_or_b64 exec, exec, s[16:17]
.LBB147_58:                             ;   in Loop: Header=BB147_53 Depth=1
	s_or_b64 exec, exec, s[0:1]
	v_add_co_u32_e32 v3, vcc, 0xffffffc1, v85
	v_addc_co_u32_e32 v4, vcc, -1, v86, vcc
	v_mov_b32_e32 v9, v2
	v_cmp_gt_i64_e32 vcc, s[12:13], v[3:4]
	v_mov_b32_e32 v3, v2
	v_mov_b32_e32 v4, v2
	;; [unrolled: 1-line block ×22, first 2 shown]
	s_and_saveexec_b64 s[0:1], vcc
	s_cbranch_execz .LBB147_60
; %bb.59:                               ;   in Loop: Header=BB147_53 Depth=1
	v_add_co_u32_e32 v3, vcc, v51, v47
	v_addc_co_u32_e32 v4, vcc, v52, v48, vcc
	global_load_dword v3, v[3:4], off
	v_add_co_u32_e32 v4, vcc, v53, v47
	v_addc_co_u32_e32 v5, vcc, v54, v48, vcc
	global_load_dword v11, v[4:5], off
	v_mov_b32_e32 v4, v2
	v_mov_b32_e32 v5, v2
	;; [unrolled: 1-line block ×14, first 2 shown]
.LBB147_60:                             ;   in Loop: Header=BB147_53 Depth=1
	s_or_b64 exec, exec, s[0:1]
	v_add_co_u32_e32 v88, vcc, 0xffffffc2, v85
	v_addc_co_u32_e32 v89, vcc, -1, v86, vcc
	v_cmp_gt_i64_e32 vcc, s[12:13], v[88:89]
	s_and_saveexec_b64 s[0:1], vcc
	s_cbranch_execz .LBB147_62
; %bb.61:                               ;   in Loop: Header=BB147_53 Depth=1
	v_add_co_u32_e32 v88, vcc, v79, v47
	v_addc_co_u32_e32 v89, vcc, v80, v48, vcc
	global_load_dword v4, v[88:89], off
	v_add_co_u32_e32 v88, vcc, v81, v47
	v_addc_co_u32_e32 v89, vcc, v82, v48, vcc
	global_load_dword v12, v[88:89], off
.LBB147_62:                             ;   in Loop: Header=BB147_53 Depth=1
	s_or_b64 exec, exec, s[0:1]
	v_add_co_u32_e32 v88, vcc, 0xffffffc3, v85
	v_addc_co_u32_e32 v89, vcc, -1, v86, vcc
	v_cmp_gt_i64_e32 vcc, s[12:13], v[88:89]
	s_and_saveexec_b64 s[0:1], vcc
	s_cbranch_execz .LBB147_64
; %bb.63:                               ;   in Loop: Header=BB147_53 Depth=1
	v_add_co_u32_e32 v88, vcc, v75, v47
	v_addc_co_u32_e32 v89, vcc, v76, v48, vcc
	global_load_dword v5, v[88:89], off
	v_add_co_u32_e32 v88, vcc, v77, v47
	v_addc_co_u32_e32 v89, vcc, v78, v48, vcc
	global_load_dword v13, v[88:89], off
.LBB147_64:                             ;   in Loop: Header=BB147_53 Depth=1
	;; [unrolled: 14-line block ×7, first 2 shown]
	s_or_b64 exec, exec, s[0:1]
	s_waitcnt vmcnt(0)
	ds_bpermute_b32 v49, v83, v87
	ds_bpermute_b32 v88, v83, v87 offset:4
	v_mul_f32_e32 v3, v11, v3
	ds_bpermute_b32 v11, v83, v87 offset:8
	v_mul_f32_e32 v4, v12, v4
	s_waitcnt lgkmcnt(2)
	v_fma_f32 v49, v3, v49, v84
	s_waitcnt lgkmcnt(1)
	v_fmac_f32_e32 v49, v4, v88
	ds_bpermute_b32 v3, v83, v87 offset:12
	v_mul_f32_e32 v4, v13, v5
	s_waitcnt lgkmcnt(1)
	v_fmac_f32_e32 v49, v4, v11
	ds_bpermute_b32 v4, v83, v87 offset:16
	v_mul_f32_e32 v5, v14, v6
	s_waitcnt lgkmcnt(1)
	v_fmac_f32_e32 v49, v5, v3
	v_mul_f32_e32 v3, v15, v7
	ds_bpermute_b32 v5, v83, v87 offset:20
	s_waitcnt lgkmcnt(1)
	v_fmac_f32_e32 v49, v3, v4
	ds_bpermute_b32 v3, v83, v87 offset:24
	ds_bpermute_b32 v6, v83, v87 offset:28
	v_mul_f32_e32 v4, v16, v8
	s_waitcnt lgkmcnt(2)
	v_fmac_f32_e32 v49, v4, v5
	v_mul_f32_e32 v4, v17, v9
	s_waitcnt lgkmcnt(1)
	v_fmac_f32_e32 v49, v4, v3
	;; [unrolled: 3-line block ×3, first 2 shown]
	s_mov_b64 s[0:1], 0
.LBB147_75:                             ;   in Loop: Header=BB147_53 Depth=1
	s_and_b64 vcc, exec, s[0:1]
	s_cbranch_vccz .LBB147_81
; %bb.76:                               ;   in Loop: Header=BB147_53 Depth=1
	s_load_dword s0, s[2:3], 0x0
	v_mov_b32_e32 v5, 0
	s_waitcnt lgkmcnt(0)
	s_cmp_lt_u32 s6, s0
	s_cselect_b32 s0, 12, 18
	s_add_u32 s0, s2, s0
	s_addc_u32 s1, s3, 0
	global_load_ushort v3, v2, s[0:1]
	s_waitcnt vmcnt(0)
	v_mad_u32_u24 v3, v1, v3, v0
	v_and_b32_e32 v3, 63, v3
	v_cmp_gt_u32_e32 vcc, 8, v3
	s_and_saveexec_b64 s[0:1], vcc
	s_cbranch_execz .LBB147_80
; %bb.77:                               ;   in Loop: Header=BB147_53 Depth=1
	v_add_co_u32_e32 v3, vcc, v85, v3
	v_addc_co_u32_e32 v4, vcc, 0, v86, vcc
	v_add_co_u32_e32 v3, vcc, 0xffffffc1, v3
	v_addc_co_u32_e32 v4, vcc, -1, v4, vcc
	v_cmp_gt_i64_e32 vcc, s[12:13], v[3:4]
	v_mov_b32_e32 v5, 0
	s_and_saveexec_b64 s[16:17], vcc
	s_cbranch_execz .LBB147_79
; %bb.78:                               ;   in Loop: Header=BB147_53 Depth=1
	v_lshlrev_b64 v[3:4], 2, v[3:4]
	v_mov_b32_e32 v5, s11
	v_add_co_u32_e32 v3, vcc, s10, v3
	v_addc_co_u32_e32 v4, vcc, v5, v4, vcc
	global_load_dword v5, v[3:4], off
.LBB147_79:                             ;   in Loop: Header=BB147_53 Depth=1
	s_or_b64 exec, exec, s[16:17]
.LBB147_80:                             ;   in Loop: Header=BB147_53 Depth=1
	s_or_b64 exec, exec, s[0:1]
	v_add_co_u32_e32 v3, vcc, v51, v47
	v_addc_co_u32_e32 v4, vcc, v52, v48, vcc
	global_load_dword v6, v[3:4], off
	v_add_co_u32_e32 v3, vcc, v53, v47
	v_addc_co_u32_e32 v4, vcc, v54, v48, vcc
	global_load_dword v7, v[3:4], off
	;; [unrolled: 3-line block ×16, first 2 shown]
	s_waitcnt vmcnt(16)
	ds_bpermute_b32 v4, v83, v5
	ds_bpermute_b32 v86, v83, v5 offset:4
	s_waitcnt vmcnt(14)
	v_mul_f32_e32 v6, v6, v7
	s_waitcnt lgkmcnt(1)
	v_fmac_f32_e32 v84, v6, v4
	ds_bpermute_b32 v4, v83, v5 offset:8
	s_waitcnt vmcnt(12)
	v_mul_f32_e32 v6, v8, v9
	s_waitcnt lgkmcnt(1)
	v_fmac_f32_e32 v84, v6, v86
	;; [unrolled: 5-line block ×5, first 2 shown]
	ds_bpermute_b32 v4, v83, v5 offset:24
	ds_bpermute_b32 v5, v83, v5 offset:28
	s_waitcnt vmcnt(4)
	v_mul_f32_e32 v6, v16, v17
	s_waitcnt lgkmcnt(2)
	v_fmac_f32_e32 v84, v6, v7
	s_waitcnt vmcnt(2)
	v_mul_f32_e32 v6, v18, v49
	s_waitcnt lgkmcnt(1)
	v_fmac_f32_e32 v84, v6, v4
	;; [unrolled: 4-line block ×3, first 2 shown]
	v_mov_b32_e32 v49, v84
.LBB147_81:                             ;   in Loop: Header=BB147_53 Depth=1
	v_mov_b32_e32 v5, s9
	v_add_co_u32_e32 v51, vcc, s8, v51
	v_addc_co_u32_e32 v52, vcc, v52, v5, vcc
	v_add_co_u32_e32 v53, vcc, s8, v53
	v_addc_co_u32_e32 v54, vcc, v54, v5, vcc
	;; [unrolled: 2-line block ×28, first 2 shown]
	s_add_u32 s20, s20, s7
	v_add_co_u32_e32 v79, vcc, s8, v79
	v_mov_b32_e32 v3, s12
	s_addc_u32 s21, s21, 0
	v_addc_co_u32_e32 v80, vcc, v80, v5, vcc
	v_mov_b32_e32 v4, s13
	v_cmp_ge_i64_e32 vcc, s[20:21], v[3:4]
	s_add_u32 s22, s22, s7
	v_add_co_u32_e64 v81, s[0:1], s8, v81
	s_addc_u32 s23, s23, 0
	v_addc_co_u32_e64 v82, s[0:1], v82, v5, s[0:1]
	s_cbranch_vccnz .LBB147_83
; %bb.82:                               ;   in Loop: Header=BB147_53 Depth=1
	v_mov_b32_e32 v84, v49
	s_branch .LBB147_53
.LBB147_83:
	s_movk_i32 s0, 0x41
	v_mad_u32_u24 v2, v1, s0, v0
	v_lshl_add_u32 v2, v2, 2, 0
	v_mov_b32_e32 v3, 0
	ds_write_b32 v2, v49
	ds_write_b32 v2, v3 offset:2080
	v_lshrrev_b32_e32 v2, 6, v0
	v_add_u32_e32 v2, v2, v1
	v_cmp_gt_u32_e32 vcc, 64, v2
	s_waitcnt lgkmcnt(0)
	s_barrier
	s_and_saveexec_b64 s[0:1], vcc
	s_cbranch_execz .LBB147_123
; %bb.84:
	s_load_dwordx2 s[4:5], s[4:5], 0x30
	v_and_b32_e32 v1, 63, v0
	v_cmp_gt_u32_e32 vcc, 8, v1
	v_mul_u32_u24_e32 v3, 0x41, v1
                                        ; implicit-def: $vgpr1
	s_and_saveexec_b64 s[0:1], vcc
; %bb.85:
	v_lshlrev_b32_e32 v1, 2, v2
	v_lshlrev_b32_e32 v4, 2, v3
	v_add3_u32 v1, 0, v1, v4
	ds_read_b32 v1, v1
; %bb.86:
	s_or_b64 exec, exec, s[0:1]
	v_mbcnt_lo_u32_b32 v4, -1, 0
	v_mbcnt_hi_u32_b32 v6, -1, v4
	v_and_b32_e32 v4, 64, v6
	v_add_u32_e32 v7, 64, v4
	v_xor_b32_e32 v4, 4, v6
	v_cmp_lt_i32_e64 s[0:1], v4, v7
	v_cndmask_b32_e64 v4, v6, v4, s[0:1]
	v_lshlrev_b32_e32 v4, 2, v4
	s_waitcnt lgkmcnt(0)
	ds_bpermute_b32 v5, v4, v1
	v_xor_b32_e32 v8, 2, v6
	v_cmp_lt_i32_e64 s[0:1], v8, v7
	s_mov_b32 s7, 0
	s_lshl_b64 s[6:7], s[6:7], 6
	s_waitcnt lgkmcnt(0)
	v_add_f32_e32 v1, v1, v5
	v_cndmask_b32_e64 v5, v6, v8, s[0:1]
	v_lshlrev_b32_e32 v5, 2, v5
	ds_bpermute_b32 v8, v5, v1
	v_cmp_ne_u32_e64 s[0:1], 0, v0
	v_xor_b32_e32 v0, 1, v6
	v_cmp_lt_i32_e64 s[2:3], v0, v7
	v_cndmask_b32_e64 v0, v6, v0, s[2:3]
	s_waitcnt lgkmcnt(0)
	v_add_f32_e32 v8, v1, v8
	v_lshlrev_b32_e32 v6, 2, v0
	ds_bpermute_b32 v7, v6, v8
	v_or_b32_e32 v0, s6, v2
	v_mov_b32_e32 v1, s7
	v_cmp_le_i64_e64 s[2:3], s[14:15], v[0:1]
	s_cmp_eq_u64 s[4:5], 0
	s_cselect_b64 s[8:9], -1, 0
	s_or_b64 s[2:3], s[0:1], s[2:3]
	s_waitcnt lgkmcnt(0)
	v_add_f32_e32 v7, v8, v7
	s_nor_b64 s[2:3], s[8:9], s[2:3]
	s_and_saveexec_b64 s[10:11], s[2:3]
	s_cbranch_execz .LBB147_88
; %bb.87:
	v_lshlrev_b64 v[0:1], 2, v[0:1]
	v_mov_b32_e32 v8, s5
	v_add_co_u32_e64 v0, s[2:3], s4, v0
	v_addc_co_u32_e64 v1, s[2:3], v8, v1, s[2:3]
	global_store_dword v[0:1], v7, off
.LBB147_88:
	s_or_b64 exec, exec, s[10:11]
	v_cmp_gt_u32_e64 s[2:3], 56, v2
	s_and_b64 exec, exec, s[2:3]
	s_cbranch_execz .LBB147_123
; %bb.89:
	s_and_saveexec_b64 s[2:3], vcc
; %bb.90:
	v_lshlrev_b32_e32 v0, 2, v2
	v_lshlrev_b32_e32 v1, 2, v3
	v_add3_u32 v0, 0, v0, v1
	ds_read_b32 v7, v0 offset:32
; %bb.91:
	s_or_b64 exec, exec, s[2:3]
	s_waitcnt lgkmcnt(0)
	ds_bpermute_b32 v0, v4, v7
	v_mov_b32_e32 v8, s7
	s_waitcnt lgkmcnt(0)
	v_add_f32_e32 v0, v7, v0
	ds_bpermute_b32 v1, v5, v0
	v_add_u32_e32 v7, 8, v2
	s_waitcnt lgkmcnt(0)
	v_add_f32_e32 v9, v0, v1
	ds_bpermute_b32 v10, v6, v9
	v_add_co_u32_e64 v0, s[2:3], s6, v7
	v_addc_co_u32_e64 v1, s[2:3], 0, v8, s[2:3]
	v_cmp_le_i64_e64 s[2:3], s[14:15], v[0:1]
	s_waitcnt lgkmcnt(0)
	v_add_f32_e32 v0, v9, v10
	s_or_b64 s[2:3], s[0:1], s[2:3]
	s_nor_b64 s[2:3], s[8:9], s[2:3]
	s_and_saveexec_b64 s[10:11], s[2:3]
	s_cbranch_execz .LBB147_93
; %bb.92:
	v_mov_b32_e32 v1, s7
	v_add_co_u32_e64 v7, s[2:3], s6, v2
	v_addc_co_u32_e64 v8, s[2:3], 0, v1, s[2:3]
	v_lshlrev_b64 v[7:8], 2, v[7:8]
	v_mov_b32_e32 v1, s5
	v_add_co_u32_e64 v7, s[2:3], s4, v7
	v_addc_co_u32_e64 v8, s[2:3], v1, v8, s[2:3]
	global_store_dword v[7:8], v0, off offset:32
.LBB147_93:
	s_or_b64 exec, exec, s[10:11]
	v_cmp_gt_u32_e64 s[2:3], 48, v2
	s_and_b64 exec, exec, s[2:3]
	s_cbranch_execz .LBB147_123
; %bb.94:
	s_and_saveexec_b64 s[2:3], vcc
; %bb.95:
	v_lshlrev_b32_e32 v0, 2, v2
	v_lshlrev_b32_e32 v1, 2, v3
	v_add3_u32 v0, 0, v0, v1
	ds_read_b32 v0, v0 offset:64
; %bb.96:
	s_or_b64 exec, exec, s[2:3]
	s_waitcnt lgkmcnt(0)
	ds_bpermute_b32 v1, v4, v0
	v_add_u32_e32 v7, 16, v2
	v_mov_b32_e32 v8, s7
	s_waitcnt lgkmcnt(0)
	v_add_f32_e32 v0, v0, v1
	ds_bpermute_b32 v1, v5, v0
	s_waitcnt lgkmcnt(0)
	v_add_f32_e32 v9, v0, v1
	ds_bpermute_b32 v10, v6, v9
	v_add_co_u32_e64 v0, s[2:3], s6, v7
	v_addc_co_u32_e64 v1, s[2:3], 0, v8, s[2:3]
	v_cmp_le_i64_e64 s[2:3], s[14:15], v[0:1]
	s_waitcnt lgkmcnt(0)
	v_add_f32_e32 v0, v9, v10
	s_or_b64 s[2:3], s[0:1], s[2:3]
	s_nor_b64 s[2:3], s[8:9], s[2:3]
	s_and_saveexec_b64 s[10:11], s[2:3]
	s_cbranch_execz .LBB147_98
; %bb.97:
	v_mov_b32_e32 v1, s7
	v_add_co_u32_e64 v7, s[2:3], s6, v2
	v_addc_co_u32_e64 v8, s[2:3], 0, v1, s[2:3]
	v_lshlrev_b64 v[7:8], 2, v[7:8]
	v_mov_b32_e32 v1, s5
	v_add_co_u32_e64 v7, s[2:3], s4, v7
	v_addc_co_u32_e64 v8, s[2:3], v1, v8, s[2:3]
	global_store_dword v[7:8], v0, off offset:64
.LBB147_98:
	s_or_b64 exec, exec, s[10:11]
	v_cmp_gt_u32_e64 s[2:3], 40, v2
	s_and_b64 exec, exec, s[2:3]
	s_cbranch_execz .LBB147_123
; %bb.99:
	s_and_saveexec_b64 s[2:3], vcc
; %bb.100:
	v_lshlrev_b32_e32 v0, 2, v2
	v_lshlrev_b32_e32 v1, 2, v3
	v_add3_u32 v0, 0, v0, v1
	ds_read_b32 v0, v0 offset:96
; %bb.101:
	s_or_b64 exec, exec, s[2:3]
	s_waitcnt lgkmcnt(0)
	ds_bpermute_b32 v1, v4, v0
	v_add_u32_e32 v7, 24, v2
	v_mov_b32_e32 v8, s7
	s_waitcnt lgkmcnt(0)
	v_add_f32_e32 v0, v0, v1
	ds_bpermute_b32 v1, v5, v0
	s_waitcnt lgkmcnt(0)
	v_add_f32_e32 v9, v0, v1
	ds_bpermute_b32 v10, v6, v9
	v_add_co_u32_e64 v0, s[2:3], s6, v7
	v_addc_co_u32_e64 v1, s[2:3], 0, v8, s[2:3]
	v_cmp_le_i64_e64 s[2:3], s[14:15], v[0:1]
	s_waitcnt lgkmcnt(0)
	v_add_f32_e32 v0, v9, v10
	s_or_b64 s[2:3], s[0:1], s[2:3]
	s_nor_b64 s[2:3], s[8:9], s[2:3]
	s_and_saveexec_b64 s[10:11], s[2:3]
	s_cbranch_execz .LBB147_103
; %bb.102:
	v_mov_b32_e32 v1, s7
	v_add_co_u32_e64 v7, s[2:3], s6, v2
	v_addc_co_u32_e64 v8, s[2:3], 0, v1, s[2:3]
	v_lshlrev_b64 v[7:8], 2, v[7:8]
	v_mov_b32_e32 v1, s5
	v_add_co_u32_e64 v7, s[2:3], s4, v7
	v_addc_co_u32_e64 v8, s[2:3], v1, v8, s[2:3]
	global_store_dword v[7:8], v0, off offset:96
.LBB147_103:
	s_or_b64 exec, exec, s[10:11]
	v_cmp_gt_u32_e64 s[2:3], 32, v2
	s_and_b64 exec, exec, s[2:3]
	s_cbranch_execz .LBB147_123
; %bb.104:
	s_and_saveexec_b64 s[2:3], vcc
; %bb.105:
	v_lshlrev_b32_e32 v0, 2, v2
	v_lshlrev_b32_e32 v1, 2, v3
	v_add3_u32 v0, 0, v0, v1
	ds_read_b32 v0, v0 offset:128
; %bb.106:
	s_or_b64 exec, exec, s[2:3]
	s_waitcnt lgkmcnt(0)
	ds_bpermute_b32 v1, v4, v0
	v_add_u32_e32 v8, 32, v2
	s_waitcnt lgkmcnt(0)
	v_add_f32_e32 v0, v0, v1
	ds_bpermute_b32 v7, v5, v0
	v_mov_b32_e32 v1, s7
	s_waitcnt lgkmcnt(0)
	v_add_f32_e32 v7, v0, v7
	ds_bpermute_b32 v9, v6, v7
	v_or_b32_e32 v0, s6, v8
	v_cmp_le_i64_e64 s[2:3], s[14:15], v[0:1]
	s_or_b64 s[2:3], s[0:1], s[2:3]
	s_waitcnt lgkmcnt(0)
	v_add_f32_e32 v0, v7, v9
	s_nor_b64 s[2:3], s[8:9], s[2:3]
	s_and_saveexec_b64 s[10:11], s[2:3]
	s_cbranch_execz .LBB147_108
; %bb.107:
	v_mov_b32_e32 v1, s7
	v_add_co_u32_e64 v7, s[2:3], s6, v2
	v_addc_co_u32_e64 v8, s[2:3], 0, v1, s[2:3]
	v_lshlrev_b64 v[7:8], 2, v[7:8]
	v_mov_b32_e32 v1, s5
	v_add_co_u32_e64 v7, s[2:3], s4, v7
	v_addc_co_u32_e64 v8, s[2:3], v1, v8, s[2:3]
	global_store_dword v[7:8], v0, off offset:128
.LBB147_108:
	s_or_b64 exec, exec, s[10:11]
	v_cmp_gt_u32_e64 s[2:3], 24, v2
	s_and_b64 exec, exec, s[2:3]
	s_cbranch_execz .LBB147_123
; %bb.109:
	s_and_saveexec_b64 s[2:3], vcc
; %bb.110:
	v_lshlrev_b32_e32 v0, 2, v2
	v_lshlrev_b32_e32 v1, 2, v3
	v_add3_u32 v0, 0, v0, v1
	ds_read_b32 v0, v0 offset:160
; %bb.111:
	s_or_b64 exec, exec, s[2:3]
	s_waitcnt lgkmcnt(0)
	ds_bpermute_b32 v1, v4, v0
	v_add_u32_e32 v7, 40, v2
	v_mov_b32_e32 v8, s7
	s_waitcnt lgkmcnt(0)
	v_add_f32_e32 v0, v0, v1
	ds_bpermute_b32 v1, v5, v0
	s_waitcnt lgkmcnt(0)
	v_add_f32_e32 v9, v0, v1
	ds_bpermute_b32 v10, v6, v9
	v_add_co_u32_e64 v0, s[2:3], s6, v7
	v_addc_co_u32_e64 v1, s[2:3], 0, v8, s[2:3]
	v_cmp_le_i64_e64 s[2:3], s[14:15], v[0:1]
	s_waitcnt lgkmcnt(0)
	v_add_f32_e32 v0, v9, v10
	s_or_b64 s[2:3], s[0:1], s[2:3]
	s_nor_b64 s[2:3], s[8:9], s[2:3]
	s_and_saveexec_b64 s[10:11], s[2:3]
	s_cbranch_execz .LBB147_113
; %bb.112:
	v_mov_b32_e32 v1, s7
	v_add_co_u32_e64 v7, s[2:3], s6, v2
	v_addc_co_u32_e64 v8, s[2:3], 0, v1, s[2:3]
	v_lshlrev_b64 v[7:8], 2, v[7:8]
	v_mov_b32_e32 v1, s5
	v_add_co_u32_e64 v7, s[2:3], s4, v7
	v_addc_co_u32_e64 v8, s[2:3], v1, v8, s[2:3]
	global_store_dword v[7:8], v0, off offset:160
.LBB147_113:
	s_or_b64 exec, exec, s[10:11]
	v_cmp_gt_u32_e64 s[2:3], 16, v2
	s_and_b64 exec, exec, s[2:3]
	s_cbranch_execz .LBB147_123
; %bb.114:
	s_and_saveexec_b64 s[2:3], vcc
; %bb.115:
	v_lshlrev_b32_e32 v0, 2, v2
	v_lshlrev_b32_e32 v1, 2, v3
	v_add3_u32 v0, 0, v0, v1
	ds_read_b32 v0, v0 offset:192
; %bb.116:
	s_or_b64 exec, exec, s[2:3]
	s_waitcnt lgkmcnt(0)
	ds_bpermute_b32 v1, v4, v0
	v_add_u32_e32 v8, 48, v2
	s_waitcnt lgkmcnt(0)
	v_add_f32_e32 v0, v0, v1
	ds_bpermute_b32 v7, v5, v0
	v_mov_b32_e32 v1, s7
	s_waitcnt lgkmcnt(0)
	v_add_f32_e32 v7, v0, v7
	ds_bpermute_b32 v9, v6, v7
	v_or_b32_e32 v0, s6, v8
	v_cmp_le_i64_e64 s[2:3], s[14:15], v[0:1]
	s_or_b64 s[2:3], s[0:1], s[2:3]
	s_waitcnt lgkmcnt(0)
	v_add_f32_e32 v0, v7, v9
	s_nor_b64 s[2:3], s[8:9], s[2:3]
	s_and_saveexec_b64 s[10:11], s[2:3]
	s_cbranch_execz .LBB147_118
; %bb.117:
	v_mov_b32_e32 v1, s7
	v_add_co_u32_e64 v7, s[2:3], s6, v2
	v_addc_co_u32_e64 v8, s[2:3], 0, v1, s[2:3]
	v_lshlrev_b64 v[7:8], 2, v[7:8]
	v_mov_b32_e32 v1, s5
	v_add_co_u32_e64 v7, s[2:3], s4, v7
	v_addc_co_u32_e64 v8, s[2:3], v1, v8, s[2:3]
	global_store_dword v[7:8], v0, off offset:192
.LBB147_118:
	s_or_b64 exec, exec, s[10:11]
	v_cmp_gt_u32_e64 s[2:3], 8, v2
	s_and_b64 exec, exec, s[2:3]
	s_cbranch_execz .LBB147_123
; %bb.119:
	s_and_saveexec_b64 s[2:3], vcc
; %bb.120:
	v_lshlrev_b32_e32 v0, 2, v2
	v_lshlrev_b32_e32 v1, 2, v3
	v_add3_u32 v0, 0, v0, v1
	ds_read_b32 v0, v0 offset:224
; %bb.121:
	s_or_b64 exec, exec, s[2:3]
	s_waitcnt lgkmcnt(0)
	ds_bpermute_b32 v1, v4, v0
	v_add_u32_e32 v3, 56, v2
	v_or_b32_e32 v3, s6, v3
	v_mov_b32_e32 v4, s7
	v_cmp_le_i64_e32 vcc, s[14:15], v[3:4]
	s_waitcnt lgkmcnt(0)
	v_add_f32_e32 v0, v0, v1
	ds_bpermute_b32 v1, v5, v0
	s_or_b64 s[0:1], s[0:1], vcc
	s_nor_b64 s[0:1], s[8:9], s[0:1]
	s_waitcnt lgkmcnt(0)
	v_add_f32_e32 v0, v0, v1
	ds_bpermute_b32 v1, v6, v0
	s_and_saveexec_b64 s[2:3], s[0:1]
	s_xor_b64 s[2:3], exec, s[2:3]
	s_cbranch_execz .LBB147_123
; %bb.122:
	s_waitcnt lgkmcnt(0)
	v_add_f32_e32 v3, v0, v1
	v_mov_b32_e32 v1, s7
	v_add_co_u32_e32 v0, vcc, s6, v2
	v_addc_co_u32_e32 v1, vcc, 0, v1, vcc
	v_lshlrev_b64 v[0:1], 2, v[0:1]
	v_mov_b32_e32 v2, s5
	v_add_co_u32_e32 v0, vcc, s4, v0
	v_addc_co_u32_e32 v1, vcc, v2, v1, vcc
	global_store_dword v[0:1], v3, off offset:224
.LBB147_123:
	s_endpgm
	.section	.rodata,"a",@progbits
	.p2align	6, 0x0
	.amdhsa_kernel _ZN2at6native12_GLOBAL__N_135GammaBetaBackwardCUDAKernelTemplateIffLj64ELj8ELj64ELb0ELb0ELb1EEEvllPKT_S5_PKT0_S8_PS3_S9_
		.amdhsa_group_segment_fixed_size 0
		.amdhsa_private_segment_fixed_size 0
		.amdhsa_kernarg_size 320
		.amdhsa_user_sgpr_count 6
		.amdhsa_user_sgpr_private_segment_buffer 1
		.amdhsa_user_sgpr_dispatch_ptr 0
		.amdhsa_user_sgpr_queue_ptr 0
		.amdhsa_user_sgpr_kernarg_segment_ptr 1
		.amdhsa_user_sgpr_dispatch_id 0
		.amdhsa_user_sgpr_flat_scratch_init 0
		.amdhsa_user_sgpr_private_segment_size 0
		.amdhsa_uses_dynamic_stack 0
		.amdhsa_system_sgpr_private_segment_wavefront_offset 0
		.amdhsa_system_sgpr_workgroup_id_x 1
		.amdhsa_system_sgpr_workgroup_id_y 1
		.amdhsa_system_sgpr_workgroup_id_z 0
		.amdhsa_system_sgpr_workgroup_info 0
		.amdhsa_system_vgpr_workitem_id 1
		.amdhsa_next_free_vgpr 90
		.amdhsa_next_free_sgpr 34
		.amdhsa_reserve_vcc 1
		.amdhsa_reserve_flat_scratch 0
		.amdhsa_float_round_mode_32 0
		.amdhsa_float_round_mode_16_64 0
		.amdhsa_float_denorm_mode_32 3
		.amdhsa_float_denorm_mode_16_64 3
		.amdhsa_dx10_clamp 1
		.amdhsa_ieee_mode 1
		.amdhsa_fp16_overflow 0
		.amdhsa_exception_fp_ieee_invalid_op 0
		.amdhsa_exception_fp_denorm_src 0
		.amdhsa_exception_fp_ieee_div_zero 0
		.amdhsa_exception_fp_ieee_overflow 0
		.amdhsa_exception_fp_ieee_underflow 0
		.amdhsa_exception_fp_ieee_inexact 0
		.amdhsa_exception_int_div_zero 0
	.end_amdhsa_kernel
	.section	.text._ZN2at6native12_GLOBAL__N_135GammaBetaBackwardCUDAKernelTemplateIffLj64ELj8ELj64ELb0ELb0ELb1EEEvllPKT_S5_PKT0_S8_PS3_S9_,"axG",@progbits,_ZN2at6native12_GLOBAL__N_135GammaBetaBackwardCUDAKernelTemplateIffLj64ELj8ELj64ELb0ELb0ELb1EEEvllPKT_S5_PKT0_S8_PS3_S9_,comdat
.Lfunc_end147:
	.size	_ZN2at6native12_GLOBAL__N_135GammaBetaBackwardCUDAKernelTemplateIffLj64ELj8ELj64ELb0ELb0ELb1EEEvllPKT_S5_PKT0_S8_PS3_S9_, .Lfunc_end147-_ZN2at6native12_GLOBAL__N_135GammaBetaBackwardCUDAKernelTemplateIffLj64ELj8ELj64ELb0ELb0ELb1EEEvllPKT_S5_PKT0_S8_PS3_S9_
                                        ; -- End function
	.set _ZN2at6native12_GLOBAL__N_135GammaBetaBackwardCUDAKernelTemplateIffLj64ELj8ELj64ELb0ELb0ELb1EEEvllPKT_S5_PKT0_S8_PS3_S9_.num_vgpr, 90
	.set _ZN2at6native12_GLOBAL__N_135GammaBetaBackwardCUDAKernelTemplateIffLj64ELj8ELj64ELb0ELb0ELb1EEEvllPKT_S5_PKT0_S8_PS3_S9_.num_agpr, 0
	.set _ZN2at6native12_GLOBAL__N_135GammaBetaBackwardCUDAKernelTemplateIffLj64ELj8ELj64ELb0ELb0ELb1EEEvllPKT_S5_PKT0_S8_PS3_S9_.numbered_sgpr, 34
	.set _ZN2at6native12_GLOBAL__N_135GammaBetaBackwardCUDAKernelTemplateIffLj64ELj8ELj64ELb0ELb0ELb1EEEvllPKT_S5_PKT0_S8_PS3_S9_.num_named_barrier, 0
	.set _ZN2at6native12_GLOBAL__N_135GammaBetaBackwardCUDAKernelTemplateIffLj64ELj8ELj64ELb0ELb0ELb1EEEvllPKT_S5_PKT0_S8_PS3_S9_.private_seg_size, 0
	.set _ZN2at6native12_GLOBAL__N_135GammaBetaBackwardCUDAKernelTemplateIffLj64ELj8ELj64ELb0ELb0ELb1EEEvllPKT_S5_PKT0_S8_PS3_S9_.uses_vcc, 1
	.set _ZN2at6native12_GLOBAL__N_135GammaBetaBackwardCUDAKernelTemplateIffLj64ELj8ELj64ELb0ELb0ELb1EEEvllPKT_S5_PKT0_S8_PS3_S9_.uses_flat_scratch, 0
	.set _ZN2at6native12_GLOBAL__N_135GammaBetaBackwardCUDAKernelTemplateIffLj64ELj8ELj64ELb0ELb0ELb1EEEvllPKT_S5_PKT0_S8_PS3_S9_.has_dyn_sized_stack, 0
	.set _ZN2at6native12_GLOBAL__N_135GammaBetaBackwardCUDAKernelTemplateIffLj64ELj8ELj64ELb0ELb0ELb1EEEvllPKT_S5_PKT0_S8_PS3_S9_.has_recursion, 0
	.set _ZN2at6native12_GLOBAL__N_135GammaBetaBackwardCUDAKernelTemplateIffLj64ELj8ELj64ELb0ELb0ELb1EEEvllPKT_S5_PKT0_S8_PS3_S9_.has_indirect_call, 0
	.section	.AMDGPU.csdata,"",@progbits
; Kernel info:
; codeLenInByte = 7528
; TotalNumSgprs: 38
; NumVgprs: 90
; ScratchSize: 0
; MemoryBound: 0
; FloatMode: 240
; IeeeMode: 1
; LDSByteSize: 0 bytes/workgroup (compile time only)
; SGPRBlocks: 4
; VGPRBlocks: 22
; NumSGPRsForWavesPerEU: 38
; NumVGPRsForWavesPerEU: 90
; Occupancy: 2
; WaveLimiterHint : 0
; COMPUTE_PGM_RSRC2:SCRATCH_EN: 0
; COMPUTE_PGM_RSRC2:USER_SGPR: 6
; COMPUTE_PGM_RSRC2:TRAP_HANDLER: 0
; COMPUTE_PGM_RSRC2:TGID_X_EN: 1
; COMPUTE_PGM_RSRC2:TGID_Y_EN: 1
; COMPUTE_PGM_RSRC2:TGID_Z_EN: 0
; COMPUTE_PGM_RSRC2:TIDIG_COMP_CNT: 1
	.section	.text._ZN2at6native12_GLOBAL__N_135GammaBetaBackwardCUDAKernelTemplateIffLj64ELj16ELj128ELb0ELb1ELb1EEEvllPKT_S5_PKT0_S8_PS3_S9_,"axG",@progbits,_ZN2at6native12_GLOBAL__N_135GammaBetaBackwardCUDAKernelTemplateIffLj64ELj16ELj128ELb0ELb1ELb1EEEvllPKT_S5_PKT0_S8_PS3_S9_,comdat
	.globl	_ZN2at6native12_GLOBAL__N_135GammaBetaBackwardCUDAKernelTemplateIffLj64ELj16ELj128ELb0ELb1ELb1EEEvllPKT_S5_PKT0_S8_PS3_S9_ ; -- Begin function _ZN2at6native12_GLOBAL__N_135GammaBetaBackwardCUDAKernelTemplateIffLj64ELj16ELj128ELb0ELb1ELb1EEEvllPKT_S5_PKT0_S8_PS3_S9_
	.p2align	8
	.type	_ZN2at6native12_GLOBAL__N_135GammaBetaBackwardCUDAKernelTemplateIffLj64ELj16ELj128ELb0ELb1ELb1EEEvllPKT_S5_PKT0_S8_PS3_S9_,@function
_ZN2at6native12_GLOBAL__N_135GammaBetaBackwardCUDAKernelTemplateIffLj64ELj16ELj128ELb0ELb1ELb1EEEvllPKT_S5_PKT0_S8_PS3_S9_: ; @_ZN2at6native12_GLOBAL__N_135GammaBetaBackwardCUDAKernelTemplateIffLj64ELj16ELj128ELb0ELb1ELb1EEEvllPKT_S5_PKT0_S8_PS3_S9_
; %bb.0:
	s_load_dwordx4 s[8:11], s[4:5], 0x0
	s_lshl_b32 s18, s7, 7
	s_mov_b32 s19, 0
	v_mov_b32_e32 v2, s18
	v_mov_b32_e32 v3, s19
	s_waitcnt lgkmcnt(0)
	v_cmp_gt_i64_e32 vcc, s[8:9], v[2:3]
	s_cbranch_vccnz .LBB148_2
; %bb.1:
	s_mov_b64 s[0:1], 0
	s_branch .LBB148_3
.LBB148_2:
	s_mov_b64 s[0:1], -1
.LBB148_3:
	s_load_dwordx2 s[16:17], s[4:5], 0x30
	v_mov_b32_e32 v3, 0
	s_andn2_b64 vcc, exec, s[0:1]
	v_mbcnt_lo_u32_b32 v8, -1, 0
	s_cbranch_vccnz .LBB148_10
; %bb.4:
	s_load_dword s0, s[4:5], 0x4c
	s_load_dword s7, s[4:5], 0x44
	s_load_dwordx4 s[12:15], s[4:5], 0x10
	s_load_dwordx2 s[2:3], s[4:5], 0x28
	v_lshlrev_b32_e32 v4, 3, v1
	s_waitcnt lgkmcnt(0)
	s_and_b32 s0, s0, 0xffff
	v_mad_u32_u24 v2, v1, s0, v0
	v_and_b32_e32 v5, 63, v2
	v_add_co_u32_e32 v10, vcc, s18, v4
	v_addc_co_u32_e64 v11, s[20:21], 0, 0, vcc
	v_add_co_u32_e32 v4, vcc, v10, v5
	v_cmp_gt_u32_e64 s[0:1], 8, v5
	v_mbcnt_hi_u32_b32 v6, -1, v8
	v_addc_co_u32_e32 v5, vcc, 0, v11, vcc
	v_mul_lo_u32 v14, s11, v10
	v_mul_lo_u32 v15, s10, v11
	v_mad_u64_u32 v[11:12], s[20:21], s10, v10, 0
	v_lshlrev_b32_e32 v6, 2, v6
	v_and_b32_e32 v9, 0x100, v6
	v_lshlrev_b64 v[6:7], 2, v[4:5]
	v_mov_b32_e32 v3, 0
	v_lshl_add_u32 v2, s6, 6, v0
	v_mov_b32_e32 v13, s3
	v_add_co_u32_e32 v6, vcc, s2, v6
	v_add3_u32 v12, v12, v15, v14
	v_addc_co_u32_e32 v7, vcc, v13, v7, vcc
	v_lshlrev_b64 v[11:12], 2, v[11:12]
	v_lshlrev_b64 v[13:14], 2, v[2:3]
	s_lshl_b32 s4, s7, 7
	s_mul_i32 s2, s11, s4
	s_mul_hi_u32 s3, s10, s4
	s_mov_b32 s5, 0
	v_add_co_u32_e32 v2, vcc, v11, v13
	s_add_i32 s3, s3, s2
	s_mul_i32 s2, s10, s4
	v_or_b32_e32 v10, 20, v9
	v_addc_co_u32_e32 v11, vcc, v12, v14, vcc
	v_or_b32_e32 v12, 24, v9
	v_or_b32_e32 v13, 28, v9
	s_lshl_b64 s[20:21], s[4:5], 2
	s_lshl_b64 s[22:23], s[2:3], 2
	;; [unrolled: 1-line block ×3, first 2 shown]
	s_branch .LBB148_7
.LBB148_5:                              ;   in Loop: Header=BB148_7 Depth=1
	s_or_b64 exec, exec, s[24:25]
.LBB148_6:                              ;   in Loop: Header=BB148_7 Depth=1
	s_or_b64 exec, exec, s[2:3]
	v_mov_b32_e32 v15, s13
	v_add_co_u32_e32 v16, vcc, s12, v2
	v_addc_co_u32_e32 v17, vcc, v15, v11, vcc
	v_mov_b32_e32 v15, s11
	v_add_co_u32_e32 v18, vcc, s10, v16
	v_addc_co_u32_e32 v19, vcc, v17, v15, vcc
	global_load_dword v22, v[16:17], off
	v_mov_b32_e32 v17, s15
	v_add_co_u32_e32 v16, vcc, s14, v2
	v_addc_co_u32_e32 v17, vcc, v17, v11, vcc
	v_add_co_u32_e32 v20, vcc, s10, v16
	global_load_dword v16, v[16:17], off
	v_addc_co_u32_e32 v21, vcc, v17, v15, vcc
	s_waitcnt vmcnt(2)
	ds_bpermute_b32 v17, v9, v14
	s_add_u32 s18, s18, s4
	s_addc_u32 s19, s19, 0
	v_add_co_u32_e64 v6, s[2:3], s20, v6
	s_waitcnt vmcnt(0)
	v_mul_f32_e32 v16, v22, v16
	s_waitcnt lgkmcnt(0)
	v_fmac_f32_e32 v3, v16, v17
	v_add_co_u32_e32 v16, vcc, s10, v18
	v_addc_co_u32_e32 v17, vcc, v19, v15, vcc
	global_load_dword v22, v[18:19], off
	v_add_co_u32_e32 v18, vcc, s10, v20
	global_load_dword v20, v[20:21], off
	v_addc_co_u32_e32 v19, vcc, v21, v15, vcc
	v_or_b32_e32 v21, 4, v9
	ds_bpermute_b32 v21, v21, v14
	s_waitcnt vmcnt(0)
	v_mul_f32_e32 v20, v22, v20
	s_waitcnt lgkmcnt(0)
	v_fmac_f32_e32 v3, v20, v21
	v_add_co_u32_e32 v20, vcc, s10, v16
	v_addc_co_u32_e32 v21, vcc, v17, v15, vcc
	global_load_dword v22, v[16:17], off
	v_add_co_u32_e32 v16, vcc, s10, v18
	global_load_dword v18, v[18:19], off
	v_addc_co_u32_e32 v17, vcc, v19, v15, vcc
	v_or_b32_e32 v19, 8, v9
	ds_bpermute_b32 v19, v19, v14
	;; [unrolled: 12-line block ×4, first 2 shown]
	s_waitcnt vmcnt(0)
	v_mul_f32_e32 v20, v22, v20
	s_waitcnt lgkmcnt(0)
	v_fmac_f32_e32 v3, v20, v21
	v_add_co_u32_e32 v20, vcc, s10, v16
	v_addc_co_u32_e32 v21, vcc, v17, v15, vcc
	global_load_dword v22, v[16:17], off
	v_add_co_u32_e32 v16, vcc, s10, v18
	global_load_dword v18, v[18:19], off
	v_addc_co_u32_e32 v17, vcc, v19, v15, vcc
	ds_bpermute_b32 v19, v10, v14
	s_waitcnt vmcnt(0)
	v_mul_f32_e32 v18, v22, v18
	s_waitcnt lgkmcnt(0)
	v_fmac_f32_e32 v3, v18, v19
	v_add_co_u32_e32 v18, vcc, s10, v20
	v_addc_co_u32_e32 v19, vcc, v21, v15, vcc
	global_load_dword v22, v[20:21], off
	v_add_co_u32_e32 v20, vcc, s10, v16
	v_addc_co_u32_e32 v21, vcc, v17, v15, vcc
	global_load_dword v15, v[16:17], off
	ds_bpermute_b32 v16, v12, v14
	ds_bpermute_b32 v14, v13, v14
	s_waitcnt vmcnt(0)
	v_mul_f32_e32 v15, v22, v15
	s_waitcnt lgkmcnt(1)
	v_fmac_f32_e32 v3, v15, v16
	global_load_dword v15, v[18:19], off
	global_load_dword v16, v[20:21], off
	s_waitcnt vmcnt(0)
	v_mul_f32_e32 v15, v15, v16
	s_waitcnt lgkmcnt(0)
	v_fmac_f32_e32 v3, v15, v14
	v_mov_b32_e32 v15, s9
	v_mov_b32_e32 v14, s8
	v_cmp_lt_i64_e32 vcc, s[18:19], v[14:15]
	v_mov_b32_e32 v14, s21
	v_addc_co_u32_e64 v7, s[2:3], v7, v14, s[2:3]
	v_add_co_u32_e64 v2, s[2:3], s22, v2
	v_mov_b32_e32 v14, s23
	v_addc_co_u32_e64 v11, s[2:3], v11, v14, s[2:3]
	v_add_co_u32_e64 v4, s[2:3], s4, v4
	v_addc_co_u32_e64 v5, s[2:3], 0, v5, s[2:3]
	s_cbranch_vccz .LBB148_10
.LBB148_7:                              ; =>This Inner Loop Header: Depth=1
	v_mov_b32_e32 v14, 0
	s_and_saveexec_b64 s[2:3], s[0:1]
	s_cbranch_execz .LBB148_6
; %bb.8:                                ;   in Loop: Header=BB148_7 Depth=1
	v_cmp_gt_i64_e32 vcc, s[8:9], v[4:5]
	v_mov_b32_e32 v14, 0
	s_and_saveexec_b64 s[24:25], vcc
	s_cbranch_execz .LBB148_5
; %bb.9:                                ;   in Loop: Header=BB148_7 Depth=1
	global_load_dword v14, v[6:7], off
	s_branch .LBB148_5
.LBB148_10:
	s_movk_i32 s0, 0x41
	v_mad_u32_u24 v2, v1, s0, v0
	v_lshl_add_u32 v2, v2, 2, 0
	ds_write_b32 v2, v3
	v_mov_b32_e32 v3, 0
	ds_write_b32 v2, v3 offset:4160
	v_lshrrev_b32_e32 v2, 6, v0
	v_add_u32_e32 v1, v2, v1
	v_cmp_gt_u32_e32 vcc, 64, v1
	s_waitcnt lgkmcnt(0)
	s_barrier
	s_and_saveexec_b64 s[0:1], vcc
	s_cbranch_execz .LBB148_30
; %bb.11:
	v_and_b32_e32 v2, 63, v0
	v_cmp_gt_u32_e32 vcc, 16, v2
	v_mul_u32_u24_e32 v3, 0x41, v2
                                        ; implicit-def: $vgpr2
	s_and_saveexec_b64 s[0:1], vcc
; %bb.12:
	v_lshlrev_b32_e32 v2, 2, v1
	v_lshlrev_b32_e32 v4, 2, v3
	v_add3_u32 v2, 0, v2, v4
	ds_read_b32 v2, v2
; %bb.13:
	s_or_b64 exec, exec, s[0:1]
	v_mbcnt_hi_u32_b32 v7, -1, v8
	v_and_b32_e32 v4, 64, v7
	v_add_u32_e32 v8, 64, v4
	v_xor_b32_e32 v4, 8, v7
	v_cmp_lt_i32_e64 s[0:1], v4, v8
	v_cndmask_b32_e64 v4, v7, v4, s[0:1]
	v_lshlrev_b32_e32 v4, 2, v4
	s_waitcnt lgkmcnt(0)
	ds_bpermute_b32 v5, v4, v2
	v_xor_b32_e32 v6, 4, v7
	v_cmp_lt_i32_e64 s[0:1], v6, v8
	v_xor_b32_e32 v9, 2, v7
	s_cmp_lg_u64 s[16:17], 0
	s_waitcnt lgkmcnt(0)
	v_add_f32_e32 v2, v2, v5
	v_cndmask_b32_e64 v5, v7, v6, s[0:1]
	v_lshlrev_b32_e32 v5, 2, v5
	ds_bpermute_b32 v6, v5, v2
	v_cmp_lt_i32_e64 s[0:1], v9, v8
	s_mov_b32 s7, 0
	s_cselect_b64 s[4:5], -1, 0
	s_waitcnt lgkmcnt(0)
	v_add_f32_e32 v2, v2, v6
	v_cndmask_b32_e64 v6, v7, v9, s[0:1]
	v_lshlrev_b32_e32 v6, 2, v6
	ds_bpermute_b32 v9, v6, v2
	v_cmp_eq_u32_e64 s[0:1], 0, v0
	v_xor_b32_e32 v0, 1, v7
	v_cmp_lt_i32_e64 s[2:3], v0, v8
	v_cndmask_b32_e64 v0, v7, v0, s[2:3]
	s_waitcnt lgkmcnt(0)
	v_add_f32_e32 v2, v2, v9
	v_lshlrev_b32_e32 v0, 2, v0
	ds_bpermute_b32 v7, v0, v2
	s_and_b64 s[2:3], s[0:1], s[4:5]
	s_lshl_b64 s[0:1], s[6:7], 8
	s_add_u32 s6, s16, s0
	s_addc_u32 s7, s17, s1
	s_waitcnt lgkmcnt(0)
	v_add_f32_e32 v7, v2, v7
	s_and_saveexec_b64 s[4:5], s[2:3]
	s_cbranch_execz .LBB148_15
; %bb.14:
	v_mov_b32_e32 v2, 0
	v_lshlrev_b64 v[8:9], 2, v[1:2]
	v_mov_b32_e32 v2, s7
	v_add_co_u32_e64 v8, s[0:1], s6, v8
	v_addc_co_u32_e64 v9, s[0:1], v2, v9, s[0:1]
	global_store_dword v[8:9], v7, off
.LBB148_15:
	s_or_b64 exec, exec, s[4:5]
	v_cmp_gt_u32_e64 s[0:1], 48, v1
	s_and_b64 exec, exec, s[0:1]
	s_cbranch_execz .LBB148_30
; %bb.16:
	s_and_saveexec_b64 s[0:1], vcc
; %bb.17:
	v_lshlrev_b32_e32 v2, 2, v1
	v_lshlrev_b32_e32 v7, 2, v3
	v_add3_u32 v2, 0, v2, v7
	ds_read_b32 v7, v2 offset:64
; %bb.18:
	s_or_b64 exec, exec, s[0:1]
	s_waitcnt lgkmcnt(0)
	ds_bpermute_b32 v2, v4, v7
	s_waitcnt lgkmcnt(0)
	v_add_f32_e32 v2, v7, v2
	ds_bpermute_b32 v7, v5, v2
	s_waitcnt lgkmcnt(0)
	v_add_f32_e32 v2, v2, v7
	;; [unrolled: 3-line block ×4, first 2 shown]
	s_and_saveexec_b64 s[4:5], s[2:3]
	s_cbranch_execz .LBB148_20
; %bb.19:
	v_mov_b32_e32 v2, 0
	v_lshlrev_b64 v[8:9], 2, v[1:2]
	v_mov_b32_e32 v2, s7
	v_add_co_u32_e64 v8, s[0:1], s6, v8
	v_addc_co_u32_e64 v9, s[0:1], v2, v9, s[0:1]
	global_store_dword v[8:9], v7, off offset:64
.LBB148_20:
	s_or_b64 exec, exec, s[4:5]
	v_cmp_gt_u32_e64 s[0:1], 32, v1
	s_and_b64 exec, exec, s[0:1]
	s_cbranch_execz .LBB148_30
; %bb.21:
	s_and_saveexec_b64 s[0:1], vcc
; %bb.22:
	v_lshlrev_b32_e32 v2, 2, v1
	v_lshlrev_b32_e32 v7, 2, v3
	v_add3_u32 v2, 0, v2, v7
	ds_read_b32 v7, v2 offset:128
; %bb.23:
	s_or_b64 exec, exec, s[0:1]
	s_waitcnt lgkmcnt(0)
	ds_bpermute_b32 v2, v4, v7
	s_waitcnt lgkmcnt(0)
	v_add_f32_e32 v2, v7, v2
	ds_bpermute_b32 v7, v5, v2
	s_waitcnt lgkmcnt(0)
	v_add_f32_e32 v2, v2, v7
	;; [unrolled: 3-line block ×4, first 2 shown]
	s_and_saveexec_b64 s[4:5], s[2:3]
	s_cbranch_execz .LBB148_25
; %bb.24:
	v_mov_b32_e32 v2, 0
	v_lshlrev_b64 v[8:9], 2, v[1:2]
	v_mov_b32_e32 v2, s7
	v_add_co_u32_e64 v8, s[0:1], s6, v8
	v_addc_co_u32_e64 v9, s[0:1], v2, v9, s[0:1]
	global_store_dword v[8:9], v7, off offset:128
.LBB148_25:
	s_or_b64 exec, exec, s[4:5]
	v_cmp_gt_u32_e64 s[0:1], 16, v1
	s_and_b64 exec, exec, s[0:1]
	s_cbranch_execz .LBB148_30
; %bb.26:
	s_and_saveexec_b64 s[0:1], vcc
; %bb.27:
	v_lshlrev_b32_e32 v2, 2, v1
	v_lshlrev_b32_e32 v3, 2, v3
	v_add3_u32 v2, 0, v2, v3
	ds_read_b32 v7, v2 offset:192
; %bb.28:
	s_or_b64 exec, exec, s[0:1]
	s_waitcnt lgkmcnt(0)
	ds_bpermute_b32 v2, v4, v7
	s_waitcnt lgkmcnt(0)
	v_add_f32_e32 v2, v7, v2
	ds_bpermute_b32 v3, v5, v2
	s_waitcnt lgkmcnt(0)
	v_add_f32_e32 v2, v2, v3
	;; [unrolled: 3-line block ×3, first 2 shown]
	ds_bpermute_b32 v0, v0, v2
	s_and_saveexec_b64 s[0:1], s[2:3]
	s_xor_b64 s[0:1], exec, s[0:1]
	s_cbranch_execz .LBB148_30
; %bb.29:
	s_waitcnt lgkmcnt(0)
	v_add_f32_e32 v3, v2, v0
	v_mov_b32_e32 v2, 0
	v_lshlrev_b64 v[0:1], 2, v[1:2]
	v_mov_b32_e32 v2, s7
	v_add_co_u32_e32 v0, vcc, s6, v0
	v_addc_co_u32_e32 v1, vcc, v2, v1, vcc
	global_store_dword v[0:1], v3, off offset:192
.LBB148_30:
	s_endpgm
	.section	.rodata,"a",@progbits
	.p2align	6, 0x0
	.amdhsa_kernel _ZN2at6native12_GLOBAL__N_135GammaBetaBackwardCUDAKernelTemplateIffLj64ELj16ELj128ELb0ELb1ELb1EEEvllPKT_S5_PKT0_S8_PS3_S9_
		.amdhsa_group_segment_fixed_size 0
		.amdhsa_private_segment_fixed_size 0
		.amdhsa_kernarg_size 320
		.amdhsa_user_sgpr_count 6
		.amdhsa_user_sgpr_private_segment_buffer 1
		.amdhsa_user_sgpr_dispatch_ptr 0
		.amdhsa_user_sgpr_queue_ptr 0
		.amdhsa_user_sgpr_kernarg_segment_ptr 1
		.amdhsa_user_sgpr_dispatch_id 0
		.amdhsa_user_sgpr_flat_scratch_init 0
		.amdhsa_user_sgpr_private_segment_size 0
		.amdhsa_uses_dynamic_stack 0
		.amdhsa_system_sgpr_private_segment_wavefront_offset 0
		.amdhsa_system_sgpr_workgroup_id_x 1
		.amdhsa_system_sgpr_workgroup_id_y 1
		.amdhsa_system_sgpr_workgroup_id_z 0
		.amdhsa_system_sgpr_workgroup_info 0
		.amdhsa_system_vgpr_workitem_id 1
		.amdhsa_next_free_vgpr 23
		.amdhsa_next_free_sgpr 26
		.amdhsa_reserve_vcc 1
		.amdhsa_reserve_flat_scratch 0
		.amdhsa_float_round_mode_32 0
		.amdhsa_float_round_mode_16_64 0
		.amdhsa_float_denorm_mode_32 3
		.amdhsa_float_denorm_mode_16_64 3
		.amdhsa_dx10_clamp 1
		.amdhsa_ieee_mode 1
		.amdhsa_fp16_overflow 0
		.amdhsa_exception_fp_ieee_invalid_op 0
		.amdhsa_exception_fp_denorm_src 0
		.amdhsa_exception_fp_ieee_div_zero 0
		.amdhsa_exception_fp_ieee_overflow 0
		.amdhsa_exception_fp_ieee_underflow 0
		.amdhsa_exception_fp_ieee_inexact 0
		.amdhsa_exception_int_div_zero 0
	.end_amdhsa_kernel
	.section	.text._ZN2at6native12_GLOBAL__N_135GammaBetaBackwardCUDAKernelTemplateIffLj64ELj16ELj128ELb0ELb1ELb1EEEvllPKT_S5_PKT0_S8_PS3_S9_,"axG",@progbits,_ZN2at6native12_GLOBAL__N_135GammaBetaBackwardCUDAKernelTemplateIffLj64ELj16ELj128ELb0ELb1ELb1EEEvllPKT_S5_PKT0_S8_PS3_S9_,comdat
.Lfunc_end148:
	.size	_ZN2at6native12_GLOBAL__N_135GammaBetaBackwardCUDAKernelTemplateIffLj64ELj16ELj128ELb0ELb1ELb1EEEvllPKT_S5_PKT0_S8_PS3_S9_, .Lfunc_end148-_ZN2at6native12_GLOBAL__N_135GammaBetaBackwardCUDAKernelTemplateIffLj64ELj16ELj128ELb0ELb1ELb1EEEvllPKT_S5_PKT0_S8_PS3_S9_
                                        ; -- End function
	.set _ZN2at6native12_GLOBAL__N_135GammaBetaBackwardCUDAKernelTemplateIffLj64ELj16ELj128ELb0ELb1ELb1EEEvllPKT_S5_PKT0_S8_PS3_S9_.num_vgpr, 23
	.set _ZN2at6native12_GLOBAL__N_135GammaBetaBackwardCUDAKernelTemplateIffLj64ELj16ELj128ELb0ELb1ELb1EEEvllPKT_S5_PKT0_S8_PS3_S9_.num_agpr, 0
	.set _ZN2at6native12_GLOBAL__N_135GammaBetaBackwardCUDAKernelTemplateIffLj64ELj16ELj128ELb0ELb1ELb1EEEvllPKT_S5_PKT0_S8_PS3_S9_.numbered_sgpr, 26
	.set _ZN2at6native12_GLOBAL__N_135GammaBetaBackwardCUDAKernelTemplateIffLj64ELj16ELj128ELb0ELb1ELb1EEEvllPKT_S5_PKT0_S8_PS3_S9_.num_named_barrier, 0
	.set _ZN2at6native12_GLOBAL__N_135GammaBetaBackwardCUDAKernelTemplateIffLj64ELj16ELj128ELb0ELb1ELb1EEEvllPKT_S5_PKT0_S8_PS3_S9_.private_seg_size, 0
	.set _ZN2at6native12_GLOBAL__N_135GammaBetaBackwardCUDAKernelTemplateIffLj64ELj16ELj128ELb0ELb1ELb1EEEvllPKT_S5_PKT0_S8_PS3_S9_.uses_vcc, 1
	.set _ZN2at6native12_GLOBAL__N_135GammaBetaBackwardCUDAKernelTemplateIffLj64ELj16ELj128ELb0ELb1ELb1EEEvllPKT_S5_PKT0_S8_PS3_S9_.uses_flat_scratch, 0
	.set _ZN2at6native12_GLOBAL__N_135GammaBetaBackwardCUDAKernelTemplateIffLj64ELj16ELj128ELb0ELb1ELb1EEEvllPKT_S5_PKT0_S8_PS3_S9_.has_dyn_sized_stack, 0
	.set _ZN2at6native12_GLOBAL__N_135GammaBetaBackwardCUDAKernelTemplateIffLj64ELj16ELj128ELb0ELb1ELb1EEEvllPKT_S5_PKT0_S8_PS3_S9_.has_recursion, 0
	.set _ZN2at6native12_GLOBAL__N_135GammaBetaBackwardCUDAKernelTemplateIffLj64ELj16ELj128ELb0ELb1ELb1EEEvllPKT_S5_PKT0_S8_PS3_S9_.has_indirect_call, 0
	.section	.AMDGPU.csdata,"",@progbits
; Kernel info:
; codeLenInByte = 1816
; TotalNumSgprs: 30
; NumVgprs: 23
; ScratchSize: 0
; MemoryBound: 0
; FloatMode: 240
; IeeeMode: 1
; LDSByteSize: 0 bytes/workgroup (compile time only)
; SGPRBlocks: 3
; VGPRBlocks: 5
; NumSGPRsForWavesPerEU: 30
; NumVGPRsForWavesPerEU: 23
; Occupancy: 10
; WaveLimiterHint : 0
; COMPUTE_PGM_RSRC2:SCRATCH_EN: 0
; COMPUTE_PGM_RSRC2:USER_SGPR: 6
; COMPUTE_PGM_RSRC2:TRAP_HANDLER: 0
; COMPUTE_PGM_RSRC2:TGID_X_EN: 1
; COMPUTE_PGM_RSRC2:TGID_Y_EN: 1
; COMPUTE_PGM_RSRC2:TGID_Z_EN: 0
; COMPUTE_PGM_RSRC2:TIDIG_COMP_CNT: 1
	.section	.text._ZN2at6native12_GLOBAL__N_135GammaBetaBackwardCUDAKernelTemplateIffLj64ELj16ELj128ELb0ELb0ELb1EEEvllPKT_S5_PKT0_S8_PS3_S9_,"axG",@progbits,_ZN2at6native12_GLOBAL__N_135GammaBetaBackwardCUDAKernelTemplateIffLj64ELj16ELj128ELb0ELb0ELb1EEEvllPKT_S5_PKT0_S8_PS3_S9_,comdat
	.globl	_ZN2at6native12_GLOBAL__N_135GammaBetaBackwardCUDAKernelTemplateIffLj64ELj16ELj128ELb0ELb0ELb1EEEvllPKT_S5_PKT0_S8_PS3_S9_ ; -- Begin function _ZN2at6native12_GLOBAL__N_135GammaBetaBackwardCUDAKernelTemplateIffLj64ELj16ELj128ELb0ELb0ELb1EEEvllPKT_S5_PKT0_S8_PS3_S9_
	.p2align	8
	.type	_ZN2at6native12_GLOBAL__N_135GammaBetaBackwardCUDAKernelTemplateIffLj64ELj16ELj128ELb0ELb0ELb1EEEvllPKT_S5_PKT0_S8_PS3_S9_,@function
_ZN2at6native12_GLOBAL__N_135GammaBetaBackwardCUDAKernelTemplateIffLj64ELj16ELj128ELb0ELb0ELb1EEEvllPKT_S5_PKT0_S8_PS3_S9_: ; @_ZN2at6native12_GLOBAL__N_135GammaBetaBackwardCUDAKernelTemplateIffLj64ELj16ELj128ELb0ELb0ELb1EEEvllPKT_S5_PKT0_S8_PS3_S9_
; %bb.0:
	s_mov_b64 s[38:39], s[2:3]
	s_mov_b64 s[36:37], s[0:1]
	s_add_u32 s36, s36, s8
	s_load_dwordx8 s[12:19], s[4:5], 0x0
	s_load_dwordx2 s[10:11], s[4:5], 0x28
	s_addc_u32 s37, s37, 0
	s_lshl_b32 s20, s7, 7
	s_lshl_b32 s33, s6, 6
	s_mov_b32 s21, 0
	v_mov_b32_e32 v2, s20
	s_or_b32 s0, s33, 63
	v_mov_b32_e32 v3, s21
	v_mov_b32_e32 v48, s0
	;; [unrolled: 1-line block ×3, first 2 shown]
	s_waitcnt lgkmcnt(0)
	v_cmp_gt_i64_e64 s[0:1], s[12:13], v[2:3]
	v_cmp_le_i64_e32 vcc, s[14:15], v[48:49]
	v_mov_b32_e32 v60, v0
	v_cndmask_b32_e64 v0, 0, 1, s[0:1]
	v_cmp_ne_u32_e64 s[0:1], 1, v0
	s_cbranch_vccz .LBB149_49
; %bb.1:
	s_and_b64 vcc, exec, s[0:1]
	s_cbranch_vccnz .LBB149_50
; %bb.2:
	v_lshlrev_b32_e32 v0, 3, v1
	v_add_co_u32_e32 v5, vcc, s20, v0
	v_addc_co_u32_e64 v6, s[2:3], 0, 0, vcc
	v_mul_lo_u32 v10, s15, v5
	v_mul_lo_u32 v9, s14, v6
	v_mad_u64_u32 v[3:4], s[2:3], s14, v5, 0
	v_mov_b32_e32 v2, 0
	s_load_dword s7, s[4:5], 0x44
	v_add_u32_e32 v7, s33, v60
	v_mov_b32_e32 v8, v2
	v_add3_u32 v4, v4, v9, v10
	v_cmp_gt_i64_e64 s[2:3], s[14:15], v[7:8]
	v_lshlrev_b64 v[19:20], 2, v[7:8]
	v_lshlrev_b64 v[7:8], 2, v[3:4]
	s_add_u32 s22, s4, 64
	v_mov_b32_e32 v9, s17
	v_add_co_u32_e32 v61, vcc, s16, v7
	s_addc_u32 s23, s5, 0
	s_waitcnt lgkmcnt(0)
	s_lshl_b32 s7, s7, 7
	v_addc_co_u32_e32 v21, vcc, v9, v8, vcc
	s_mul_i32 s8, s15, s7
	s_mul_hi_u32 s9, s14, s7
	v_add_co_u32_e32 v9, vcc, 7, v5
	s_add_i32 s9, s9, s8
	s_mul_i32 s8, s14, s7
	v_addc_co_u32_e32 v10, vcc, 0, v6, vcc
	s_lshl_b64 s[24:25], s[8:9], 2
	v_mul_lo_u32 v12, s15, v9
	v_mul_lo_u32 v13, s14, v10
	v_mad_u64_u32 v[9:10], s[8:9], s14, v9, 0
	v_mov_b32_e32 v11, s19
	v_add_co_u32_e32 v22, vcc, s18, v7
	v_add3_u32 v10, v10, v13, v12
	v_addc_co_u32_e32 v23, vcc, v11, v8, vcc
	v_lshlrev_b64 v[7:8], 2, v[9:10]
	v_mov_b32_e32 v9, s17
	v_add_co_u32_e32 v24, vcc, s16, v7
	v_addc_co_u32_e32 v25, vcc, v9, v8, vcc
	v_add_co_u32_e32 v9, vcc, 6, v5
	v_addc_co_u32_e32 v10, vcc, 0, v6, vcc
	v_mul_lo_u32 v12, s15, v9
	v_mul_lo_u32 v13, s14, v10
	v_mad_u64_u32 v[9:10], s[8:9], s14, v9, 0
	v_add_co_u32_e32 v26, vcc, s18, v7
	v_add3_u32 v10, v10, v13, v12
	v_addc_co_u32_e32 v27, vcc, v11, v8, vcc
	v_lshlrev_b64 v[7:8], 2, v[9:10]
	v_mov_b32_e32 v9, s17
	v_add_co_u32_e32 v28, vcc, s16, v7
	v_addc_co_u32_e32 v29, vcc, v9, v8, vcc
	v_add_co_u32_e32 v9, vcc, 5, v5
	v_addc_co_u32_e32 v10, vcc, 0, v6, vcc
	v_mul_lo_u32 v12, s15, v9
	v_mul_lo_u32 v13, s14, v10
	v_mad_u64_u32 v[9:10], s[8:9], s14, v9, 0
	;; [unrolled: 12-line block ×5, first 2 shown]
	v_mov_b32_e32 v9, s19
	v_add_co_u32_e32 v42, vcc, s18, v7
	v_add3_u32 v6, v6, v11, v10
	v_lshlrev_b64 v[5:6], 2, v[5:6]
	v_addc_co_u32_e32 v43, vcc, v9, v8, vcc
	v_mov_b32_e32 v7, s17
	v_add_co_u32_e32 v44, vcc, s16, v5
	v_addc_co_u32_e32 v45, vcc, v7, v6, vcc
	v_mov_b32_e32 v7, s19
	v_add_co_u32_e32 v46, vcc, s18, v5
	v_addc_co_u32_e32 v47, vcc, v7, v6, vcc
	v_mov_b32_e32 v5, s15
	v_add_co_u32_e32 v3, vcc, s14, v3
	v_addc_co_u32_e32 v4, vcc, v4, v5, vcc
	v_lshlrev_b64 v[3:4], 2, v[3:4]
	v_mov_b32_e32 v5, s17
	v_add_co_u32_e32 v48, vcc, s16, v3
	v_addc_co_u32_e32 v50, vcc, v5, v4, vcc
	v_add_co_u32_e32 v51, vcc, s18, v3
	v_mbcnt_lo_u32_b32 v3, -1, 0
	v_mbcnt_hi_u32_b32 v3, -1, v3
	v_mov_b32_e32 v5, s19
	s_add_u32 s26, s20, 0x7f
	v_lshlrev_b32_e32 v3, 2, v3
	v_addc_co_u32_e32 v52, vcc, v5, v4, vcc
	s_addc_u32 s27, 0, 0
	v_and_b32_e32 v53, 0x100, v3
	s_mov_b64 s[28:29], s[20:21]
	v_mov_b32_e32 v54, 0
.LBB149_3:                              ; =>This Inner Loop Header: Depth=1
	v_mov_b32_e32 v3, s12
	v_mov_b32_e32 v4, s13
	v_cmp_ge_i64_e32 vcc, s[26:27], v[3:4]
	v_mov_b32_e32 v3, s27
	v_add_co_u32_e64 v55, s[8:9], s26, v0
	v_addc_co_u32_e64 v56, s[8:9], 0, v3, s[8:9]
	s_mov_b64 s[8:9], -1
	s_and_b64 vcc, exec, vcc
                                        ; implicit-def: $vgpr3_vgpr4_vgpr5_vgpr6_vgpr7_vgpr8_vgpr9_vgpr10
                                        ; implicit-def: $vgpr49
                                        ; implicit-def: $vgpr11_vgpr12_vgpr13_vgpr14_vgpr15_vgpr16_vgpr17_vgpr18
                                        ; implicit-def: $vgpr3
	s_cbranch_vccz .LBB149_25
; %bb.4:                                ;   in Loop: Header=BB149_3 Depth=1
	s_load_dword s8, s[22:23], 0xc
	v_mov_b32_e32 v57, 0
	s_waitcnt lgkmcnt(0)
	s_and_b32 s8, s8, 0xffff
	v_mad_u32_u24 v3, v1, s8, v60
	v_and_b32_e32 v3, 63, v3
	v_cmp_gt_u32_e32 vcc, 8, v3
	s_and_saveexec_b64 s[8:9], vcc
	s_cbranch_execz .LBB149_8
; %bb.5:                                ;   in Loop: Header=BB149_3 Depth=1
	v_add_co_u32_e32 v3, vcc, v55, v3
	v_addc_co_u32_e32 v4, vcc, 0, v56, vcc
	v_add_co_u32_e32 v3, vcc, 0xffffff81, v3
	v_addc_co_u32_e32 v4, vcc, -1, v4, vcc
	v_cmp_gt_i64_e32 vcc, s[12:13], v[3:4]
	v_mov_b32_e32 v57, 0
	s_and_saveexec_b64 s[30:31], vcc
	s_cbranch_execz .LBB149_7
; %bb.6:                                ;   in Loop: Header=BB149_3 Depth=1
	v_lshlrev_b64 v[3:4], 2, v[3:4]
	v_mov_b32_e32 v5, s11
	v_add_co_u32_e32 v3, vcc, s10, v3
	v_addc_co_u32_e32 v4, vcc, v5, v4, vcc
	global_load_dword v57, v[3:4], off
.LBB149_7:                              ;   in Loop: Header=BB149_3 Depth=1
	s_or_b64 exec, exec, s[30:31]
.LBB149_8:                              ;   in Loop: Header=BB149_3 Depth=1
	s_or_b64 exec, exec, s[8:9]
	v_add_co_u32_e32 v3, vcc, 0xffffff81, v55
	v_addc_co_u32_e32 v4, vcc, -1, v56, vcc
	v_mov_b32_e32 v9, v2
	v_cmp_gt_i64_e32 vcc, s[12:13], v[3:4]
	v_mov_b32_e32 v3, v2
	v_mov_b32_e32 v4, v2
	;; [unrolled: 1-line block ×15, first 2 shown]
	s_and_b64 s[30:31], s[2:3], vcc
	v_mov_b32_e32 v9, v8
	v_mov_b32_e32 v8, v7
	;; [unrolled: 1-line block ×7, first 2 shown]
	s_and_saveexec_b64 s[8:9], s[30:31]
	s_cbranch_execz .LBB149_10
; %bb.9:                                ;   in Loop: Header=BB149_3 Depth=1
	v_add_co_u32_e32 v3, vcc, v61, v19
	v_addc_co_u32_e32 v4, vcc, v21, v20, vcc
	global_load_dword v3, v[3:4], off
	v_add_co_u32_e32 v4, vcc, v22, v19
	v_addc_co_u32_e32 v5, vcc, v23, v20, vcc
	global_load_dword v11, v[4:5], off
	v_mov_b32_e32 v4, v2
	v_mov_b32_e32 v5, v2
	;; [unrolled: 1-line block ×14, first 2 shown]
.LBB149_10:                             ;   in Loop: Header=BB149_3 Depth=1
	s_or_b64 exec, exec, s[8:9]
	v_add_co_u32_e32 v58, vcc, 0xffffff82, v55
	v_addc_co_u32_e32 v59, vcc, -1, v56, vcc
	v_cmp_gt_i64_e32 vcc, s[12:13], v[58:59]
	s_and_b64 s[30:31], s[2:3], vcc
	s_and_saveexec_b64 s[8:9], s[30:31]
	s_cbranch_execz .LBB149_12
; %bb.11:                               ;   in Loop: Header=BB149_3 Depth=1
	v_add_co_u32_e32 v58, vcc, v48, v19
	v_addc_co_u32_e32 v59, vcc, v50, v20, vcc
	global_load_dword v4, v[58:59], off
	v_add_co_u32_e32 v58, vcc, v51, v19
	v_addc_co_u32_e32 v59, vcc, v52, v20, vcc
	global_load_dword v12, v[58:59], off
.LBB149_12:                             ;   in Loop: Header=BB149_3 Depth=1
	s_or_b64 exec, exec, s[8:9]
	v_add_co_u32_e32 v58, vcc, 0xffffff83, v55
	v_addc_co_u32_e32 v59, vcc, -1, v56, vcc
	v_cmp_gt_i64_e32 vcc, s[12:13], v[58:59]
	s_and_b64 s[30:31], s[2:3], vcc
	s_and_saveexec_b64 s[8:9], s[30:31]
	s_cbranch_execz .LBB149_14
; %bb.13:                               ;   in Loop: Header=BB149_3 Depth=1
	v_add_co_u32_e32 v58, vcc, v44, v19
	v_addc_co_u32_e32 v59, vcc, v45, v20, vcc
	global_load_dword v5, v[58:59], off
	v_add_co_u32_e32 v58, vcc, v46, v19
	v_addc_co_u32_e32 v59, vcc, v47, v20, vcc
	global_load_dword v13, v[58:59], off
.LBB149_14:                             ;   in Loop: Header=BB149_3 Depth=1
	;; [unrolled: 15-line block ×7, first 2 shown]
	s_or_b64 exec, exec, s[8:9]
	s_waitcnt vmcnt(0)
	ds_bpermute_b32 v49, v53, v57
	ds_bpermute_b32 v58, v53, v57 offset:4
	v_mul_f32_e32 v3, v11, v3
	ds_bpermute_b32 v11, v53, v57 offset:8
	v_mul_f32_e32 v4, v12, v4
	s_waitcnt lgkmcnt(2)
	v_fma_f32 v49, v3, v49, v54
	s_waitcnt lgkmcnt(1)
	v_fmac_f32_e32 v49, v4, v58
	ds_bpermute_b32 v3, v53, v57 offset:12
	v_mul_f32_e32 v4, v13, v5
	s_waitcnt lgkmcnt(1)
	v_fmac_f32_e32 v49, v4, v11
	ds_bpermute_b32 v4, v53, v57 offset:16
	v_mul_f32_e32 v5, v14, v6
	s_waitcnt lgkmcnt(1)
	v_fmac_f32_e32 v49, v5, v3
	v_mul_f32_e32 v3, v15, v7
	ds_bpermute_b32 v5, v53, v57 offset:20
	s_waitcnt lgkmcnt(1)
	v_fmac_f32_e32 v49, v3, v4
	ds_bpermute_b32 v4, v53, v57 offset:24
	ds_bpermute_b32 v3, v53, v57 offset:28
	v_mul_f32_e32 v6, v16, v8
	s_waitcnt lgkmcnt(2)
	v_fmac_f32_e32 v49, v6, v5
	v_mul_f32_e32 v5, v17, v9
	s_waitcnt lgkmcnt(1)
	v_fmac_f32_e32 v49, v5, v4
	s_mov_b64 s[8:9], 0
.LBB149_25:                             ;   in Loop: Header=BB149_3 Depth=1
	s_and_b64 vcc, exec, s[8:9]
	s_cbranch_vccz .LBB149_40
; %bb.26:                               ;   in Loop: Header=BB149_3 Depth=1
	s_load_dword s8, s[22:23], 0x0
	v_mov_b32_e32 v49, 0
	s_waitcnt lgkmcnt(0)
	s_cmp_lt_u32 s6, s8
	s_cselect_b32 s8, 12, 18
	s_add_u32 s8, s22, s8
	s_addc_u32 s9, s23, 0
	global_load_ushort v3, v2, s[8:9]
	s_waitcnt vmcnt(0)
	v_mad_u32_u24 v3, v1, v3, v60
	v_and_b32_e32 v3, 63, v3
	v_cmp_gt_u32_e32 vcc, 8, v3
	s_and_saveexec_b64 s[8:9], vcc
	s_cbranch_execz .LBB149_30
; %bb.27:                               ;   in Loop: Header=BB149_3 Depth=1
	v_add_co_u32_e32 v3, vcc, v55, v3
	v_addc_co_u32_e32 v4, vcc, 0, v56, vcc
	v_add_co_u32_e32 v3, vcc, 0xffffff81, v3
	v_addc_co_u32_e32 v4, vcc, -1, v4, vcc
	v_cmp_gt_i64_e32 vcc, s[12:13], v[3:4]
	v_mov_b32_e32 v49, 0
	s_and_saveexec_b64 s[30:31], vcc
	s_cbranch_execz .LBB149_29
; %bb.28:                               ;   in Loop: Header=BB149_3 Depth=1
	v_lshlrev_b64 v[3:4], 2, v[3:4]
	v_mov_b32_e32 v5, s11
	v_add_co_u32_e32 v3, vcc, s10, v3
	v_addc_co_u32_e32 v4, vcc, v5, v4, vcc
	global_load_dword v49, v[3:4], off
.LBB149_29:                             ;   in Loop: Header=BB149_3 Depth=1
	s_or_b64 exec, exec, s[30:31]
.LBB149_30:                             ;   in Loop: Header=BB149_3 Depth=1
	s_or_b64 exec, exec, s[8:9]
	v_mov_b32_e32 v9, v2
	v_mov_b32_e32 v3, v2
	;; [unrolled: 1-line block ×23, first 2 shown]
	s_and_saveexec_b64 s[8:9], s[2:3]
	s_cbranch_execnz .LBB149_42
; %bb.31:                               ;   in Loop: Header=BB149_3 Depth=1
	s_or_b64 exec, exec, s[8:9]
	s_and_saveexec_b64 s[8:9], s[2:3]
	s_cbranch_execnz .LBB149_43
.LBB149_32:                             ;   in Loop: Header=BB149_3 Depth=1
	s_or_b64 exec, exec, s[8:9]
	s_and_saveexec_b64 s[8:9], s[2:3]
	s_cbranch_execnz .LBB149_44
.LBB149_33:                             ;   in Loop: Header=BB149_3 Depth=1
	s_or_b64 exec, exec, s[8:9]
	s_and_saveexec_b64 s[8:9], s[2:3]
	s_cbranch_execnz .LBB149_45
.LBB149_34:                             ;   in Loop: Header=BB149_3 Depth=1
	s_or_b64 exec, exec, s[8:9]
	s_and_saveexec_b64 s[8:9], s[2:3]
	s_cbranch_execnz .LBB149_46
.LBB149_35:                             ;   in Loop: Header=BB149_3 Depth=1
	s_or_b64 exec, exec, s[8:9]
	s_and_saveexec_b64 s[8:9], s[2:3]
	s_cbranch_execnz .LBB149_47
.LBB149_36:                             ;   in Loop: Header=BB149_3 Depth=1
	s_or_b64 exec, exec, s[8:9]
	s_and_saveexec_b64 s[8:9], s[2:3]
	s_cbranch_execnz .LBB149_48
.LBB149_37:                             ;   in Loop: Header=BB149_3 Depth=1
	s_or_b64 exec, exec, s[8:9]
	s_and_saveexec_b64 s[8:9], s[2:3]
	s_cbranch_execz .LBB149_39
.LBB149_38:                             ;   in Loop: Header=BB149_3 Depth=1
	v_add_co_u32_e32 v55, vcc, v24, v19
	v_addc_co_u32_e32 v56, vcc, v25, v20, vcc
	global_load_dword v10, v[55:56], off
	v_add_co_u32_e32 v55, vcc, v26, v19
	v_addc_co_u32_e32 v56, vcc, v27, v20, vcc
	global_load_dword v18, v[55:56], off
.LBB149_39:                             ;   in Loop: Header=BB149_3 Depth=1
	s_or_b64 exec, exec, s[8:9]
	s_waitcnt vmcnt(0)
	ds_bpermute_b32 v55, v53, v49
	ds_bpermute_b32 v56, v53, v49 offset:4
	v_mul_f32_e32 v3, v11, v3
	ds_bpermute_b32 v11, v53, v49 offset:8
	v_mul_f32_e32 v4, v12, v4
	s_waitcnt lgkmcnt(2)
	v_fmac_f32_e32 v54, v3, v55
	s_waitcnt lgkmcnt(1)
	v_fmac_f32_e32 v54, v4, v56
	ds_bpermute_b32 v3, v53, v49 offset:12
	v_mul_f32_e32 v4, v13, v5
	s_waitcnt lgkmcnt(1)
	v_fmac_f32_e32 v54, v4, v11
	ds_bpermute_b32 v4, v53, v49 offset:16
	v_mul_f32_e32 v5, v14, v6
	s_waitcnt lgkmcnt(1)
	v_fmac_f32_e32 v54, v5, v3
	v_mul_f32_e32 v3, v15, v7
	ds_bpermute_b32 v5, v53, v49 offset:20
	s_waitcnt lgkmcnt(1)
	v_fmac_f32_e32 v54, v3, v4
	ds_bpermute_b32 v4, v53, v49 offset:24
	ds_bpermute_b32 v3, v53, v49 offset:28
	v_mul_f32_e32 v6, v16, v8
	s_waitcnt lgkmcnt(2)
	v_fmac_f32_e32 v54, v6, v5
	v_mul_f32_e32 v5, v17, v9
	s_waitcnt lgkmcnt(1)
	v_fmac_f32_e32 v54, v5, v4
	v_mov_b32_e32 v49, v54
.LBB149_40:                             ;   in Loop: Header=BB149_3 Depth=1
	v_mul_f32_e32 v4, v10, v18
	s_waitcnt lgkmcnt(0)
	v_fmac_f32_e32 v49, v4, v3
	v_mov_b32_e32 v3, s25
	v_add_co_u32_e32 v61, vcc, s24, v61
	v_addc_co_u32_e32 v21, vcc, v21, v3, vcc
	v_add_co_u32_e32 v22, vcc, s24, v22
	v_addc_co_u32_e32 v23, vcc, v23, v3, vcc
	;; [unrolled: 2-line block ×15, first 2 shown]
	v_add_co_u32_e32 v51, vcc, s24, v51
	s_add_u32 s28, s28, s7
	v_addc_co_u32_e32 v52, vcc, v52, v3, vcc
	v_mov_b32_e32 v3, s12
	s_addc_u32 s29, s29, 0
	v_mov_b32_e32 v4, s13
	v_cmp_lt_i64_e32 vcc, s[28:29], v[3:4]
	s_add_u32 s26, s26, s7
	s_addc_u32 s27, s27, 0
	s_cbranch_vccz .LBB149_50
; %bb.41:                               ;   in Loop: Header=BB149_3 Depth=1
	v_mov_b32_e32 v54, v49
	s_branch .LBB149_3
.LBB149_42:                             ;   in Loop: Header=BB149_3 Depth=1
	v_add_co_u32_e32 v3, vcc, v61, v19
	v_addc_co_u32_e32 v4, vcc, v21, v20, vcc
	global_load_dword v3, v[3:4], off
	v_add_co_u32_e32 v4, vcc, v22, v19
	v_addc_co_u32_e32 v5, vcc, v23, v20, vcc
	global_load_dword v11, v[4:5], off
	v_mov_b32_e32 v4, v2
	v_mov_b32_e32 v5, v2
	;; [unrolled: 1-line block ×14, first 2 shown]
	s_or_b64 exec, exec, s[8:9]
	s_and_saveexec_b64 s[8:9], s[2:3]
	s_cbranch_execz .LBB149_32
.LBB149_43:                             ;   in Loop: Header=BB149_3 Depth=1
	v_add_co_u32_e32 v55, vcc, v48, v19
	v_addc_co_u32_e32 v56, vcc, v50, v20, vcc
	global_load_dword v4, v[55:56], off
	v_add_co_u32_e32 v55, vcc, v51, v19
	v_addc_co_u32_e32 v56, vcc, v52, v20, vcc
	global_load_dword v12, v[55:56], off
	s_or_b64 exec, exec, s[8:9]
	s_and_saveexec_b64 s[8:9], s[2:3]
	s_cbranch_execz .LBB149_33
.LBB149_44:                             ;   in Loop: Header=BB149_3 Depth=1
	v_add_co_u32_e32 v55, vcc, v44, v19
	v_addc_co_u32_e32 v56, vcc, v45, v20, vcc
	global_load_dword v5, v[55:56], off
	v_add_co_u32_e32 v55, vcc, v46, v19
	v_addc_co_u32_e32 v56, vcc, v47, v20, vcc
	global_load_dword v13, v[55:56], off
	s_or_b64 exec, exec, s[8:9]
	s_and_saveexec_b64 s[8:9], s[2:3]
	s_cbranch_execz .LBB149_34
.LBB149_45:                             ;   in Loop: Header=BB149_3 Depth=1
	v_add_co_u32_e32 v55, vcc, v40, v19
	v_addc_co_u32_e32 v56, vcc, v41, v20, vcc
	global_load_dword v6, v[55:56], off
	v_add_co_u32_e32 v55, vcc, v42, v19
	v_addc_co_u32_e32 v56, vcc, v43, v20, vcc
	global_load_dword v14, v[55:56], off
	s_or_b64 exec, exec, s[8:9]
	s_and_saveexec_b64 s[8:9], s[2:3]
	s_cbranch_execz .LBB149_35
.LBB149_46:                             ;   in Loop: Header=BB149_3 Depth=1
	v_add_co_u32_e32 v55, vcc, v36, v19
	v_addc_co_u32_e32 v56, vcc, v37, v20, vcc
	global_load_dword v7, v[55:56], off
	v_add_co_u32_e32 v55, vcc, v38, v19
	v_addc_co_u32_e32 v56, vcc, v39, v20, vcc
	global_load_dword v15, v[55:56], off
	s_or_b64 exec, exec, s[8:9]
	s_and_saveexec_b64 s[8:9], s[2:3]
	s_cbranch_execz .LBB149_36
.LBB149_47:                             ;   in Loop: Header=BB149_3 Depth=1
	v_add_co_u32_e32 v55, vcc, v32, v19
	v_addc_co_u32_e32 v56, vcc, v33, v20, vcc
	global_load_dword v8, v[55:56], off
	v_add_co_u32_e32 v55, vcc, v34, v19
	v_addc_co_u32_e32 v56, vcc, v35, v20, vcc
	global_load_dword v16, v[55:56], off
	s_or_b64 exec, exec, s[8:9]
	s_and_saveexec_b64 s[8:9], s[2:3]
	s_cbranch_execz .LBB149_37
.LBB149_48:                             ;   in Loop: Header=BB149_3 Depth=1
	v_add_co_u32_e32 v55, vcc, v28, v19
	v_addc_co_u32_e32 v56, vcc, v29, v20, vcc
	global_load_dword v9, v[55:56], off
	v_add_co_u32_e32 v55, vcc, v30, v19
	v_addc_co_u32_e32 v56, vcc, v31, v20, vcc
	global_load_dword v17, v[55:56], off
	s_or_b64 exec, exec, s[8:9]
	s_and_saveexec_b64 s[8:9], s[2:3]
	s_cbranch_execnz .LBB149_38
	s_branch .LBB149_39
.LBB149_49:
                                        ; implicit-def: $vgpr49
	s_branch .LBB149_51
.LBB149_50:
	s_cbranch_execnz .LBB149_84
.LBB149_51:
	s_and_b64 vcc, exec, s[0:1]
	v_mov_b32_e32 v49, 0
	s_cbranch_vccnz .LBB149_84
; %bb.52:
	v_lshlrev_b32_e32 v0, 3, v1
	buffer_store_dword v0, off, s[36:39], 0 offset:100 ; 4-byte Folded Spill
	v_add_co_u32_e32 v0, vcc, s20, v0
	v_addc_co_u32_e64 v17, s[0:1], 0, 0, vcc
	v_mul_lo_u32 v2, s15, v0
	v_mul_lo_u32 v3, s14, v17
	v_mad_u64_u32 v[4:5], s[0:1], s14, v0, 0
	s_load_dword s7, s[4:5], 0x44
	s_add_u32 s2, s4, 64
	v_add3_u32 v5, v5, v3, v2
	v_lshlrev_b64 v[2:3], 2, v[4:5]
	s_addc_u32 s3, s5, 0
	s_waitcnt lgkmcnt(0)
	s_lshl_b32 s7, s7, 7
	v_mov_b32_e32 v6, s17
	v_add_co_u32_e32 v7, vcc, s16, v2
	s_mul_i32 s0, s15, s7
	s_mul_hi_u32 s1, s14, s7
	v_addc_co_u32_e32 v6, vcc, v6, v3, vcc
	s_add_i32 s1, s1, s0
	s_mul_i32 s0, s14, s7
	buffer_store_dword v6, off, s[36:39], 0 offset:4 ; 4-byte Folded Spill
	s_lshl_b64 s[8:9], s[0:1], 2
	v_mov_b32_e32 v6, s19
	v_add_co_u32_e32 v2, vcc, s18, v2
	buffer_store_dword v2, off, s[36:39], 0 offset:8 ; 4-byte Folded Spill
	v_addc_co_u32_e32 v2, vcc, v6, v3, vcc
	s_add_u32 s22, s20, 0x7f
	buffer_store_dword v2, off, s[36:39], 0 offset:12 ; 4-byte Folded Spill
	s_addc_u32 s23, 0, 0
	v_lshlrev_b32_e32 v2, 5, v1
	s_lshl_b64 s[0:1], s[20:21], 2
	v_mov_b32_e32 v3, s1
	v_add_co_u32_e32 v6, vcc, s0, v2
	buffer_store_dword v7, off, s[36:39], 0 ; 4-byte Folded Spill
	v_addc_co_u32_e32 v7, vcc, 0, v3, vcc
	v_add_co_u32_e32 v8, vcc, 4, v6
	v_addc_co_u32_e32 v9, vcc, 0, v7, vcc
	v_mov_b32_e32 v2, s16
	v_mul_lo_u32 v12, s14, v9
	v_mov_b32_e32 v9, s18
	v_mov_b32_e32 v3, s17
	;; [unrolled: 1-line block ×3, first 2 shown]
	v_mad_u64_u32 v[19:20], s[0:1], s14, v8, v[2:3]
	v_mul_lo_u32 v13, s15, v8
	v_mad_u64_u32 v[21:22], s[0:1], s14, v8, v[9:10]
	v_add_co_u32_e32 v8, vcc, 8, v6
	v_addc_co_u32_e32 v14, vcc, 0, v7, vcc
	v_mov_b32_e32 v11, s15
	v_add_co_u32_e32 v4, vcc, s14, v4
	v_addc_co_u32_e32 v5, vcc, v5, v11, vcc
	v_mul_lo_u32 v15, s15, v8
	v_mad_u64_u32 v[23:24], s[0:1], s14, v8, v[2:3]
	v_mad_u64_u32 v[25:26], s[0:1], s14, v8, v[9:10]
	v_add_co_u32_e32 v8, vcc, 12, v6
	v_addc_co_u32_e32 v11, vcc, 0, v7, vcc
	v_add3_u32 v20, v13, v20, v12
	v_add3_u32 v22, v13, v22, v12
	v_mul_lo_u32 v11, s14, v11
	v_mul_lo_u32 v12, s15, v8
	v_mad_u64_u32 v[27:28], s[0:1], s14, v8, v[2:3]
	v_mad_u64_u32 v[29:30], s[0:1], s14, v8, v[9:10]
	v_add_co_u32_e32 v8, vcc, 16, v6
	v_mul_lo_u32 v14, s14, v14
	v_addc_co_u32_e32 v13, vcc, 0, v7, vcc
	v_mul_lo_u32 v16, s15, v8
	v_mad_u64_u32 v[31:32], s[0:1], s14, v8, v[2:3]
	v_mad_u64_u32 v[33:34], s[0:1], s14, v8, v[9:10]
	v_add_co_u32_e32 v8, vcc, 20, v6
	v_add3_u32 v28, v12, v28, v11
	v_add3_u32 v30, v12, v30, v11
	v_addc_co_u32_e32 v11, vcc, 0, v7, vcc
	v_mul_lo_u32 v12, s15, v8
	v_mad_u64_u32 v[35:36], s[0:1], s14, v8, v[2:3]
	v_mad_u64_u32 v[37:38], s[0:1], s14, v8, v[9:10]
	v_add_co_u32_e32 v8, vcc, 24, v6
	v_add3_u32 v24, v15, v24, v14
	v_add3_u32 v26, v15, v26, v14
	v_addc_co_u32_e32 v14, vcc, 0, v7, vcc
	v_add_co_u32_e32 v6, vcc, 28, v6
	v_addc_co_u32_e32 v7, vcc, 0, v7, vcc
	v_mad_u64_u32 v[39:40], s[0:1], s14, v8, v[2:3]
	v_mad_u64_u32 v[43:44], s[0:1], s14, v6, v[2:3]
	v_add_co_u32_e32 v2, vcc, 7, v0
	v_addc_co_u32_e32 v3, vcc, 0, v17, vcc
	v_mul_lo_u32 v15, s15, v8
	v_mad_u64_u32 v[41:42], s[0:1], s14, v8, v[9:10]
	v_mad_u64_u32 v[45:46], s[0:1], s14, v6, v[9:10]
	v_mul_lo_u32 v8, s14, v3
	v_mul_lo_u32 v9, s15, v2
	v_mad_u64_u32 v[2:3], s[0:1], s14, v2, 0
	v_mul_lo_u32 v7, s14, v7
	v_mul_lo_u32 v6, s15, v6
	v_add3_u32 v3, v3, v8, v9
	v_lshlrev_b64 v[2:3], 2, v[2:3]
	buffer_store_dword v1, off, s[36:39], 0 offset:96 ; 4-byte Folded Spill
	v_add3_u32 v44, v6, v44, v7
	v_add3_u32 v46, v6, v46, v7
	v_mov_b32_e32 v6, s17
	v_add_co_u32_e32 v1, vcc, s16, v2
	buffer_store_dword v1, off, s[36:39], 0 offset:16 ; 4-byte Folded Spill
	v_addc_co_u32_e32 v1, vcc, v6, v3, vcc
	v_add_co_u32_e32 v6, vcc, 6, v0
	v_addc_co_u32_e32 v7, vcc, 0, v17, vcc
	v_mul_lo_u32 v9, s14, v7
	v_mul_lo_u32 v10, s15, v6
	v_mad_u64_u32 v[6:7], s[0:1], s14, v6, 0
	buffer_store_dword v1, off, s[36:39], 0 offset:20 ; 4-byte Folded Spill
	v_mov_b32_e32 v8, s19
	v_add_co_u32_e32 v1, vcc, s18, v2
	v_add3_u32 v7, v7, v9, v10
	buffer_store_dword v1, off, s[36:39], 0 offset:24 ; 4-byte Folded Spill
	v_addc_co_u32_e32 v1, vcc, v8, v3, vcc
	v_lshlrev_b64 v[2:3], 2, v[6:7]
	buffer_store_dword v1, off, s[36:39], 0 offset:28 ; 4-byte Folded Spill
	v_mov_b32_e32 v6, s17
	v_add_co_u32_e32 v1, vcc, s16, v2
	buffer_store_dword v1, off, s[36:39], 0 offset:32 ; 4-byte Folded Spill
	v_addc_co_u32_e32 v1, vcc, v6, v3, vcc
	v_add_co_u32_e32 v6, vcc, 5, v0
	v_addc_co_u32_e32 v7, vcc, 0, v17, vcc
	v_mul_lo_u32 v9, s14, v7
	v_mul_lo_u32 v10, s15, v6
	v_mad_u64_u32 v[6:7], s[0:1], s14, v6, 0
	buffer_store_dword v1, off, s[36:39], 0 offset:36 ; 4-byte Folded Spill
	v_add_co_u32_e32 v1, vcc, s18, v2
	v_add3_u32 v7, v7, v9, v10
	buffer_store_dword v1, off, s[36:39], 0 offset:40 ; 4-byte Folded Spill
	v_addc_co_u32_e32 v1, vcc, v8, v3, vcc
	v_lshlrev_b64 v[2:3], 2, v[6:7]
	buffer_store_dword v1, off, s[36:39], 0 offset:44 ; 4-byte Folded Spill
	v_mov_b32_e32 v6, s17
	v_add_co_u32_e32 v1, vcc, s16, v2
	buffer_store_dword v1, off, s[36:39], 0 offset:48 ; 4-byte Folded Spill
	v_addc_co_u32_e32 v1, vcc, v6, v3, vcc
	v_add_co_u32_e32 v6, vcc, 4, v0
	v_addc_co_u32_e32 v7, vcc, 0, v17, vcc
	v_mul_lo_u32 v9, s14, v7
	v_mul_lo_u32 v10, s15, v6
	v_mad_u64_u32 v[6:7], s[0:1], s14, v6, 0
	buffer_store_dword v1, off, s[36:39], 0 offset:52 ; 4-byte Folded Spill
	v_add_co_u32_e32 v1, vcc, s18, v2
	v_add3_u32 v7, v7, v9, v10
	buffer_store_dword v1, off, s[36:39], 0 offset:56 ; 4-byte Folded Spill
	v_addc_co_u32_e32 v1, vcc, v8, v3, vcc
	v_lshlrev_b64 v[2:3], 2, v[6:7]
	buffer_store_dword v1, off, s[36:39], 0 offset:60 ; 4-byte Folded Spill
	v_mov_b32_e32 v6, s17
	v_add_co_u32_e32 v1, vcc, s16, v2
	buffer_store_dword v1, off, s[36:39], 0 offset:64 ; 4-byte Folded Spill
	v_addc_co_u32_e32 v1, vcc, v6, v3, vcc
	buffer_store_dword v1, off, s[36:39], 0 offset:68 ; 4-byte Folded Spill
	v_mov_b32_e32 v6, s19
	v_add_co_u32_e32 v1, vcc, s18, v2
	buffer_store_dword v1, off, s[36:39], 0 offset:72 ; 4-byte Folded Spill
	v_addc_co_u32_e32 v1, vcc, v6, v3, vcc
	v_add_co_u32_e32 v2, vcc, 3, v0
	v_addc_co_u32_e32 v3, vcc, 0, v17, vcc
	v_mul_lo_u32 v6, s14, v3
	v_mul_lo_u32 v7, s15, v2
	v_mad_u64_u32 v[2:3], s[0:1], s14, v2, 0
	buffer_store_dword v1, off, s[36:39], 0 offset:76 ; 4-byte Folded Spill
	v_mul_lo_u32 v13, s14, v13
	v_add3_u32 v3, v3, v6, v7
	v_lshlrev_b64 v[2:3], 2, v[2:3]
	v_mov_b32_e32 v6, s17
	v_add_co_u32_e32 v1, vcc, s16, v2
	buffer_store_dword v1, off, s[36:39], 0 offset:80 ; 4-byte Folded Spill
	v_addc_co_u32_e32 v1, vcc, v6, v3, vcc
	buffer_store_dword v1, off, s[36:39], 0 offset:84 ; 4-byte Folded Spill
	v_mov_b32_e32 v6, s19
	v_add_co_u32_e32 v1, vcc, s18, v2
	v_addc_co_u32_e32 v58, vcc, v6, v3, vcc
	v_add_co_u32_e32 v0, vcc, 2, v0
	buffer_store_dword v1, off, s[36:39], 0 offset:88 ; 4-byte Folded Spill
	v_addc_co_u32_e32 v1, vcc, 0, v17, vcc
	v_mul_lo_u32 v2, s14, v1
	v_mul_lo_u32 v3, s15, v0
	v_mad_u64_u32 v[0:1], s[0:1], s14, v0, 0
	v_mul_lo_u32 v11, s14, v11
	v_mul_lo_u32 v14, s14, v14
	v_add3_u32 v1, v1, v2, v3
	v_lshlrev_b64 v[0:1], 2, v[0:1]
	v_mov_b32_e32 v2, s17
	v_add_co_u32_e32 v59, vcc, s16, v0
	v_mov_b32_e32 v3, v60
	v_addc_co_u32_e32 v60, vcc, v2, v1, vcc
	v_mov_b32_e32 v2, s19
	v_add_co_u32_e32 v61, vcc, s18, v0
	v_addc_co_u32_e32 v62, vcc, v2, v1, vcc
	v_lshlrev_b64 v[0:1], 2, v[4:5]
	v_mov_b32_e32 v2, s17
	v_add_co_u32_e32 v63, vcc, s16, v0
	v_addc_co_u32_e32 v50, vcc, v2, v1, vcc
	v_mov_b32_e32 v2, s19
	v_add_co_u32_e32 v51, vcc, s18, v0
	v_addc_co_u32_e32 v1, vcc, v2, v1, vcc
	v_mov_b32_e32 v2, 0
	v_mbcnt_lo_u32_b32 v0, -1, 0
	buffer_store_dword v3, off, s[36:39], 0 offset:92 ; 4-byte Folded Spill
	v_add_u32_e32 v3, s33, v3
	v_mov_b32_e32 v4, v2
	v_mbcnt_hi_u32_b32 v0, -1, v0
	v_lshlrev_b64 v[47:48], 2, v[3:4]
	v_lshlrev_b32_e32 v0, 2, v0
	v_add3_u32 v32, v16, v32, v13
	v_add3_u32 v34, v16, v34, v13
	;; [unrolled: 1-line block ×6, first 2 shown]
	v_and_b32_e32 v0, 0x100, v0
	v_mov_b32_e32 v52, 0
.LBB149_53:                             ; =>This Inner Loop Header: Depth=1
	v_mov_b32_e32 v3, s12
	v_mov_b32_e32 v4, s13
	v_cmp_ge_i64_e32 vcc, s[22:23], v[3:4]
	buffer_load_dword v4, off, s[36:39], 0 offset:100 ; 4-byte Folded Reload
	v_mov_b32_e32 v3, s23
	s_and_b64 vcc, exec, vcc
                                        ; implicit-def: $vgpr49
	s_waitcnt vmcnt(0)
	v_add_co_u32_e64 v53, s[0:1], s22, v4
	v_addc_co_u32_e64 v54, s[0:1], 0, v3, s[0:1]
	s_mov_b64 s[0:1], -1
	s_cbranch_vccz .LBB149_75
; %bb.54:                               ;   in Loop: Header=BB149_53 Depth=1
	s_load_dword s0, s[2:3], 0xc
	buffer_load_dword v3, off, s[36:39], 0 offset:92 ; 4-byte Folded Reload
	buffer_load_dword v4, off, s[36:39], 0 offset:96 ; 4-byte Folded Reload
	v_mov_b32_e32 v55, 0
	s_waitcnt lgkmcnt(0)
	s_and_b32 s0, s0, 0xffff
	s_waitcnt vmcnt(0)
	v_mad_u32_u24 v3, v4, s0, v3
	v_and_b32_e32 v3, 63, v3
	v_cmp_gt_u32_e32 vcc, 8, v3
	s_and_saveexec_b64 s[0:1], vcc
	s_cbranch_execz .LBB149_58
; %bb.55:                               ;   in Loop: Header=BB149_53 Depth=1
	v_add_co_u32_e32 v3, vcc, v53, v3
	v_addc_co_u32_e32 v4, vcc, 0, v54, vcc
	v_add_co_u32_e32 v3, vcc, 0xffffff81, v3
	v_addc_co_u32_e32 v4, vcc, -1, v4, vcc
	v_cmp_gt_i64_e32 vcc, s[12:13], v[3:4]
	v_mov_b32_e32 v55, 0
	s_and_saveexec_b64 s[16:17], vcc
	s_cbranch_execz .LBB149_57
; %bb.56:                               ;   in Loop: Header=BB149_53 Depth=1
	v_lshlrev_b64 v[3:4], 2, v[3:4]
	v_mov_b32_e32 v5, s11
	v_add_co_u32_e32 v3, vcc, s10, v3
	v_addc_co_u32_e32 v4, vcc, v5, v4, vcc
	global_load_dword v55, v[3:4], off
.LBB149_57:                             ;   in Loop: Header=BB149_53 Depth=1
	s_or_b64 exec, exec, s[16:17]
.LBB149_58:                             ;   in Loop: Header=BB149_53 Depth=1
	s_or_b64 exec, exec, s[0:1]
	v_add_co_u32_e32 v3, vcc, 0xffffff81, v53
	v_addc_co_u32_e32 v4, vcc, -1, v54, vcc
	v_mov_b32_e32 v9, v2
	v_cmp_gt_i64_e32 vcc, s[12:13], v[3:4]
	v_mov_b32_e32 v3, v2
	v_mov_b32_e32 v4, v2
	;; [unrolled: 1-line block ×22, first 2 shown]
	s_and_saveexec_b64 s[0:1], vcc
	s_cbranch_execz .LBB149_60
; %bb.59:                               ;   in Loop: Header=BB149_53 Depth=1
	buffer_load_dword v3, off, s[36:39], 0  ; 4-byte Folded Reload
	buffer_load_dword v4, off, s[36:39], 0 offset:4 ; 4-byte Folded Reload
	buffer_load_dword v5, off, s[36:39], 0 offset:12 ; 4-byte Folded Reload
	v_mov_b32_e32 v6, v2
	v_mov_b32_e32 v7, v2
	;; [unrolled: 1-line block ×12, first 2 shown]
	s_waitcnt vmcnt(2)
	v_add_co_u32_e32 v3, vcc, v3, v47
	s_waitcnt vmcnt(1)
	v_addc_co_u32_e32 v4, vcc, v4, v48, vcc
	global_load_dword v3, v[3:4], off
	s_nop 0
	buffer_load_dword v4, off, s[36:39], 0 offset:8 ; 4-byte Folded Reload
	s_waitcnt vmcnt(0)
	v_add_co_u32_e32 v4, vcc, v4, v47
	v_addc_co_u32_e32 v5, vcc, v5, v48, vcc
	global_load_dword v11, v[4:5], off
	v_mov_b32_e32 v4, v2
	v_mov_b32_e32 v5, v2
.LBB149_60:                             ;   in Loop: Header=BB149_53 Depth=1
	s_or_b64 exec, exec, s[0:1]
	v_add_co_u32_e32 v56, vcc, 0xffffff82, v53
	v_addc_co_u32_e32 v57, vcc, -1, v54, vcc
	v_cmp_gt_i64_e32 vcc, s[12:13], v[56:57]
	s_and_saveexec_b64 s[0:1], vcc
	s_cbranch_execz .LBB149_62
; %bb.61:                               ;   in Loop: Header=BB149_53 Depth=1
	v_add_co_u32_e32 v56, vcc, v63, v47
	v_addc_co_u32_e32 v57, vcc, v50, v48, vcc
	global_load_dword v4, v[56:57], off
	v_add_co_u32_e32 v56, vcc, v51, v47
	v_addc_co_u32_e32 v57, vcc, v1, v48, vcc
	global_load_dword v12, v[56:57], off
.LBB149_62:                             ;   in Loop: Header=BB149_53 Depth=1
	s_or_b64 exec, exec, s[0:1]
	v_add_co_u32_e32 v56, vcc, 0xffffff83, v53
	v_addc_co_u32_e32 v57, vcc, -1, v54, vcc
	v_cmp_gt_i64_e32 vcc, s[12:13], v[56:57]
	s_and_saveexec_b64 s[0:1], vcc
	s_cbranch_execz .LBB149_64
; %bb.63:                               ;   in Loop: Header=BB149_53 Depth=1
	v_add_co_u32_e32 v56, vcc, v59, v47
	v_addc_co_u32_e32 v57, vcc, v60, v48, vcc
	global_load_dword v5, v[56:57], off
	v_add_co_u32_e32 v56, vcc, v61, v47
	v_addc_co_u32_e32 v57, vcc, v62, v48, vcc
	global_load_dword v13, v[56:57], off
.LBB149_64:                             ;   in Loop: Header=BB149_53 Depth=1
	s_or_b64 exec, exec, s[0:1]
	v_add_co_u32_e32 v56, vcc, 0xffffff84, v53
	v_addc_co_u32_e32 v57, vcc, -1, v54, vcc
	v_cmp_gt_i64_e32 vcc, s[12:13], v[56:57]
	s_and_saveexec_b64 s[0:1], vcc
	s_cbranch_execz .LBB149_66
; %bb.65:                               ;   in Loop: Header=BB149_53 Depth=1
	buffer_load_dword v6, off, s[36:39], 0 offset:80 ; 4-byte Folded Reload
	buffer_load_dword v14, off, s[36:39], 0 offset:88 ; 4-byte Folded Reload
	s_waitcnt vmcnt(1)
	v_add_co_u32_e32 v56, vcc, v6, v47
	buffer_load_dword v6, off, s[36:39], 0 offset:84 ; 4-byte Folded Reload
	s_waitcnt vmcnt(0)
	v_addc_co_u32_e32 v57, vcc, v6, v48, vcc
	global_load_dword v6, v[56:57], off
	v_add_co_u32_e32 v56, vcc, v14, v47
	v_addc_co_u32_e32 v57, vcc, v58, v48, vcc
	global_load_dword v14, v[56:57], off
.LBB149_66:                             ;   in Loop: Header=BB149_53 Depth=1
	s_or_b64 exec, exec, s[0:1]
	v_add_co_u32_e32 v56, vcc, 0xffffff85, v53
	v_addc_co_u32_e32 v57, vcc, -1, v54, vcc
	v_cmp_gt_i64_e32 vcc, s[12:13], v[56:57]
	s_and_saveexec_b64 s[0:1], vcc
	s_cbranch_execz .LBB149_68
; %bb.67:                               ;   in Loop: Header=BB149_53 Depth=1
	buffer_load_dword v7, off, s[36:39], 0 offset:64 ; 4-byte Folded Reload
	buffer_load_dword v15, off, s[36:39], 0 offset:72 ; 4-byte Folded Reload
	s_waitcnt vmcnt(1)
	v_add_co_u32_e32 v56, vcc, v7, v47
	buffer_load_dword v7, off, s[36:39], 0 offset:68 ; 4-byte Folded Reload
	s_waitcnt vmcnt(0)
	v_addc_co_u32_e32 v57, vcc, v7, v48, vcc
	global_load_dword v7, v[56:57], off
	v_add_co_u32_e32 v56, vcc, v15, v47
	buffer_load_dword v15, off, s[36:39], 0 offset:76 ; 4-byte Folded Reload
	s_waitcnt vmcnt(0)
	v_addc_co_u32_e32 v57, vcc, v15, v48, vcc
	global_load_dword v15, v[56:57], off
.LBB149_68:                             ;   in Loop: Header=BB149_53 Depth=1
	s_or_b64 exec, exec, s[0:1]
	v_add_co_u32_e32 v56, vcc, 0xffffff86, v53
	v_addc_co_u32_e32 v57, vcc, -1, v54, vcc
	v_cmp_gt_i64_e32 vcc, s[12:13], v[56:57]
	s_and_saveexec_b64 s[0:1], vcc
	s_cbranch_execz .LBB149_70
; %bb.69:                               ;   in Loop: Header=BB149_53 Depth=1
	buffer_load_dword v8, off, s[36:39], 0 offset:48 ; 4-byte Folded Reload
	buffer_load_dword v16, off, s[36:39], 0 offset:56 ; 4-byte Folded Reload
	s_waitcnt vmcnt(1)
	v_add_co_u32_e32 v56, vcc, v8, v47
	buffer_load_dword v8, off, s[36:39], 0 offset:52 ; 4-byte Folded Reload
	s_waitcnt vmcnt(0)
	v_addc_co_u32_e32 v57, vcc, v8, v48, vcc
	global_load_dword v8, v[56:57], off
	v_add_co_u32_e32 v56, vcc, v16, v47
	buffer_load_dword v16, off, s[36:39], 0 offset:60 ; 4-byte Folded Reload
	s_waitcnt vmcnt(0)
	v_addc_co_u32_e32 v57, vcc, v16, v48, vcc
	global_load_dword v16, v[56:57], off
.LBB149_70:                             ;   in Loop: Header=BB149_53 Depth=1
	s_or_b64 exec, exec, s[0:1]
	v_add_co_u32_e32 v56, vcc, 0xffffff87, v53
	v_addc_co_u32_e32 v57, vcc, -1, v54, vcc
	v_cmp_gt_i64_e32 vcc, s[12:13], v[56:57]
	s_and_saveexec_b64 s[0:1], vcc
	s_cbranch_execz .LBB149_72
; %bb.71:                               ;   in Loop: Header=BB149_53 Depth=1
	buffer_load_dword v9, off, s[36:39], 0 offset:32 ; 4-byte Folded Reload
	buffer_load_dword v17, off, s[36:39], 0 offset:40 ; 4-byte Folded Reload
	s_waitcnt vmcnt(1)
	v_add_co_u32_e32 v56, vcc, v9, v47
	buffer_load_dword v9, off, s[36:39], 0 offset:36 ; 4-byte Folded Reload
	s_waitcnt vmcnt(0)
	v_addc_co_u32_e32 v57, vcc, v9, v48, vcc
	global_load_dword v9, v[56:57], off
	v_add_co_u32_e32 v56, vcc, v17, v47
	buffer_load_dword v17, off, s[36:39], 0 offset:44 ; 4-byte Folded Reload
	s_waitcnt vmcnt(0)
	v_addc_co_u32_e32 v57, vcc, v17, v48, vcc
	global_load_dword v17, v[56:57], off
.LBB149_72:                             ;   in Loop: Header=BB149_53 Depth=1
	s_or_b64 exec, exec, s[0:1]
	v_add_co_u32_e32 v56, vcc, 0xffffff88, v53
	v_addc_co_u32_e32 v57, vcc, -1, v54, vcc
	v_cmp_gt_i64_e32 vcc, s[12:13], v[56:57]
	s_and_saveexec_b64 s[0:1], vcc
	s_cbranch_execz .LBB149_74
; %bb.73:                               ;   in Loop: Header=BB149_53 Depth=1
	buffer_load_dword v10, off, s[36:39], 0 offset:16 ; 4-byte Folded Reload
	buffer_load_dword v18, off, s[36:39], 0 offset:24 ; 4-byte Folded Reload
	s_waitcnt vmcnt(1)
	v_add_co_u32_e32 v56, vcc, v10, v47
	buffer_load_dword v10, off, s[36:39], 0 offset:20 ; 4-byte Folded Reload
	s_waitcnt vmcnt(0)
	v_addc_co_u32_e32 v57, vcc, v10, v48, vcc
	global_load_dword v10, v[56:57], off
	v_add_co_u32_e32 v56, vcc, v18, v47
	buffer_load_dword v18, off, s[36:39], 0 offset:28 ; 4-byte Folded Reload
	s_waitcnt vmcnt(0)
	v_addc_co_u32_e32 v57, vcc, v18, v48, vcc
	global_load_dword v18, v[56:57], off
.LBB149_74:                             ;   in Loop: Header=BB149_53 Depth=1
	s_or_b64 exec, exec, s[0:1]
	s_waitcnt vmcnt(0)
	ds_bpermute_b32 v49, v0, v55
	v_mul_f32_e32 v3, v11, v3
	v_mul_f32_e32 v4, v12, v4
	s_mov_b64 s[0:1], 0
	s_waitcnt lgkmcnt(0)
	v_fma_f32 v49, v3, v49, v52
	ds_bpermute_b32 v3, v0, v55 offset:4
	s_waitcnt lgkmcnt(0)
	v_fmac_f32_e32 v49, v4, v3
	ds_bpermute_b32 v3, v0, v55 offset:8
	v_mul_f32_e32 v4, v13, v5
	s_waitcnt lgkmcnt(0)
	v_fmac_f32_e32 v49, v4, v3
	ds_bpermute_b32 v3, v0, v55 offset:12
	v_mul_f32_e32 v4, v14, v6
	;; [unrolled: 4-line block ×6, first 2 shown]
	s_waitcnt lgkmcnt(0)
	v_fmac_f32_e32 v49, v4, v3
.LBB149_75:                             ;   in Loop: Header=BB149_53 Depth=1
	s_and_b64 vcc, exec, s[0:1]
	s_cbranch_vccz .LBB149_81
; %bb.76:                               ;   in Loop: Header=BB149_53 Depth=1
	s_load_dword s0, s[2:3], 0x0
	s_waitcnt lgkmcnt(0)
	s_cmp_lt_u32 s6, s0
	s_cselect_b32 s0, 12, 18
	s_add_u32 s0, s2, s0
	s_addc_u32 s1, s3, 0
	global_load_ushort v3, v2, s[0:1]
	buffer_load_dword v4, off, s[36:39], 0 offset:92 ; 4-byte Folded Reload
	buffer_load_dword v5, off, s[36:39], 0 offset:96 ; 4-byte Folded Reload
	s_waitcnt vmcnt(0)
	v_mad_u32_u24 v3, v5, v3, v4
	v_and_b32_e32 v3, 63, v3
	v_cmp_gt_u32_e32 vcc, 8, v3
	v_mov_b32_e32 v5, 0
	s_and_saveexec_b64 s[0:1], vcc
	s_cbranch_execz .LBB149_80
; %bb.77:                               ;   in Loop: Header=BB149_53 Depth=1
	v_add_co_u32_e32 v3, vcc, v53, v3
	v_addc_co_u32_e32 v4, vcc, 0, v54, vcc
	v_add_co_u32_e32 v3, vcc, 0xffffff81, v3
	v_addc_co_u32_e32 v4, vcc, -1, v4, vcc
	v_cmp_gt_i64_e32 vcc, s[12:13], v[3:4]
	v_mov_b32_e32 v5, 0
	s_and_saveexec_b64 s[16:17], vcc
	s_cbranch_execz .LBB149_79
; %bb.78:                               ;   in Loop: Header=BB149_53 Depth=1
	v_lshlrev_b64 v[3:4], 2, v[3:4]
	v_mov_b32_e32 v5, s11
	v_add_co_u32_e32 v3, vcc, s10, v3
	v_addc_co_u32_e32 v4, vcc, v5, v4, vcc
	global_load_dword v5, v[3:4], off
.LBB149_79:                             ;   in Loop: Header=BB149_53 Depth=1
	s_or_b64 exec, exec, s[16:17]
.LBB149_80:                             ;   in Loop: Header=BB149_53 Depth=1
	s_or_b64 exec, exec, s[0:1]
	buffer_load_dword v3, off, s[36:39], 0  ; 4-byte Folded Reload
	buffer_load_dword v4, off, s[36:39], 0 offset:4 ; 4-byte Folded Reload
	s_waitcnt vmcnt(1)
	v_add_co_u32_e32 v3, vcc, v3, v47
	s_waitcnt vmcnt(0)
	v_addc_co_u32_e32 v4, vcc, v4, v48, vcc
	global_load_dword v6, v[3:4], off
	s_nop 0
	buffer_load_dword v3, off, s[36:39], 0 offset:8 ; 4-byte Folded Reload
	buffer_load_dword v4, off, s[36:39], 0 offset:12 ; 4-byte Folded Reload
	s_waitcnt vmcnt(1)
	v_add_co_u32_e32 v3, vcc, v3, v47
	s_waitcnt vmcnt(0)
	v_addc_co_u32_e32 v4, vcc, v4, v48, vcc
	global_load_dword v7, v[3:4], off
	v_add_co_u32_e32 v3, vcc, v19, v47
	v_addc_co_u32_e32 v4, vcc, v20, v48, vcc
	global_load_dword v8, v[3:4], off
	v_add_co_u32_e32 v3, vcc, v21, v47
	;; [unrolled: 3-line block ×14, first 2 shown]
	v_addc_co_u32_e32 v4, vcc, v46, v48, vcc
	global_load_dword v3, v[3:4], off
	ds_bpermute_b32 v4, v0, v5
	s_waitcnt vmcnt(14)
	v_mul_f32_e32 v6, v6, v7
	s_waitcnt lgkmcnt(0)
	v_fmac_f32_e32 v52, v6, v4
	ds_bpermute_b32 v4, v0, v5 offset:4
	s_waitcnt vmcnt(12)
	v_mul_f32_e32 v6, v8, v9
	s_waitcnt lgkmcnt(0)
	v_fmac_f32_e32 v52, v6, v4
	ds_bpermute_b32 v4, v0, v5 offset:8
	;; [unrolled: 5-line block ×7, first 2 shown]
	s_waitcnt vmcnt(0)
	v_mul_f32_e32 v3, v53, v3
	s_waitcnt lgkmcnt(0)
	v_fmac_f32_e32 v52, v3, v4
	v_mov_b32_e32 v49, v52
.LBB149_81:                             ;   in Loop: Header=BB149_53 Depth=1
	buffer_load_dword v3, off, s[36:39], 0  ; 4-byte Folded Reload
	buffer_load_dword v4, off, s[36:39], 0 offset:4 ; 4-byte Folded Reload
	s_add_u32 s20, s20, s7
	s_addc_u32 s21, s21, 0
	s_add_u32 s22, s22, s7
	s_addc_u32 s23, s23, 0
	s_waitcnt vmcnt(1)
	v_add_co_u32_e32 v3, vcc, s8, v3
	buffer_store_dword v3, off, s[36:39], 0 ; 4-byte Folded Spill
	v_mov_b32_e32 v3, s9
	s_waitcnt vmcnt(1)
	v_addc_co_u32_e32 v4, vcc, v4, v3, vcc
	buffer_store_dword v4, off, s[36:39], 0 offset:4 ; 4-byte Folded Spill
	buffer_load_dword v4, off, s[36:39], 0 offset:8 ; 4-byte Folded Reload
	s_waitcnt vmcnt(0)
	v_add_co_u32_e32 v4, vcc, s8, v4
	buffer_store_dword v4, off, s[36:39], 0 offset:8 ; 4-byte Folded Spill
	buffer_load_dword v4, off, s[36:39], 0 offset:12 ; 4-byte Folded Reload
	s_waitcnt vmcnt(0)
	v_addc_co_u32_e32 v4, vcc, v4, v3, vcc
	buffer_store_dword v4, off, s[36:39], 0 offset:12 ; 4-byte Folded Spill
	buffer_load_dword v4, off, s[36:39], 0 offset:16 ; 4-byte Folded Reload
	v_add_co_u32_e32 v19, vcc, s8, v19
	v_addc_co_u32_e32 v20, vcc, v20, v3, vcc
	v_add_co_u32_e32 v23, vcc, s8, v23
	v_addc_co_u32_e32 v24, vcc, v24, v3, vcc
	;; [unrolled: 2-line block ×14, first 2 shown]
	s_waitcnt vmcnt(0)
	v_add_co_u32_e32 v4, vcc, s8, v4
	buffer_store_dword v4, off, s[36:39], 0 offset:16 ; 4-byte Folded Spill
	buffer_load_dword v4, off, s[36:39], 0 offset:20 ; 4-byte Folded Reload
	s_waitcnt vmcnt(0)
	v_addc_co_u32_e32 v4, vcc, v4, v3, vcc
	buffer_store_dword v4, off, s[36:39], 0 offset:20 ; 4-byte Folded Spill
	buffer_load_dword v4, off, s[36:39], 0 offset:24 ; 4-byte Folded Reload
	s_waitcnt vmcnt(0)
	v_add_co_u32_e32 v4, vcc, s8, v4
	buffer_store_dword v4, off, s[36:39], 0 offset:24 ; 4-byte Folded Spill
	buffer_load_dword v4, off, s[36:39], 0 offset:28 ; 4-byte Folded Reload
	s_waitcnt vmcnt(0)
	v_addc_co_u32_e32 v4, vcc, v4, v3, vcc
	buffer_store_dword v4, off, s[36:39], 0 offset:28 ; 4-byte Folded Spill
	buffer_load_dword v4, off, s[36:39], 0 offset:32 ; 4-byte Folded Reload
	;; [unrolled: 8-line block ×9, first 2 shown]
	s_waitcnt vmcnt(0)
	v_add_co_u32_e32 v4, vcc, s8, v4
	v_addc_co_u32_e32 v58, vcc, v58, v3, vcc
	v_add_co_u32_e32 v59, vcc, s8, v59
	v_addc_co_u32_e32 v60, vcc, v60, v3, vcc
	;; [unrolled: 2-line block ×4, first 2 shown]
	v_add_co_u32_e32 v51, vcc, s8, v51
	buffer_store_dword v4, off, s[36:39], 0 offset:88 ; 4-byte Folded Spill
	v_addc_co_u32_e32 v1, vcc, v1, v3, vcc
	v_mov_b32_e32 v3, s12
	v_mov_b32_e32 v4, s13
	v_cmp_ge_i64_e32 vcc, s[20:21], v[3:4]
	s_cbranch_vccnz .LBB149_83
; %bb.82:                               ;   in Loop: Header=BB149_53 Depth=1
	v_mov_b32_e32 v52, v49
	s_branch .LBB149_53
.LBB149_83:
	buffer_load_dword v60, off, s[36:39], 0 offset:92 ; 4-byte Folded Reload
	buffer_load_dword v1, off, s[36:39], 0 offset:96 ; 4-byte Folded Reload
.LBB149_84:
	s_movk_i32 s0, 0x41
	s_waitcnt vmcnt(0)
	v_mad_u32_u24 v0, v1, s0, v60
	v_lshl_add_u32 v0, v0, 2, 0
	v_mov_b32_e32 v2, 0
	ds_write_b32 v0, v49
	ds_write_b32 v0, v2 offset:4160
	v_lshrrev_b32_e32 v0, 6, v60
	v_add_u32_e32 v2, v0, v1
	v_cmp_gt_u32_e32 vcc, 64, v2
	s_waitcnt lgkmcnt(0)
	s_barrier
	s_and_saveexec_b64 s[0:1], vcc
	s_cbranch_execz .LBB149_104
; %bb.85:
	s_load_dwordx2 s[4:5], s[4:5], 0x30
	v_and_b32_e32 v0, 63, v60
	v_cmp_gt_u32_e32 vcc, 16, v0
	v_mul_u32_u24_e32 v3, 0x41, v0
                                        ; implicit-def: $vgpr0
	s_and_saveexec_b64 s[0:1], vcc
; %bb.86:
	v_lshlrev_b32_e32 v0, 2, v2
	v_lshlrev_b32_e32 v1, 2, v3
	v_add3_u32 v0, 0, v0, v1
	ds_read_b32 v0, v0
; %bb.87:
	s_or_b64 exec, exec, s[0:1]
	v_mbcnt_lo_u32_b32 v1, -1, 0
	v_mbcnt_hi_u32_b32 v1, -1, v1
	v_and_b32_e32 v4, 64, v1
	v_add_u32_e32 v7, 64, v4
	v_xor_b32_e32 v4, 8, v1
	v_cmp_lt_i32_e64 s[0:1], v4, v7
	v_cndmask_b32_e64 v4, v1, v4, s[0:1]
	v_lshlrev_b32_e32 v4, 2, v4
	s_waitcnt lgkmcnt(0)
	ds_bpermute_b32 v5, v4, v0
	v_xor_b32_e32 v6, 4, v1
	v_cmp_lt_i32_e64 s[0:1], v6, v7
	v_xor_b32_e32 v8, 2, v1
	s_mov_b32 s7, 0
	s_waitcnt lgkmcnt(0)
	v_add_f32_e32 v0, v0, v5
	v_cndmask_b32_e64 v5, v1, v6, s[0:1]
	v_lshlrev_b32_e32 v5, 2, v5
	ds_bpermute_b32 v6, v5, v0
	v_cmp_lt_i32_e64 s[0:1], v8, v7
	s_lshl_b64 s[6:7], s[6:7], 6
	s_cmp_eq_u64 s[4:5], 0
	s_cselect_b64 s[8:9], -1, 0
	s_waitcnt lgkmcnt(0)
	v_add_f32_e32 v0, v0, v6
	v_cndmask_b32_e64 v6, v1, v8, s[0:1]
	v_lshlrev_b32_e32 v6, 2, v6
	ds_bpermute_b32 v8, v6, v0
	v_cmp_ne_u32_e64 s[0:1], 0, v60
	s_waitcnt lgkmcnt(0)
	v_add_f32_e32 v8, v0, v8
	v_xor_b32_e32 v0, 1, v1
	v_cmp_lt_i32_e64 s[2:3], v0, v7
	v_cndmask_b32_e64 v0, v1, v0, s[2:3]
	v_lshlrev_b32_e32 v7, 2, v0
	ds_bpermute_b32 v9, v7, v8
	v_or_b32_e32 v0, s6, v2
	v_mov_b32_e32 v1, s7
	v_cmp_le_i64_e64 s[2:3], s[14:15], v[0:1]
	s_or_b64 s[2:3], s[0:1], s[2:3]
	s_waitcnt lgkmcnt(0)
	v_add_f32_e32 v8, v8, v9
	s_nor_b64 s[2:3], s[8:9], s[2:3]
	s_and_saveexec_b64 s[10:11], s[2:3]
	s_cbranch_execz .LBB149_89
; %bb.88:
	v_lshlrev_b64 v[0:1], 2, v[0:1]
	v_mov_b32_e32 v9, s5
	v_add_co_u32_e64 v0, s[2:3], s4, v0
	v_addc_co_u32_e64 v1, s[2:3], v9, v1, s[2:3]
	global_store_dword v[0:1], v8, off
.LBB149_89:
	s_or_b64 exec, exec, s[10:11]
	v_cmp_gt_u32_e64 s[2:3], 48, v2
	s_and_b64 exec, exec, s[2:3]
	s_cbranch_execz .LBB149_104
; %bb.90:
	s_and_saveexec_b64 s[2:3], vcc
; %bb.91:
	v_lshlrev_b32_e32 v0, 2, v2
	v_lshlrev_b32_e32 v1, 2, v3
	v_add3_u32 v0, 0, v0, v1
	ds_read_b32 v8, v0 offset:64
; %bb.92:
	s_or_b64 exec, exec, s[2:3]
	s_waitcnt lgkmcnt(0)
	ds_bpermute_b32 v0, v4, v8
	v_mov_b32_e32 v9, s7
	s_waitcnt lgkmcnt(0)
	v_add_f32_e32 v0, v8, v0
	ds_bpermute_b32 v1, v5, v0
	v_add_u32_e32 v8, 16, v2
	s_waitcnt lgkmcnt(0)
	v_add_f32_e32 v0, v0, v1
	ds_bpermute_b32 v1, v6, v0
	s_waitcnt lgkmcnt(0)
	v_add_f32_e32 v10, v0, v1
	ds_bpermute_b32 v11, v7, v10
	v_add_co_u32_e64 v0, s[2:3], s6, v8
	v_addc_co_u32_e64 v1, s[2:3], 0, v9, s[2:3]
	v_cmp_le_i64_e64 s[2:3], s[14:15], v[0:1]
	s_waitcnt lgkmcnt(0)
	v_add_f32_e32 v0, v10, v11
	s_or_b64 s[2:3], s[0:1], s[2:3]
	s_nor_b64 s[2:3], s[8:9], s[2:3]
	s_and_saveexec_b64 s[10:11], s[2:3]
	s_cbranch_execz .LBB149_94
; %bb.93:
	v_mov_b32_e32 v1, s7
	v_add_co_u32_e64 v8, s[2:3], s6, v2
	v_addc_co_u32_e64 v9, s[2:3], 0, v1, s[2:3]
	v_lshlrev_b64 v[8:9], 2, v[8:9]
	v_mov_b32_e32 v1, s5
	v_add_co_u32_e64 v8, s[2:3], s4, v8
	v_addc_co_u32_e64 v9, s[2:3], v1, v9, s[2:3]
	global_store_dword v[8:9], v0, off offset:64
.LBB149_94:
	s_or_b64 exec, exec, s[10:11]
	v_cmp_gt_u32_e64 s[2:3], 32, v2
	s_and_b64 exec, exec, s[2:3]
	s_cbranch_execz .LBB149_104
; %bb.95:
	s_and_saveexec_b64 s[2:3], vcc
; %bb.96:
	v_lshlrev_b32_e32 v0, 2, v2
	v_lshlrev_b32_e32 v1, 2, v3
	v_add3_u32 v0, 0, v0, v1
	ds_read_b32 v0, v0 offset:128
; %bb.97:
	s_or_b64 exec, exec, s[2:3]
	s_waitcnt lgkmcnt(0)
	ds_bpermute_b32 v1, v4, v0
	v_add_u32_e32 v9, 32, v2
	s_waitcnt lgkmcnt(0)
	v_add_f32_e32 v0, v0, v1
	ds_bpermute_b32 v1, v5, v0
	s_waitcnt lgkmcnt(0)
	v_add_f32_e32 v0, v0, v1
	ds_bpermute_b32 v8, v6, v0
	v_mov_b32_e32 v1, s7
	s_waitcnt lgkmcnt(0)
	v_add_f32_e32 v8, v0, v8
	ds_bpermute_b32 v10, v7, v8
	v_or_b32_e32 v0, s6, v9
	v_cmp_le_i64_e64 s[2:3], s[14:15], v[0:1]
	s_or_b64 s[2:3], s[0:1], s[2:3]
	s_waitcnt lgkmcnt(0)
	v_add_f32_e32 v0, v8, v10
	s_nor_b64 s[2:3], s[8:9], s[2:3]
	s_and_saveexec_b64 s[10:11], s[2:3]
	s_cbranch_execz .LBB149_99
; %bb.98:
	v_mov_b32_e32 v1, s7
	v_add_co_u32_e64 v8, s[2:3], s6, v2
	v_addc_co_u32_e64 v9, s[2:3], 0, v1, s[2:3]
	v_lshlrev_b64 v[8:9], 2, v[8:9]
	v_mov_b32_e32 v1, s5
	v_add_co_u32_e64 v8, s[2:3], s4, v8
	v_addc_co_u32_e64 v9, s[2:3], v1, v9, s[2:3]
	global_store_dword v[8:9], v0, off offset:128
.LBB149_99:
	s_or_b64 exec, exec, s[10:11]
	v_cmp_gt_u32_e64 s[2:3], 16, v2
	s_and_b64 exec, exec, s[2:3]
	s_cbranch_execz .LBB149_104
; %bb.100:
	s_and_saveexec_b64 s[2:3], vcc
; %bb.101:
	v_lshlrev_b32_e32 v0, 2, v2
	v_lshlrev_b32_e32 v1, 2, v3
	v_add3_u32 v0, 0, v0, v1
	ds_read_b32 v0, v0 offset:192
; %bb.102:
	s_or_b64 exec, exec, s[2:3]
	s_waitcnt lgkmcnt(0)
	ds_bpermute_b32 v1, v4, v0
	v_add_u32_e32 v3, 48, v2
	v_or_b32_e32 v3, s6, v3
	v_mov_b32_e32 v4, s7
	v_cmp_le_i64_e32 vcc, s[14:15], v[3:4]
	s_waitcnt lgkmcnt(0)
	v_add_f32_e32 v0, v0, v1
	ds_bpermute_b32 v1, v5, v0
	s_or_b64 s[0:1], s[0:1], vcc
	s_nor_b64 s[0:1], s[8:9], s[0:1]
	s_waitcnt lgkmcnt(0)
	v_add_f32_e32 v0, v0, v1
	ds_bpermute_b32 v1, v6, v0
	s_waitcnt lgkmcnt(0)
	v_add_f32_e32 v0, v0, v1
	ds_bpermute_b32 v1, v7, v0
	s_and_saveexec_b64 s[2:3], s[0:1]
	s_xor_b64 s[2:3], exec, s[2:3]
	s_cbranch_execz .LBB149_104
; %bb.103:
	s_waitcnt lgkmcnt(0)
	v_add_f32_e32 v3, v0, v1
	v_mov_b32_e32 v1, s7
	v_add_co_u32_e32 v0, vcc, s6, v2
	v_addc_co_u32_e32 v1, vcc, 0, v1, vcc
	v_lshlrev_b64 v[0:1], 2, v[0:1]
	v_mov_b32_e32 v2, s5
	v_add_co_u32_e32 v0, vcc, s4, v0
	v_addc_co_u32_e32 v1, vcc, v2, v1, vcc
	global_store_dword v[0:1], v3, off offset:192
.LBB149_104:
	s_endpgm
	.section	.rodata,"a",@progbits
	.p2align	6, 0x0
	.amdhsa_kernel _ZN2at6native12_GLOBAL__N_135GammaBetaBackwardCUDAKernelTemplateIffLj64ELj16ELj128ELb0ELb0ELb1EEEvllPKT_S5_PKT0_S8_PS3_S9_
		.amdhsa_group_segment_fixed_size 0
		.amdhsa_private_segment_fixed_size 108
		.amdhsa_kernarg_size 320
		.amdhsa_user_sgpr_count 6
		.amdhsa_user_sgpr_private_segment_buffer 1
		.amdhsa_user_sgpr_dispatch_ptr 0
		.amdhsa_user_sgpr_queue_ptr 0
		.amdhsa_user_sgpr_kernarg_segment_ptr 1
		.amdhsa_user_sgpr_dispatch_id 0
		.amdhsa_user_sgpr_flat_scratch_init 0
		.amdhsa_user_sgpr_private_segment_size 0
		.amdhsa_uses_dynamic_stack 0
		.amdhsa_system_sgpr_private_segment_wavefront_offset 1
		.amdhsa_system_sgpr_workgroup_id_x 1
		.amdhsa_system_sgpr_workgroup_id_y 1
		.amdhsa_system_sgpr_workgroup_id_z 0
		.amdhsa_system_sgpr_workgroup_info 0
		.amdhsa_system_vgpr_workitem_id 1
		.amdhsa_next_free_vgpr 64
		.amdhsa_next_free_sgpr 40
		.amdhsa_reserve_vcc 1
		.amdhsa_reserve_flat_scratch 0
		.amdhsa_float_round_mode_32 0
		.amdhsa_float_round_mode_16_64 0
		.amdhsa_float_denorm_mode_32 3
		.amdhsa_float_denorm_mode_16_64 3
		.amdhsa_dx10_clamp 1
		.amdhsa_ieee_mode 1
		.amdhsa_fp16_overflow 0
		.amdhsa_exception_fp_ieee_invalid_op 0
		.amdhsa_exception_fp_denorm_src 0
		.amdhsa_exception_fp_ieee_div_zero 0
		.amdhsa_exception_fp_ieee_overflow 0
		.amdhsa_exception_fp_ieee_underflow 0
		.amdhsa_exception_fp_ieee_inexact 0
		.amdhsa_exception_int_div_zero 0
	.end_amdhsa_kernel
	.section	.text._ZN2at6native12_GLOBAL__N_135GammaBetaBackwardCUDAKernelTemplateIffLj64ELj16ELj128ELb0ELb0ELb1EEEvllPKT_S5_PKT0_S8_PS3_S9_,"axG",@progbits,_ZN2at6native12_GLOBAL__N_135GammaBetaBackwardCUDAKernelTemplateIffLj64ELj16ELj128ELb0ELb0ELb1EEEvllPKT_S5_PKT0_S8_PS3_S9_,comdat
.Lfunc_end149:
	.size	_ZN2at6native12_GLOBAL__N_135GammaBetaBackwardCUDAKernelTemplateIffLj64ELj16ELj128ELb0ELb0ELb1EEEvllPKT_S5_PKT0_S8_PS3_S9_, .Lfunc_end149-_ZN2at6native12_GLOBAL__N_135GammaBetaBackwardCUDAKernelTemplateIffLj64ELj16ELj128ELb0ELb0ELb1EEEvllPKT_S5_PKT0_S8_PS3_S9_
                                        ; -- End function
	.set _ZN2at6native12_GLOBAL__N_135GammaBetaBackwardCUDAKernelTemplateIffLj64ELj16ELj128ELb0ELb0ELb1EEEvllPKT_S5_PKT0_S8_PS3_S9_.num_vgpr, 64
	.set _ZN2at6native12_GLOBAL__N_135GammaBetaBackwardCUDAKernelTemplateIffLj64ELj16ELj128ELb0ELb0ELb1EEEvllPKT_S5_PKT0_S8_PS3_S9_.num_agpr, 0
	.set _ZN2at6native12_GLOBAL__N_135GammaBetaBackwardCUDAKernelTemplateIffLj64ELj16ELj128ELb0ELb0ELb1EEEvllPKT_S5_PKT0_S8_PS3_S9_.numbered_sgpr, 40
	.set _ZN2at6native12_GLOBAL__N_135GammaBetaBackwardCUDAKernelTemplateIffLj64ELj16ELj128ELb0ELb0ELb1EEEvllPKT_S5_PKT0_S8_PS3_S9_.num_named_barrier, 0
	.set _ZN2at6native12_GLOBAL__N_135GammaBetaBackwardCUDAKernelTemplateIffLj64ELj16ELj128ELb0ELb0ELb1EEEvllPKT_S5_PKT0_S8_PS3_S9_.private_seg_size, 108
	.set _ZN2at6native12_GLOBAL__N_135GammaBetaBackwardCUDAKernelTemplateIffLj64ELj16ELj128ELb0ELb0ELb1EEEvllPKT_S5_PKT0_S8_PS3_S9_.uses_vcc, 1
	.set _ZN2at6native12_GLOBAL__N_135GammaBetaBackwardCUDAKernelTemplateIffLj64ELj16ELj128ELb0ELb0ELb1EEEvllPKT_S5_PKT0_S8_PS3_S9_.uses_flat_scratch, 0
	.set _ZN2at6native12_GLOBAL__N_135GammaBetaBackwardCUDAKernelTemplateIffLj64ELj16ELj128ELb0ELb0ELb1EEEvllPKT_S5_PKT0_S8_PS3_S9_.has_dyn_sized_stack, 0
	.set _ZN2at6native12_GLOBAL__N_135GammaBetaBackwardCUDAKernelTemplateIffLj64ELj16ELj128ELb0ELb0ELb1EEEvllPKT_S5_PKT0_S8_PS3_S9_.has_recursion, 0
	.set _ZN2at6native12_GLOBAL__N_135GammaBetaBackwardCUDAKernelTemplateIffLj64ELj16ELj128ELb0ELb0ELb1EEEvllPKT_S5_PKT0_S8_PS3_S9_.has_indirect_call, 0
	.section	.AMDGPU.csdata,"",@progbits
; Kernel info:
; codeLenInByte = 7872
; TotalNumSgprs: 44
; NumVgprs: 64
; ScratchSize: 108
; MemoryBound: 0
; FloatMode: 240
; IeeeMode: 1
; LDSByteSize: 0 bytes/workgroup (compile time only)
; SGPRBlocks: 5
; VGPRBlocks: 15
; NumSGPRsForWavesPerEU: 44
; NumVGPRsForWavesPerEU: 64
; Occupancy: 4
; WaveLimiterHint : 0
; COMPUTE_PGM_RSRC2:SCRATCH_EN: 1
; COMPUTE_PGM_RSRC2:USER_SGPR: 6
; COMPUTE_PGM_RSRC2:TRAP_HANDLER: 0
; COMPUTE_PGM_RSRC2:TGID_X_EN: 1
; COMPUTE_PGM_RSRC2:TGID_Y_EN: 1
; COMPUTE_PGM_RSRC2:TGID_Z_EN: 0
; COMPUTE_PGM_RSRC2:TIDIG_COMP_CNT: 1
	.section	.text._ZN2at6native12_GLOBAL__N_135GammaBetaBackwardCUDAKernelTemplateIffLj64ELj16ELj256ELb0ELb1ELb1EEEvllPKT_S5_PKT0_S8_PS3_S9_,"axG",@progbits,_ZN2at6native12_GLOBAL__N_135GammaBetaBackwardCUDAKernelTemplateIffLj64ELj16ELj256ELb0ELb1ELb1EEEvllPKT_S5_PKT0_S8_PS3_S9_,comdat
	.globl	_ZN2at6native12_GLOBAL__N_135GammaBetaBackwardCUDAKernelTemplateIffLj64ELj16ELj256ELb0ELb1ELb1EEEvllPKT_S5_PKT0_S8_PS3_S9_ ; -- Begin function _ZN2at6native12_GLOBAL__N_135GammaBetaBackwardCUDAKernelTemplateIffLj64ELj16ELj256ELb0ELb1ELb1EEEvllPKT_S5_PKT0_S8_PS3_S9_
	.p2align	8
	.type	_ZN2at6native12_GLOBAL__N_135GammaBetaBackwardCUDAKernelTemplateIffLj64ELj16ELj256ELb0ELb1ELb1EEEvllPKT_S5_PKT0_S8_PS3_S9_,@function
_ZN2at6native12_GLOBAL__N_135GammaBetaBackwardCUDAKernelTemplateIffLj64ELj16ELj256ELb0ELb1ELb1EEEvllPKT_S5_PKT0_S8_PS3_S9_: ; @_ZN2at6native12_GLOBAL__N_135GammaBetaBackwardCUDAKernelTemplateIffLj64ELj16ELj256ELb0ELb1ELb1EEEvllPKT_S5_PKT0_S8_PS3_S9_
; %bb.0:
	s_load_dwordx4 s[8:11], s[4:5], 0x0
	s_lshl_b32 s18, s7, 8
	s_mov_b32 s19, 0
	v_mov_b32_e32 v2, s18
	v_mov_b32_e32 v3, s19
	s_waitcnt lgkmcnt(0)
	v_cmp_gt_i64_e32 vcc, s[8:9], v[2:3]
	s_cbranch_vccnz .LBB150_2
; %bb.1:
	s_mov_b64 s[0:1], 0
	s_branch .LBB150_3
.LBB150_2:
	s_mov_b64 s[0:1], -1
.LBB150_3:
	s_load_dwordx2 s[16:17], s[4:5], 0x30
	v_mov_b32_e32 v3, 0
	s_andn2_b64 vcc, exec, s[0:1]
	v_mbcnt_lo_u32_b32 v12, -1, 0
	s_cbranch_vccnz .LBB150_10
; %bb.4:
	s_load_dword s0, s[4:5], 0x4c
	s_load_dword s7, s[4:5], 0x44
	s_load_dwordx4 s[12:15], s[4:5], 0x10
	s_load_dwordx2 s[2:3], s[4:5], 0x28
	v_lshlrev_b32_e32 v4, 4, v1
	s_waitcnt lgkmcnt(0)
	s_and_b32 s0, s0, 0xffff
	v_mad_u32_u24 v2, v1, s0, v0
	v_and_b32_e32 v5, 63, v2
	v_add_co_u32_e32 v8, vcc, s18, v4
	v_addc_co_u32_e64 v9, s[20:21], 0, 0, vcc
	v_add_co_u32_e32 v4, vcc, v8, v5
	v_cmp_gt_u32_e64 s[0:1], 16, v5
	v_mbcnt_hi_u32_b32 v6, -1, v12
	v_addc_co_u32_e32 v5, vcc, 0, v9, vcc
	v_mul_lo_u32 v11, s11, v8
	v_mul_lo_u32 v15, s10, v9
	v_mad_u64_u32 v[8:9], s[20:21], s10, v8, 0
	v_lshlrev_b32_e32 v6, 2, v6
	v_and_b32_e32 v13, 0x100, v6
	v_lshlrev_b64 v[6:7], 2, v[4:5]
	v_mov_b32_e32 v3, 0
	v_lshl_add_u32 v2, s6, 6, v0
	v_mov_b32_e32 v10, s3
	v_add_co_u32_e32 v6, vcc, s2, v6
	v_add3_u32 v9, v9, v15, v11
	v_addc_co_u32_e32 v7, vcc, v10, v7, vcc
	v_lshlrev_b64 v[8:9], 2, v[8:9]
	v_lshlrev_b64 v[10:11], 2, v[2:3]
	s_lshl_b32 s4, s7, 8
	s_mul_i32 s2, s11, s4
	s_mul_hi_u32 s3, s10, s4
	s_mov_b32 s5, 0
	v_add_co_u32_e32 v2, vcc, v8, v10
	s_add_i32 s3, s3, s2
	s_mul_i32 s2, s10, s4
	v_or_b32_e32 v14, 20, v13
	v_addc_co_u32_e32 v15, vcc, v9, v11, vcc
	v_or_b32_e32 v16, 24, v13
	v_or_b32_e32 v17, 28, v13
	;; [unrolled: 1-line block ×3, first 2 shown]
	s_lshl_b64 s[20:21], s[4:5], 2
	s_lshl_b64 s[22:23], s[2:3], 2
	;; [unrolled: 1-line block ×3, first 2 shown]
	v_or_b32_e32 v19, 36, v13
	v_or_b32_e32 v20, 40, v13
	v_or_b32_e32 v21, 44, v13
	v_or_b32_e32 v22, 48, v13
	v_or_b32_e32 v23, 52, v13
	v_or_b32_e32 v24, 56, v13
	v_or_b32_e32 v25, 60, v13
	s_branch .LBB150_7
.LBB150_5:                              ;   in Loop: Header=BB150_7 Depth=1
	s_or_b64 exec, exec, s[24:25]
.LBB150_6:                              ;   in Loop: Header=BB150_7 Depth=1
	s_or_b64 exec, exec, s[2:3]
	v_mov_b32_e32 v8, s13
	v_add_co_u32_e32 v10, vcc, s12, v2
	v_addc_co_u32_e32 v11, vcc, v8, v15, vcc
	v_mov_b32_e32 v27, s11
	v_add_co_u32_e32 v8, vcc, s10, v10
	v_addc_co_u32_e32 v9, vcc, v11, v27, vcc
	global_load_dword v28, v[10:11], off
	v_mov_b32_e32 v10, s15
	v_add_co_u32_e32 v29, vcc, s14, v2
	v_addc_co_u32_e32 v30, vcc, v10, v15, vcc
	v_add_co_u32_e32 v10, vcc, s10, v29
	global_load_dword v29, v[29:30], off
	v_addc_co_u32_e32 v11, vcc, v30, v27, vcc
	global_load_dword v30, v[8:9], off
	s_add_u32 s18, s18, s4
	s_addc_u32 s19, s19, 0
	v_add_co_u32_e64 v6, s[2:3], s20, v6
	s_waitcnt vmcnt(1)
	v_mul_f32_e32 v28, v28, v29
	ds_bpermute_b32 v29, v13, v26
	s_waitcnt lgkmcnt(0)
	v_fmac_f32_e32 v3, v28, v29
	v_add_co_u32_e32 v28, vcc, s10, v8
	v_addc_co_u32_e32 v29, vcc, v9, v27, vcc
	v_add_co_u32_e32 v8, vcc, s10, v10
	global_load_dword v10, v[10:11], off
	v_addc_co_u32_e32 v9, vcc, v11, v27, vcc
	v_or_b32_e32 v11, 4, v13
	ds_bpermute_b32 v11, v11, v26
	s_waitcnt vmcnt(0)
	v_mul_f32_e32 v10, v30, v10
	s_waitcnt lgkmcnt(0)
	v_fmac_f32_e32 v3, v10, v11
	v_add_co_u32_e32 v10, vcc, s10, v28
	v_addc_co_u32_e32 v11, vcc, v29, v27, vcc
	global_load_dword v30, v[28:29], off
	v_add_co_u32_e32 v28, vcc, s10, v8
	global_load_dword v8, v[8:9], off
	v_addc_co_u32_e32 v29, vcc, v9, v27, vcc
	v_or_b32_e32 v9, 8, v13
	ds_bpermute_b32 v9, v9, v26
	s_waitcnt vmcnt(0)
	v_mul_f32_e32 v8, v30, v8
	s_waitcnt lgkmcnt(0)
	v_fmac_f32_e32 v3, v8, v9
	v_add_co_u32_e32 v8, vcc, s10, v10
	v_addc_co_u32_e32 v9, vcc, v11, v27, vcc
	global_load_dword v30, v[10:11], off
	;; [unrolled: 12-line block ×4, first 2 shown]
	v_add_co_u32_e32 v28, vcc, s10, v8
	global_load_dword v8, v[8:9], off
	v_addc_co_u32_e32 v29, vcc, v9, v27, vcc
	ds_bpermute_b32 v9, v14, v26
	s_waitcnt vmcnt(0)
	v_mul_f32_e32 v8, v30, v8
	s_waitcnt lgkmcnt(0)
	v_fmac_f32_e32 v3, v8, v9
	v_add_co_u32_e32 v8, vcc, s10, v10
	v_addc_co_u32_e32 v9, vcc, v11, v27, vcc
	global_load_dword v30, v[10:11], off
	v_add_co_u32_e32 v10, vcc, s10, v28
	global_load_dword v28, v[28:29], off
	v_addc_co_u32_e32 v11, vcc, v29, v27, vcc
	ds_bpermute_b32 v29, v16, v26
	s_waitcnt vmcnt(0)
	v_mul_f32_e32 v28, v30, v28
	s_waitcnt lgkmcnt(0)
	v_fmac_f32_e32 v3, v28, v29
	v_add_co_u32_e32 v28, vcc, s10, v8
	v_addc_co_u32_e32 v29, vcc, v9, v27, vcc
	global_load_dword v30, v[8:9], off
	;; [unrolled: 11-line block ×9, first 2 shown]
	v_add_co_u32_e32 v28, vcc, s10, v8
	global_load_dword v8, v[8:9], off
	v_addc_co_u32_e32 v29, vcc, v9, v27, vcc
	ds_bpermute_b32 v9, v24, v26
	s_waitcnt vmcnt(0)
	v_mul_f32_e32 v8, v30, v8
	s_waitcnt lgkmcnt(0)
	v_fmac_f32_e32 v3, v8, v9
	global_load_dword v8, v[10:11], off
	global_load_dword v9, v[28:29], off
	s_waitcnt vmcnt(0)
	v_mul_f32_e32 v8, v8, v9
	ds_bpermute_b32 v9, v25, v26
	s_waitcnt lgkmcnt(0)
	v_fmac_f32_e32 v3, v8, v9
	v_mov_b32_e32 v8, s8
	v_mov_b32_e32 v9, s9
	v_cmp_lt_i64_e32 vcc, s[18:19], v[8:9]
	v_mov_b32_e32 v8, s21
	v_addc_co_u32_e64 v7, s[2:3], v7, v8, s[2:3]
	v_add_co_u32_e64 v2, s[2:3], s22, v2
	v_mov_b32_e32 v8, s23
	v_addc_co_u32_e64 v15, s[2:3], v15, v8, s[2:3]
	v_add_co_u32_e64 v4, s[2:3], s4, v4
	v_addc_co_u32_e64 v5, s[2:3], 0, v5, s[2:3]
	s_cbranch_vccz .LBB150_10
.LBB150_7:                              ; =>This Inner Loop Header: Depth=1
	v_mov_b32_e32 v26, 0
	s_and_saveexec_b64 s[2:3], s[0:1]
	s_cbranch_execz .LBB150_6
; %bb.8:                                ;   in Loop: Header=BB150_7 Depth=1
	v_cmp_gt_i64_e32 vcc, s[8:9], v[4:5]
	v_mov_b32_e32 v26, 0
	s_and_saveexec_b64 s[24:25], vcc
	s_cbranch_execz .LBB150_5
; %bb.9:                                ;   in Loop: Header=BB150_7 Depth=1
	global_load_dword v26, v[6:7], off
	s_branch .LBB150_5
.LBB150_10:
	s_movk_i32 s0, 0x41
	v_mad_u32_u24 v2, v1, s0, v0
	v_lshl_add_u32 v2, v2, 2, 0
	ds_write_b32 v2, v3
	v_mov_b32_e32 v3, 0
	ds_write_b32 v2, v3 offset:4160
	v_lshrrev_b32_e32 v2, 6, v0
	v_add_u32_e32 v1, v2, v1
	v_cmp_gt_u32_e32 vcc, 64, v1
	s_waitcnt lgkmcnt(0)
	s_barrier
	s_and_saveexec_b64 s[0:1], vcc
	s_cbranch_execz .LBB150_30
; %bb.11:
	v_and_b32_e32 v2, 63, v0
	v_cmp_gt_u32_e32 vcc, 16, v2
	v_mul_u32_u24_e32 v3, 0x41, v2
                                        ; implicit-def: $vgpr2
	s_and_saveexec_b64 s[0:1], vcc
; %bb.12:
	v_lshlrev_b32_e32 v2, 2, v1
	v_lshlrev_b32_e32 v4, 2, v3
	v_add3_u32 v2, 0, v2, v4
	ds_read_b32 v2, v2
; %bb.13:
	s_or_b64 exec, exec, s[0:1]
	v_mbcnt_hi_u32_b32 v7, -1, v12
	v_and_b32_e32 v4, 64, v7
	v_add_u32_e32 v8, 64, v4
	v_xor_b32_e32 v4, 8, v7
	v_cmp_lt_i32_e64 s[0:1], v4, v8
	v_cndmask_b32_e64 v4, v7, v4, s[0:1]
	v_lshlrev_b32_e32 v4, 2, v4
	s_waitcnt lgkmcnt(0)
	ds_bpermute_b32 v5, v4, v2
	v_xor_b32_e32 v6, 4, v7
	v_cmp_lt_i32_e64 s[0:1], v6, v8
	v_xor_b32_e32 v9, 2, v7
	s_cmp_lg_u64 s[16:17], 0
	s_waitcnt lgkmcnt(0)
	v_add_f32_e32 v2, v2, v5
	v_cndmask_b32_e64 v5, v7, v6, s[0:1]
	v_lshlrev_b32_e32 v5, 2, v5
	ds_bpermute_b32 v6, v5, v2
	v_cmp_lt_i32_e64 s[0:1], v9, v8
	s_mov_b32 s7, 0
	s_cselect_b64 s[4:5], -1, 0
	s_waitcnt lgkmcnt(0)
	v_add_f32_e32 v2, v2, v6
	v_cndmask_b32_e64 v6, v7, v9, s[0:1]
	v_lshlrev_b32_e32 v6, 2, v6
	ds_bpermute_b32 v9, v6, v2
	v_cmp_eq_u32_e64 s[0:1], 0, v0
	v_xor_b32_e32 v0, 1, v7
	v_cmp_lt_i32_e64 s[2:3], v0, v8
	v_cndmask_b32_e64 v0, v7, v0, s[2:3]
	s_waitcnt lgkmcnt(0)
	v_add_f32_e32 v2, v2, v9
	v_lshlrev_b32_e32 v0, 2, v0
	ds_bpermute_b32 v7, v0, v2
	s_and_b64 s[2:3], s[0:1], s[4:5]
	s_lshl_b64 s[0:1], s[6:7], 8
	s_add_u32 s6, s16, s0
	s_addc_u32 s7, s17, s1
	s_waitcnt lgkmcnt(0)
	v_add_f32_e32 v7, v2, v7
	s_and_saveexec_b64 s[4:5], s[2:3]
	s_cbranch_execz .LBB150_15
; %bb.14:
	v_mov_b32_e32 v2, 0
	v_lshlrev_b64 v[8:9], 2, v[1:2]
	v_mov_b32_e32 v2, s7
	v_add_co_u32_e64 v8, s[0:1], s6, v8
	v_addc_co_u32_e64 v9, s[0:1], v2, v9, s[0:1]
	global_store_dword v[8:9], v7, off
.LBB150_15:
	s_or_b64 exec, exec, s[4:5]
	v_cmp_gt_u32_e64 s[0:1], 48, v1
	s_and_b64 exec, exec, s[0:1]
	s_cbranch_execz .LBB150_30
; %bb.16:
	s_and_saveexec_b64 s[0:1], vcc
; %bb.17:
	v_lshlrev_b32_e32 v2, 2, v1
	v_lshlrev_b32_e32 v7, 2, v3
	v_add3_u32 v2, 0, v2, v7
	ds_read_b32 v7, v2 offset:64
; %bb.18:
	s_or_b64 exec, exec, s[0:1]
	s_waitcnt lgkmcnt(0)
	ds_bpermute_b32 v2, v4, v7
	s_waitcnt lgkmcnt(0)
	v_add_f32_e32 v2, v7, v2
	ds_bpermute_b32 v7, v5, v2
	s_waitcnt lgkmcnt(0)
	v_add_f32_e32 v2, v2, v7
	;; [unrolled: 3-line block ×4, first 2 shown]
	s_and_saveexec_b64 s[4:5], s[2:3]
	s_cbranch_execz .LBB150_20
; %bb.19:
	v_mov_b32_e32 v2, 0
	v_lshlrev_b64 v[8:9], 2, v[1:2]
	v_mov_b32_e32 v2, s7
	v_add_co_u32_e64 v8, s[0:1], s6, v8
	v_addc_co_u32_e64 v9, s[0:1], v2, v9, s[0:1]
	global_store_dword v[8:9], v7, off offset:64
.LBB150_20:
	s_or_b64 exec, exec, s[4:5]
	v_cmp_gt_u32_e64 s[0:1], 32, v1
	s_and_b64 exec, exec, s[0:1]
	s_cbranch_execz .LBB150_30
; %bb.21:
	s_and_saveexec_b64 s[0:1], vcc
; %bb.22:
	v_lshlrev_b32_e32 v2, 2, v1
	v_lshlrev_b32_e32 v7, 2, v3
	v_add3_u32 v2, 0, v2, v7
	ds_read_b32 v7, v2 offset:128
; %bb.23:
	s_or_b64 exec, exec, s[0:1]
	s_waitcnt lgkmcnt(0)
	ds_bpermute_b32 v2, v4, v7
	s_waitcnt lgkmcnt(0)
	v_add_f32_e32 v2, v7, v2
	ds_bpermute_b32 v7, v5, v2
	s_waitcnt lgkmcnt(0)
	v_add_f32_e32 v2, v2, v7
	ds_bpermute_b32 v7, v6, v2
	s_waitcnt lgkmcnt(0)
	v_add_f32_e32 v2, v2, v7
	ds_bpermute_b32 v7, v0, v2
	s_waitcnt lgkmcnt(0)
	v_add_f32_e32 v7, v2, v7
	s_and_saveexec_b64 s[4:5], s[2:3]
	s_cbranch_execz .LBB150_25
; %bb.24:
	v_mov_b32_e32 v2, 0
	v_lshlrev_b64 v[8:9], 2, v[1:2]
	v_mov_b32_e32 v2, s7
	v_add_co_u32_e64 v8, s[0:1], s6, v8
	v_addc_co_u32_e64 v9, s[0:1], v2, v9, s[0:1]
	global_store_dword v[8:9], v7, off offset:128
.LBB150_25:
	s_or_b64 exec, exec, s[4:5]
	v_cmp_gt_u32_e64 s[0:1], 16, v1
	s_and_b64 exec, exec, s[0:1]
	s_cbranch_execz .LBB150_30
; %bb.26:
	s_and_saveexec_b64 s[0:1], vcc
; %bb.27:
	v_lshlrev_b32_e32 v2, 2, v1
	v_lshlrev_b32_e32 v3, 2, v3
	v_add3_u32 v2, 0, v2, v3
	ds_read_b32 v7, v2 offset:192
; %bb.28:
	s_or_b64 exec, exec, s[0:1]
	s_waitcnt lgkmcnt(0)
	ds_bpermute_b32 v2, v4, v7
	s_waitcnt lgkmcnt(0)
	v_add_f32_e32 v2, v7, v2
	ds_bpermute_b32 v3, v5, v2
	s_waitcnt lgkmcnt(0)
	v_add_f32_e32 v2, v2, v3
	;; [unrolled: 3-line block ×3, first 2 shown]
	ds_bpermute_b32 v0, v0, v2
	s_and_saveexec_b64 s[0:1], s[2:3]
	s_xor_b64 s[0:1], exec, s[0:1]
	s_cbranch_execz .LBB150_30
; %bb.29:
	s_waitcnt lgkmcnt(0)
	v_add_f32_e32 v3, v2, v0
	v_mov_b32_e32 v2, 0
	v_lshlrev_b64 v[0:1], 2, v[1:2]
	v_mov_b32_e32 v2, s7
	v_add_co_u32_e32 v0, vcc, s6, v0
	v_addc_co_u32_e32 v1, vcc, v2, v1, vcc
	global_store_dword v[0:1], v3, off offset:192
.LBB150_30:
	s_endpgm
	.section	.rodata,"a",@progbits
	.p2align	6, 0x0
	.amdhsa_kernel _ZN2at6native12_GLOBAL__N_135GammaBetaBackwardCUDAKernelTemplateIffLj64ELj16ELj256ELb0ELb1ELb1EEEvllPKT_S5_PKT0_S8_PS3_S9_
		.amdhsa_group_segment_fixed_size 0
		.amdhsa_private_segment_fixed_size 0
		.amdhsa_kernarg_size 320
		.amdhsa_user_sgpr_count 6
		.amdhsa_user_sgpr_private_segment_buffer 1
		.amdhsa_user_sgpr_dispatch_ptr 0
		.amdhsa_user_sgpr_queue_ptr 0
		.amdhsa_user_sgpr_kernarg_segment_ptr 1
		.amdhsa_user_sgpr_dispatch_id 0
		.amdhsa_user_sgpr_flat_scratch_init 0
		.amdhsa_user_sgpr_private_segment_size 0
		.amdhsa_uses_dynamic_stack 0
		.amdhsa_system_sgpr_private_segment_wavefront_offset 0
		.amdhsa_system_sgpr_workgroup_id_x 1
		.amdhsa_system_sgpr_workgroup_id_y 1
		.amdhsa_system_sgpr_workgroup_id_z 0
		.amdhsa_system_sgpr_workgroup_info 0
		.amdhsa_system_vgpr_workitem_id 1
		.amdhsa_next_free_vgpr 31
		.amdhsa_next_free_sgpr 26
		.amdhsa_reserve_vcc 1
		.amdhsa_reserve_flat_scratch 0
		.amdhsa_float_round_mode_32 0
		.amdhsa_float_round_mode_16_64 0
		.amdhsa_float_denorm_mode_32 3
		.amdhsa_float_denorm_mode_16_64 3
		.amdhsa_dx10_clamp 1
		.amdhsa_ieee_mode 1
		.amdhsa_fp16_overflow 0
		.amdhsa_exception_fp_ieee_invalid_op 0
		.amdhsa_exception_fp_denorm_src 0
		.amdhsa_exception_fp_ieee_div_zero 0
		.amdhsa_exception_fp_ieee_overflow 0
		.amdhsa_exception_fp_ieee_underflow 0
		.amdhsa_exception_fp_ieee_inexact 0
		.amdhsa_exception_int_div_zero 0
	.end_amdhsa_kernel
	.section	.text._ZN2at6native12_GLOBAL__N_135GammaBetaBackwardCUDAKernelTemplateIffLj64ELj16ELj256ELb0ELb1ELb1EEEvllPKT_S5_PKT0_S8_PS3_S9_,"axG",@progbits,_ZN2at6native12_GLOBAL__N_135GammaBetaBackwardCUDAKernelTemplateIffLj64ELj16ELj256ELb0ELb1ELb1EEEvllPKT_S5_PKT0_S8_PS3_S9_,comdat
.Lfunc_end150:
	.size	_ZN2at6native12_GLOBAL__N_135GammaBetaBackwardCUDAKernelTemplateIffLj64ELj16ELj256ELb0ELb1ELb1EEEvllPKT_S5_PKT0_S8_PS3_S9_, .Lfunc_end150-_ZN2at6native12_GLOBAL__N_135GammaBetaBackwardCUDAKernelTemplateIffLj64ELj16ELj256ELb0ELb1ELb1EEEvllPKT_S5_PKT0_S8_PS3_S9_
                                        ; -- End function
	.set _ZN2at6native12_GLOBAL__N_135GammaBetaBackwardCUDAKernelTemplateIffLj64ELj16ELj256ELb0ELb1ELb1EEEvllPKT_S5_PKT0_S8_PS3_S9_.num_vgpr, 31
	.set _ZN2at6native12_GLOBAL__N_135GammaBetaBackwardCUDAKernelTemplateIffLj64ELj16ELj256ELb0ELb1ELb1EEEvllPKT_S5_PKT0_S8_PS3_S9_.num_agpr, 0
	.set _ZN2at6native12_GLOBAL__N_135GammaBetaBackwardCUDAKernelTemplateIffLj64ELj16ELj256ELb0ELb1ELb1EEEvllPKT_S5_PKT0_S8_PS3_S9_.numbered_sgpr, 26
	.set _ZN2at6native12_GLOBAL__N_135GammaBetaBackwardCUDAKernelTemplateIffLj64ELj16ELj256ELb0ELb1ELb1EEEvllPKT_S5_PKT0_S8_PS3_S9_.num_named_barrier, 0
	.set _ZN2at6native12_GLOBAL__N_135GammaBetaBackwardCUDAKernelTemplateIffLj64ELj16ELj256ELb0ELb1ELb1EEEvllPKT_S5_PKT0_S8_PS3_S9_.private_seg_size, 0
	.set _ZN2at6native12_GLOBAL__N_135GammaBetaBackwardCUDAKernelTemplateIffLj64ELj16ELj256ELb0ELb1ELb1EEEvllPKT_S5_PKT0_S8_PS3_S9_.uses_vcc, 1
	.set _ZN2at6native12_GLOBAL__N_135GammaBetaBackwardCUDAKernelTemplateIffLj64ELj16ELj256ELb0ELb1ELb1EEEvllPKT_S5_PKT0_S8_PS3_S9_.uses_flat_scratch, 0
	.set _ZN2at6native12_GLOBAL__N_135GammaBetaBackwardCUDAKernelTemplateIffLj64ELj16ELj256ELb0ELb1ELb1EEEvllPKT_S5_PKT0_S8_PS3_S9_.has_dyn_sized_stack, 0
	.set _ZN2at6native12_GLOBAL__N_135GammaBetaBackwardCUDAKernelTemplateIffLj64ELj16ELj256ELb0ELb1ELb1EEEvllPKT_S5_PKT0_S8_PS3_S9_.has_recursion, 0
	.set _ZN2at6native12_GLOBAL__N_135GammaBetaBackwardCUDAKernelTemplateIffLj64ELj16ELj256ELb0ELb1ELb1EEEvllPKT_S5_PKT0_S8_PS3_S9_.has_indirect_call, 0
	.section	.AMDGPU.csdata,"",@progbits
; Kernel info:
; codeLenInByte = 2292
; TotalNumSgprs: 30
; NumVgprs: 31
; ScratchSize: 0
; MemoryBound: 0
; FloatMode: 240
; IeeeMode: 1
; LDSByteSize: 0 bytes/workgroup (compile time only)
; SGPRBlocks: 3
; VGPRBlocks: 7
; NumSGPRsForWavesPerEU: 30
; NumVGPRsForWavesPerEU: 31
; Occupancy: 8
; WaveLimiterHint : 0
; COMPUTE_PGM_RSRC2:SCRATCH_EN: 0
; COMPUTE_PGM_RSRC2:USER_SGPR: 6
; COMPUTE_PGM_RSRC2:TRAP_HANDLER: 0
; COMPUTE_PGM_RSRC2:TGID_X_EN: 1
; COMPUTE_PGM_RSRC2:TGID_Y_EN: 1
; COMPUTE_PGM_RSRC2:TGID_Z_EN: 0
; COMPUTE_PGM_RSRC2:TIDIG_COMP_CNT: 1
	.section	.text._ZN2at6native12_GLOBAL__N_135GammaBetaBackwardCUDAKernelTemplateIffLj64ELj16ELj256ELb0ELb0ELb1EEEvllPKT_S5_PKT0_S8_PS3_S9_,"axG",@progbits,_ZN2at6native12_GLOBAL__N_135GammaBetaBackwardCUDAKernelTemplateIffLj64ELj16ELj256ELb0ELb0ELb1EEEvllPKT_S5_PKT0_S8_PS3_S9_,comdat
	.globl	_ZN2at6native12_GLOBAL__N_135GammaBetaBackwardCUDAKernelTemplateIffLj64ELj16ELj256ELb0ELb0ELb1EEEvllPKT_S5_PKT0_S8_PS3_S9_ ; -- Begin function _ZN2at6native12_GLOBAL__N_135GammaBetaBackwardCUDAKernelTemplateIffLj64ELj16ELj256ELb0ELb0ELb1EEEvllPKT_S5_PKT0_S8_PS3_S9_
	.p2align	8
	.type	_ZN2at6native12_GLOBAL__N_135GammaBetaBackwardCUDAKernelTemplateIffLj64ELj16ELj256ELb0ELb0ELb1EEEvllPKT_S5_PKT0_S8_PS3_S9_,@function
_ZN2at6native12_GLOBAL__N_135GammaBetaBackwardCUDAKernelTemplateIffLj64ELj16ELj256ELb0ELb0ELb1EEEvllPKT_S5_PKT0_S8_PS3_S9_: ; @_ZN2at6native12_GLOBAL__N_135GammaBetaBackwardCUDAKernelTemplateIffLj64ELj16ELj256ELb0ELb0ELb1EEEvllPKT_S5_PKT0_S8_PS3_S9_
; %bb.0:
	s_mov_b64 s[38:39], s[2:3]
	s_mov_b64 s[36:37], s[0:1]
	s_add_u32 s36, s36, s8
	s_addc_u32 s37, s37, 0
	buffer_store_dword v1, off, s[36:39], 0 offset:208 ; 4-byte Folded Spill
	s_load_dwordx8 s[12:19], s[4:5], 0x0
	s_load_dwordx2 s[10:11], s[4:5], 0x28
	s_lshl_b32 s20, s7, 8
	v_mov_b32_e32 v42, v0
	s_lshl_b32 s33, s6, 6
	s_mov_b32 s21, 0
	v_mov_b32_e32 v0, s20
	s_or_b32 s0, s33, 63
	v_mov_b32_e32 v1, s21
	v_mov_b32_e32 v35, s0
	;; [unrolled: 1-line block ×3, first 2 shown]
	s_waitcnt lgkmcnt(0)
	v_cmp_gt_i64_e64 s[0:1], s[12:13], v[0:1]
	v_cmp_le_i64_e32 vcc, s[14:15], v[35:36]
	v_cndmask_b32_e64 v0, 0, 1, s[0:1]
	v_cmp_ne_u32_e64 s[0:1], 1, v0
	s_cbranch_vccz .LBB151_81
; %bb.1:
	s_and_b64 vcc, exec, s[0:1]
	s_cbranch_vccnz .LBB151_83
; %bb.2:
	buffer_load_dword v0, off, s[36:39], 0 offset:208 ; 4-byte Folded Reload
	v_mov_b32_e32 v6, s17
	v_mov_b32_e32 v8, s19
	s_load_dword s7, s[4:5], 0x44
	s_add_u32 s22, s4, 64
	s_addc_u32 s23, s5, 0
	buffer_store_dword v42, off, s[36:39], 0 offset:224 ; 4-byte Folded Spill
	s_mov_b64 s[28:29], s[20:21]
	s_waitcnt lgkmcnt(0)
	s_lshl_b32 s7, s7, 8
	s_mul_i32 s8, s15, s7
	s_mul_hi_u32 s9, s14, s7
	s_add_i32 s9, s9, s8
	s_mul_i32 s8, s14, s7
	s_lshl_b64 s[24:25], s[8:9], 2
	s_add_u32 s26, s20, 0xff
	s_addc_u32 s27, 0, 0
	s_waitcnt vmcnt(1)
	v_lshlrev_b32_e32 v59, 4, v0
	v_add_co_u32_e32 v2, vcc, s20, v59
	v_addc_co_u32_e64 v3, s[2:3], 0, 0, vcc
	v_mul_lo_u32 v4, s15, v2
	v_mul_lo_u32 v5, s14, v3
	v_mad_u64_u32 v[0:1], s[2:3], s14, v2, 0
	buffer_store_dword v59, off, s[36:39], 0 offset:228 ; 4-byte Folded Spill
	v_add3_u32 v1, v1, v5, v4
	v_lshlrev_b64 v[4:5], 2, v[0:1]
	v_add_co_u32_e32 v7, vcc, s16, v4
	v_addc_co_u32_e32 v6, vcc, v6, v5, vcc
	buffer_store_dword v6, off, s[36:39], 0 offset:4 ; 4-byte Folded Spill
	v_add_co_u32_e32 v6, vcc, 15, v2
	buffer_store_dword v7, off, s[36:39], 0 ; 4-byte Folded Spill
	v_addc_co_u32_e32 v7, vcc, 0, v3, vcc
	v_mul_lo_u32 v9, s15, v6
	v_mul_lo_u32 v10, s14, v7
	v_mad_u64_u32 v[6:7], s[2:3], s14, v6, 0
	v_add_co_u32_e32 v4, vcc, s18, v4
	buffer_store_dword v4, off, s[36:39], 0 offset:8 ; 4-byte Folded Spill
	v_addc_co_u32_e32 v4, vcc, v8, v5, vcc
	v_add3_u32 v7, v7, v10, v9
	buffer_store_dword v4, off, s[36:39], 0 offset:12 ; 4-byte Folded Spill
	v_lshlrev_b64 v[4:5], 2, v[6:7]
	v_mov_b32_e32 v6, s17
	v_add_co_u32_e32 v7, vcc, s16, v4
	v_addc_co_u32_e32 v6, vcc, v6, v5, vcc
	buffer_store_dword v6, off, s[36:39], 0 offset:24 ; 4-byte Folded Spill
	v_add_co_u32_e32 v6, vcc, 14, v2
	buffer_store_dword v7, off, s[36:39], 0 offset:16 ; 4-byte Folded Spill
	v_addc_co_u32_e32 v7, vcc, 0, v3, vcc
	v_mul_lo_u32 v9, s15, v6
	v_mul_lo_u32 v10, s14, v7
	v_mad_u64_u32 v[6:7], s[2:3], s14, v6, 0
	v_add_co_u32_e32 v4, vcc, s18, v4
	buffer_store_dword v4, off, s[36:39], 0 offset:32 ; 4-byte Folded Spill
	v_addc_co_u32_e32 v4, vcc, v8, v5, vcc
	v_add3_u32 v7, v7, v10, v9
	buffer_store_dword v4, off, s[36:39], 0 offset:40 ; 4-byte Folded Spill
	v_lshlrev_b64 v[4:5], 2, v[6:7]
	v_mov_b32_e32 v6, s17
	v_add_co_u32_e32 v7, vcc, s16, v4
	v_addc_co_u32_e32 v6, vcc, v6, v5, vcc
	buffer_store_dword v6, off, s[36:39], 0 offset:56 ; 4-byte Folded Spill
	v_add_co_u32_e32 v6, vcc, 13, v2
	buffer_store_dword v7, off, s[36:39], 0 offset:48 ; 4-byte Folded Spill
	;; [unrolled: 16-line block ×9, first 2 shown]
	v_addc_co_u32_e32 v7, vcc, 0, v3, vcc
	v_mul_lo_u32 v9, s15, v6
	v_mul_lo_u32 v10, s14, v7
	v_mad_u64_u32 v[6:7], s[2:3], s14, v6, 0
	v_add_co_u32_e32 v4, vcc, s18, v4
	buffer_store_dword v4, off, s[36:39], 0 offset:200 ; 4-byte Folded Spill
	v_addc_co_u32_e32 v4, vcc, v8, v5, vcc
	v_add3_u32 v7, v7, v10, v9
	buffer_store_dword v4, off, s[36:39], 0 offset:204 ; 4-byte Folded Spill
	v_lshlrev_b64 v[4:5], 2, v[6:7]
	v_mov_b32_e32 v6, s17
	v_add_co_u32_e32 v61, vcc, s16, v4
	v_addc_co_u32_e32 v62, vcc, v6, v5, vcc
	v_add_co_u32_e32 v6, vcc, 5, v2
	v_addc_co_u32_e32 v7, vcc, 0, v3, vcc
	v_mul_lo_u32 v9, s15, v6
	v_mul_lo_u32 v10, s14, v7
	v_mad_u64_u32 v[6:7], s[2:3], s14, v6, 0
	v_add_co_u32_e32 v63, vcc, s18, v4
	v_add3_u32 v7, v7, v10, v9
	v_addc_co_u32_e32 v19, vcc, v8, v5, vcc
	v_lshlrev_b64 v[4:5], 2, v[6:7]
	v_mov_b32_e32 v6, s17
	v_add_co_u32_e32 v20, vcc, s16, v4
	v_addc_co_u32_e32 v21, vcc, v6, v5, vcc
	v_mov_b32_e32 v6, s19
	v_add_co_u32_e32 v22, vcc, s18, v4
	v_addc_co_u32_e32 v23, vcc, v6, v5, vcc
	v_add_co_u32_e32 v4, vcc, 4, v2
	v_addc_co_u32_e32 v5, vcc, 0, v3, vcc
	v_mul_lo_u32 v6, s15, v4
	v_mul_lo_u32 v7, s14, v5
	v_mad_u64_u32 v[4:5], s[2:3], s14, v4, 0
	v_add_co_u32_e32 v0, vcc, s14, v0
	v_add3_u32 v5, v5, v7, v6
	v_lshlrev_b64 v[4:5], 2, v[4:5]
	v_mov_b32_e32 v6, s15
	v_addc_co_u32_e32 v1, vcc, v1, v6, vcc
	v_mov_b32_e32 v6, s17
	v_add_co_u32_e32 v24, vcc, s16, v4
	v_addc_co_u32_e32 v25, vcc, v6, v5, vcc
	v_mov_b32_e32 v6, s19
	v_add_co_u32_e32 v26, vcc, s18, v4
	v_addc_co_u32_e32 v27, vcc, v6, v5, vcc
	v_add_co_u32_e32 v4, vcc, 3, v2
	v_addc_co_u32_e32 v5, vcc, 0, v3, vcc
	v_mul_lo_u32 v6, s14, v5
	v_mul_lo_u32 v7, s15, v4
	v_mad_u64_u32 v[4:5], s[2:3], s14, v4, 0
	v_lshlrev_b64 v[0:1], 2, v[0:1]
	v_add3_u32 v5, v5, v6, v7
	v_lshlrev_b64 v[4:5], 2, v[4:5]
	v_mov_b32_e32 v6, s17
	v_add_co_u32_e32 v28, vcc, s16, v4
	v_addc_co_u32_e32 v29, vcc, v6, v5, vcc
	v_mov_b32_e32 v6, s19
	v_add_co_u32_e32 v30, vcc, s18, v4
	v_addc_co_u32_e32 v31, vcc, v6, v5, vcc
	v_add_co_u32_e32 v2, vcc, 2, v2
	v_addc_co_u32_e32 v3, vcc, 0, v3, vcc
	v_mul_lo_u32 v4, s14, v3
	v_mul_lo_u32 v5, s15, v2
	v_mad_u64_u32 v[2:3], s[2:3], s14, v2, 0
	v_add3_u32 v3, v3, v4, v5
	v_lshlrev_b64 v[2:3], 2, v[2:3]
	v_mov_b32_e32 v4, s17
	v_add_co_u32_e32 v32, vcc, s16, v2
	v_addc_co_u32_e32 v33, vcc, v4, v3, vcc
	v_mov_b32_e32 v4, s19
	v_add_co_u32_e32 v34, vcc, s18, v2
	v_addc_co_u32_e32 v35, vcc, v4, v3, vcc
	v_mov_b32_e32 v2, s17
	v_add_co_u32_e32 v37, vcc, s16, v0
	v_addc_co_u32_e32 v38, vcc, v2, v1, vcc
	v_mov_b32_e32 v2, s19
	v_add_co_u32_e32 v39, vcc, s18, v0
	v_addc_co_u32_e32 v40, vcc, v2, v1, vcc
	v_mov_b32_e32 v2, 0
	v_mbcnt_lo_u32_b32 v3, -1, 0
	v_add_u32_e32 v0, s33, v42
	v_mov_b32_e32 v1, v2
	v_mbcnt_hi_u32_b32 v3, -1, v3
	v_cmp_gt_i64_e64 s[2:3], s[14:15], v[0:1]
	v_lshlrev_b64 v[0:1], 2, v[0:1]
	v_lshlrev_b32_e32 v3, 2, v3
	v_and_b32_e32 v41, 0x100, v3
	v_mov_b32_e32 v42, 0
.LBB151_3:                              ; =>This Inner Loop Header: Depth=1
	v_mov_b32_e32 v3, s12
	v_mov_b32_e32 v4, s13
	v_cmp_ge_i64_e32 vcc, s[26:27], v[3:4]
	v_mov_b32_e32 v3, s27
	v_add_co_u32_e64 v43, s[8:9], s26, v59
	v_addc_co_u32_e64 v44, s[8:9], 0, v3, s[8:9]
	s_mov_b64 s[8:9], -1
	s_and_b64 vcc, exec, vcc
                                        ; implicit-def: $vgpr3_vgpr4_vgpr5_vgpr6_vgpr7_vgpr8_vgpr9_vgpr10_vgpr11_vgpr12_vgpr13_vgpr14_vgpr15_vgpr16_vgpr17_vgpr18
                                        ; implicit-def: $vgpr36
                                        ; implicit-def: $vgpr46
                                        ; implicit-def: $vgpr3
	s_cbranch_vccz .LBB151_41
; %bb.4:                                ;   in Loop: Header=BB151_3 Depth=1
	s_load_dword s8, s[22:23], 0xc
	buffer_load_dword v3, off, s[36:39], 0 offset:224 ; 4-byte Folded Reload
	buffer_load_dword v4, off, s[36:39], 0 offset:208 ; 4-byte Folded Reload
	v_mov_b32_e32 v36, 0
	v_mov_b32_e32 v45, 0
	s_waitcnt lgkmcnt(0)
	s_and_b32 s8, s8, 0xffff
	s_waitcnt vmcnt(0)
	v_mad_u32_u24 v3, v4, s8, v3
	v_and_b32_e32 v3, 63, v3
	v_cmp_gt_u32_e32 vcc, 16, v3
	s_and_saveexec_b64 s[8:9], vcc
	s_cbranch_execz .LBB151_8
; %bb.5:                                ;   in Loop: Header=BB151_3 Depth=1
	v_add_co_u32_e32 v3, vcc, v43, v3
	v_addc_co_u32_e32 v4, vcc, 0, v44, vcc
	v_add_co_u32_e32 v3, vcc, 0xffffff01, v3
	v_addc_co_u32_e32 v4, vcc, -1, v4, vcc
	v_cmp_gt_i64_e32 vcc, s[12:13], v[3:4]
	v_mov_b32_e32 v45, 0
	s_and_saveexec_b64 s[30:31], vcc
	s_cbranch_execz .LBB151_7
; %bb.6:                                ;   in Loop: Header=BB151_3 Depth=1
	v_lshlrev_b64 v[3:4], 2, v[3:4]
	v_mov_b32_e32 v5, s11
	v_add_co_u32_e32 v3, vcc, s10, v3
	v_addc_co_u32_e32 v4, vcc, v5, v4, vcc
	global_load_dword v45, v[3:4], off
.LBB151_7:                              ;   in Loop: Header=BB151_3 Depth=1
	s_or_b64 exec, exec, s[30:31]
.LBB151_8:                              ;   in Loop: Header=BB151_3 Depth=1
	s_or_b64 exec, exec, s[8:9]
	v_add_co_u32_e32 v3, vcc, 0xffffff01, v43
	v_addc_co_u32_e32 v4, vcc, -1, v44, vcc
	v_cmp_gt_i64_e32 vcc, s[12:13], v[3:4]
	v_mov_b32_e32 v3, v2
	v_mov_b32_e32 v4, v2
	;; [unrolled: 1-line block ×31, first 2 shown]
	s_and_b64 s[30:31], s[2:3], vcc
	s_and_saveexec_b64 s[8:9], s[30:31]
	s_cbranch_execz .LBB151_10
; %bb.9:                                ;   in Loop: Header=BB151_3 Depth=1
	buffer_load_dword v3, off, s[36:39], 0  ; 4-byte Folded Reload
	buffer_load_dword v4, off, s[36:39], 0 offset:4 ; 4-byte Folded Reload
	buffer_load_dword v5, off, s[36:39], 0 offset:12 ; 4-byte Folded Reload
	v_mov_b32_e32 v6, v2
	v_mov_b32_e32 v7, v2
	;; [unrolled: 1-line block ×13, first 2 shown]
	s_waitcnt vmcnt(2)
	v_add_co_u32_e32 v3, vcc, v3, v0
	s_waitcnt vmcnt(1)
	v_addc_co_u32_e32 v4, vcc, v4, v1, vcc
	global_load_dword v3, v[3:4], off
	s_nop 0
	buffer_load_dword v4, off, s[36:39], 0 offset:8 ; 4-byte Folded Reload
	s_waitcnt vmcnt(0)
	v_add_co_u32_e32 v4, vcc, v4, v0
	v_addc_co_u32_e32 v5, vcc, v5, v1, vcc
	global_load_dword v36, v[4:5], off
	v_mov_b32_e32 v4, v2
	v_mov_b32_e32 v5, v2
.LBB151_10:                             ;   in Loop: Header=BB151_3 Depth=1
	s_or_b64 exec, exec, s[8:9]
	v_add_co_u32_e32 v46, vcc, 0xffffff02, v43
	v_addc_co_u32_e32 v47, vcc, -1, v44, vcc
	v_cmp_gt_i64_e32 vcc, s[12:13], v[46:47]
	v_mov_b32_e32 v46, 0
	s_and_b64 s[30:31], s[2:3], vcc
	buffer_store_dword v46, off, s[36:39], 0 offset:212 ; 4-byte Folded Spill
	v_mov_b32_e32 v46, 0
	buffer_store_dword v46, off, s[36:39], 0 offset:216 ; 4-byte Folded Spill
	s_and_saveexec_b64 s[8:9], s[30:31]
	s_cbranch_execz .LBB151_12
; %bb.11:                               ;   in Loop: Header=BB151_3 Depth=1
	v_add_co_u32_e32 v46, vcc, v37, v0
	v_addc_co_u32_e32 v47, vcc, v38, v1, vcc
	global_load_dword v4, v[46:47], off
	v_add_co_u32_e32 v46, vcc, v39, v0
	v_addc_co_u32_e32 v47, vcc, v40, v1, vcc
	global_load_dword v46, v[46:47], off
	s_waitcnt vmcnt(0)
	buffer_store_dword v46, off, s[36:39], 0 offset:216 ; 4-byte Folded Spill
.LBB151_12:                             ;   in Loop: Header=BB151_3 Depth=1
	s_or_b64 exec, exec, s[8:9]
	v_add_co_u32_e32 v46, vcc, 0xffffff03, v43
	v_addc_co_u32_e32 v47, vcc, -1, v44, vcc
	v_cmp_gt_i64_e32 vcc, s[12:13], v[46:47]
	s_and_b64 s[30:31], s[2:3], vcc
	s_and_saveexec_b64 s[8:9], s[30:31]
	s_cbranch_execz .LBB151_14
; %bb.13:                               ;   in Loop: Header=BB151_3 Depth=1
	v_add_co_u32_e32 v46, vcc, v32, v0
	v_addc_co_u32_e32 v47, vcc, v33, v1, vcc
	global_load_dword v5, v[46:47], off
	v_add_co_u32_e32 v46, vcc, v34, v0
	v_addc_co_u32_e32 v47, vcc, v35, v1, vcc
	global_load_dword v46, v[46:47], off
	s_waitcnt vmcnt(0)
	buffer_store_dword v46, off, s[36:39], 0 offset:212 ; 4-byte Folded Spill
.LBB151_14:                             ;   in Loop: Header=BB151_3 Depth=1
	s_or_b64 exec, exec, s[8:9]
	v_add_co_u32_e32 v46, vcc, 0xffffff04, v43
	v_addc_co_u32_e32 v47, vcc, -1, v44, vcc
	v_cmp_gt_i64_e32 vcc, s[12:13], v[46:47]
	v_mov_b32_e32 v46, 0
	s_and_b64 s[30:31], s[2:3], vcc
	v_mov_b32_e32 v60, 0
	buffer_store_dword v46, off, s[36:39], 0 offset:220 ; 4-byte Folded Spill
	s_and_saveexec_b64 s[8:9], s[30:31]
	s_cbranch_execz .LBB151_16
; %bb.15:                               ;   in Loop: Header=BB151_3 Depth=1
	v_add_co_u32_e32 v46, vcc, v28, v0
	v_addc_co_u32_e32 v47, vcc, v29, v1, vcc
	global_load_dword v6, v[46:47], off
	v_add_co_u32_e32 v46, vcc, v30, v0
	v_addc_co_u32_e32 v47, vcc, v31, v1, vcc
	global_load_dword v60, v[46:47], off
.LBB151_16:                             ;   in Loop: Header=BB151_3 Depth=1
	s_or_b64 exec, exec, s[8:9]
	v_add_co_u32_e32 v46, vcc, 0xffffff05, v43
	v_addc_co_u32_e32 v47, vcc, -1, v44, vcc
	v_cmp_gt_i64_e32 vcc, s[12:13], v[46:47]
	s_and_b64 s[30:31], s[2:3], vcc
	s_and_saveexec_b64 s[8:9], s[30:31]
	s_cbranch_execz .LBB151_18
; %bb.17:                               ;   in Loop: Header=BB151_3 Depth=1
	v_add_co_u32_e32 v46, vcc, v24, v0
	v_addc_co_u32_e32 v47, vcc, v25, v1, vcc
	global_load_dword v7, v[46:47], off
	v_add_co_u32_e32 v46, vcc, v26, v0
	v_addc_co_u32_e32 v47, vcc, v27, v1, vcc
	global_load_dword v46, v[46:47], off
	s_waitcnt vmcnt(0)
	buffer_store_dword v46, off, s[36:39], 0 offset:220 ; 4-byte Folded Spill
.LBB151_18:                             ;   in Loop: Header=BB151_3 Depth=1
	s_or_b64 exec, exec, s[8:9]
	v_add_co_u32_e32 v46, vcc, 0xffffff06, v43
	v_addc_co_u32_e32 v47, vcc, -1, v44, vcc
	v_cmp_gt_i64_e32 vcc, s[12:13], v[46:47]
	v_mov_b32_e32 v48, 0
	s_and_b64 s[30:31], s[2:3], vcc
	v_mov_b32_e32 v47, 0
	s_and_saveexec_b64 s[8:9], s[30:31]
	s_cbranch_execz .LBB151_20
; %bb.19:                               ;   in Loop: Header=BB151_3 Depth=1
	v_add_co_u32_e32 v46, vcc, v20, v0
	v_addc_co_u32_e32 v47, vcc, v21, v1, vcc
	global_load_dword v8, v[46:47], off
	v_add_co_u32_e32 v46, vcc, v22, v0
	v_addc_co_u32_e32 v47, vcc, v23, v1, vcc
	global_load_dword v47, v[46:47], off
.LBB151_20:                             ;   in Loop: Header=BB151_3 Depth=1
	s_or_b64 exec, exec, s[8:9]
	v_add_co_u32_e32 v49, vcc, 0xffffff07, v43
	v_addc_co_u32_e32 v50, vcc, -1, v44, vcc
	v_cmp_gt_i64_e32 vcc, s[12:13], v[49:50]
	s_and_b64 s[30:31], s[2:3], vcc
	s_and_saveexec_b64 s[8:9], s[30:31]
	s_cbranch_execz .LBB151_22
; %bb.21:                               ;   in Loop: Header=BB151_3 Depth=1
	v_add_co_u32_e32 v48, vcc, v61, v0
	v_addc_co_u32_e32 v49, vcc, v62, v1, vcc
	global_load_dword v9, v[48:49], off
	v_add_co_u32_e32 v48, vcc, v63, v0
	v_addc_co_u32_e32 v49, vcc, v19, v1, vcc
	global_load_dword v48, v[48:49], off
.LBB151_22:                             ;   in Loop: Header=BB151_3 Depth=1
	s_or_b64 exec, exec, s[8:9]
	v_add_co_u32_e32 v49, vcc, 0xffffff08, v43
	v_addc_co_u32_e32 v50, vcc, -1, v44, vcc
	v_cmp_gt_i64_e32 vcc, s[12:13], v[49:50]
	v_mov_b32_e32 v49, 0
	s_and_b64 s[30:31], s[2:3], vcc
	v_mov_b32_e32 v50, 0
	s_and_saveexec_b64 s[8:9], s[30:31]
	s_cbranch_execz .LBB151_24
; %bb.23:                               ;   in Loop: Header=BB151_3 Depth=1
	buffer_load_dword v10, off, s[36:39], 0 offset:192 ; 4-byte Folded Reload
	buffer_load_dword v46, off, s[36:39], 0 offset:200 ; 4-byte Folded Reload
	s_waitcnt vmcnt(1)
	v_add_co_u32_e32 v50, vcc, v10, v0
	buffer_load_dword v10, off, s[36:39], 0 offset:196 ; 4-byte Folded Reload
	s_waitcnt vmcnt(0)
	v_addc_co_u32_e32 v51, vcc, v10, v1, vcc
	global_load_dword v10, v[50:51], off
	v_add_co_u32_e32 v50, vcc, v46, v0
	buffer_load_dword v46, off, s[36:39], 0 offset:204 ; 4-byte Folded Reload
	s_waitcnt vmcnt(0)
	v_addc_co_u32_e32 v51, vcc, v46, v1, vcc
	global_load_dword v50, v[50:51], off
.LBB151_24:                             ;   in Loop: Header=BB151_3 Depth=1
	s_or_b64 exec, exec, s[8:9]
	v_add_co_u32_e32 v51, vcc, 0xffffff09, v43
	v_addc_co_u32_e32 v52, vcc, -1, v44, vcc
	v_cmp_gt_i64_e32 vcc, s[12:13], v[51:52]
	s_and_b64 s[30:31], s[2:3], vcc
	s_and_saveexec_b64 s[8:9], s[30:31]
	s_cbranch_execz .LBB151_26
; %bb.25:                               ;   in Loop: Header=BB151_3 Depth=1
	buffer_load_dword v11, off, s[36:39], 0 offset:176 ; 4-byte Folded Reload
	buffer_load_dword v46, off, s[36:39], 0 offset:184 ; 4-byte Folded Reload
	s_waitcnt vmcnt(1)
	v_add_co_u32_e32 v51, vcc, v11, v0
	buffer_load_dword v11, off, s[36:39], 0 offset:180 ; 4-byte Folded Reload
	s_waitcnt vmcnt(0)
	v_addc_co_u32_e32 v52, vcc, v11, v1, vcc
	global_load_dword v11, v[51:52], off
	v_add_co_u32_e32 v51, vcc, v46, v0
	buffer_load_dword v46, off, s[36:39], 0 offset:188 ; 4-byte Folded Reload
	s_waitcnt vmcnt(0)
	v_addc_co_u32_e32 v52, vcc, v46, v1, vcc
	global_load_dword v49, v[51:52], off
.LBB151_26:                             ;   in Loop: Header=BB151_3 Depth=1
	s_or_b64 exec, exec, s[8:9]
	v_add_co_u32_e32 v51, vcc, 0xffffff0a, v43
	v_addc_co_u32_e32 v52, vcc, -1, v44, vcc
	v_cmp_gt_i64_e32 vcc, s[12:13], v[51:52]
	v_mov_b32_e32 v51, 0
	s_and_b64 s[30:31], s[2:3], vcc
	v_mov_b32_e32 v52, 0
	s_and_saveexec_b64 s[8:9], s[30:31]
	s_cbranch_execz .LBB151_28
; %bb.27:                               ;   in Loop: Header=BB151_3 Depth=1
	buffer_load_dword v12, off, s[36:39], 0 offset:160 ; 4-byte Folded Reload
	buffer_load_dword v46, off, s[36:39], 0 offset:168 ; 4-byte Folded Reload
	s_waitcnt vmcnt(1)
	v_add_co_u32_e32 v52, vcc, v12, v0
	buffer_load_dword v12, off, s[36:39], 0 offset:164 ; 4-byte Folded Reload
	s_waitcnt vmcnt(0)
	v_addc_co_u32_e32 v53, vcc, v12, v1, vcc
	global_load_dword v12, v[52:53], off
	v_add_co_u32_e32 v52, vcc, v46, v0
	buffer_load_dword v46, off, s[36:39], 0 offset:172 ; 4-byte Folded Reload
	s_waitcnt vmcnt(0)
	v_addc_co_u32_e32 v53, vcc, v46, v1, vcc
	global_load_dword v52, v[52:53], off
.LBB151_28:                             ;   in Loop: Header=BB151_3 Depth=1
	s_or_b64 exec, exec, s[8:9]
	v_add_co_u32_e32 v53, vcc, 0xffffff0b, v43
	v_addc_co_u32_e32 v54, vcc, -1, v44, vcc
	v_cmp_gt_i64_e32 vcc, s[12:13], v[53:54]
	s_and_b64 s[30:31], s[2:3], vcc
	s_and_saveexec_b64 s[8:9], s[30:31]
	s_cbranch_execz .LBB151_30
; %bb.29:                               ;   in Loop: Header=BB151_3 Depth=1
	buffer_load_dword v13, off, s[36:39], 0 offset:144 ; 4-byte Folded Reload
	buffer_load_dword v46, off, s[36:39], 0 offset:152 ; 4-byte Folded Reload
	s_waitcnt vmcnt(1)
	v_add_co_u32_e32 v53, vcc, v13, v0
	buffer_load_dword v13, off, s[36:39], 0 offset:148 ; 4-byte Folded Reload
	s_waitcnt vmcnt(0)
	v_addc_co_u32_e32 v54, vcc, v13, v1, vcc
	global_load_dword v13, v[53:54], off
	v_add_co_u32_e32 v53, vcc, v46, v0
	buffer_load_dword v46, off, s[36:39], 0 offset:156 ; 4-byte Folded Reload
	s_waitcnt vmcnt(0)
	v_addc_co_u32_e32 v54, vcc, v46, v1, vcc
	global_load_dword v51, v[53:54], off
.LBB151_30:                             ;   in Loop: Header=BB151_3 Depth=1
	;; [unrolled: 46-line block ×4, first 2 shown]
	s_or_b64 exec, exec, s[8:9]
	v_add_co_u32_e32 v57, vcc, 0xffffff10, v43
	v_addc_co_u32_e32 v58, vcc, -1, v44, vcc
	v_cmp_gt_i64_e32 vcc, s[12:13], v[57:58]
	v_mov_b32_e32 v46, 0
	s_and_b64 s[30:31], s[2:3], vcc
	s_and_saveexec_b64 s[8:9], s[30:31]
	s_cbranch_execz .LBB151_40
; %bb.39:                               ;   in Loop: Header=BB151_3 Depth=1
	buffer_load_dword v18, off, s[36:39], 0 offset:16 ; 4-byte Folded Reload
	buffer_load_dword v46, off, s[36:39], 0 offset:32 ; 4-byte Folded Reload
	s_waitcnt vmcnt(1)
	v_add_co_u32_e32 v57, vcc, v18, v0
	buffer_load_dword v18, off, s[36:39], 0 offset:24 ; 4-byte Folded Reload
	s_waitcnt vmcnt(0)
	v_addc_co_u32_e32 v58, vcc, v18, v1, vcc
	global_load_dword v18, v[57:58], off
	v_add_co_u32_e32 v57, vcc, v46, v0
	buffer_load_dword v46, off, s[36:39], 0 offset:40 ; 4-byte Folded Reload
	s_waitcnt vmcnt(0)
	v_addc_co_u32_e32 v58, vcc, v46, v1, vcc
	global_load_dword v46, v[57:58], off
.LBB151_40:                             ;   in Loop: Header=BB151_3 Depth=1
	s_or_b64 exec, exec, s[8:9]
	s_waitcnt vmcnt(3)
	ds_bpermute_b32 v57, v41, v45
	v_mul_f32_e32 v3, v36, v3
	s_mov_b64 s[8:9], 0
	s_waitcnt lgkmcnt(0)
	v_fma_f32 v36, v3, v57, v42
	buffer_load_dword v57, off, s[36:39], 0 offset:216 ; 4-byte Folded Reload
	ds_bpermute_b32 v3, v41, v45 offset:4
	s_waitcnt vmcnt(0)
	v_mul_f32_e32 v4, v57, v4
	s_waitcnt lgkmcnt(0)
	v_fmac_f32_e32 v36, v4, v3
	buffer_load_dword v4, off, s[36:39], 0 offset:212 ; 4-byte Folded Reload
	ds_bpermute_b32 v3, v41, v45 offset:8
	s_waitcnt vmcnt(0)
	v_mul_f32_e32 v4, v4, v5
	s_waitcnt lgkmcnt(0)
	v_fmac_f32_e32 v36, v4, v3
	ds_bpermute_b32 v3, v41, v45 offset:12
	v_mul_f32_e32 v4, v60, v6
	s_waitcnt lgkmcnt(0)
	v_fmac_f32_e32 v36, v4, v3
	buffer_load_dword v4, off, s[36:39], 0 offset:220 ; 4-byte Folded Reload
	ds_bpermute_b32 v3, v41, v45 offset:16
	s_waitcnt vmcnt(0)
	v_mul_f32_e32 v4, v4, v7
	s_waitcnt lgkmcnt(0)
	v_fmac_f32_e32 v36, v4, v3
	ds_bpermute_b32 v3, v41, v45 offset:20
	v_mul_f32_e32 v4, v47, v8
	s_waitcnt lgkmcnt(0)
	v_fmac_f32_e32 v36, v4, v3
	ds_bpermute_b32 v3, v41, v45 offset:24
	v_mul_f32_e32 v4, v48, v9
	s_waitcnt lgkmcnt(0)
	v_fmac_f32_e32 v36, v4, v3
	ds_bpermute_b32 v3, v41, v45 offset:28
	v_mul_f32_e32 v4, v50, v10
	s_waitcnt lgkmcnt(0)
	v_fmac_f32_e32 v36, v4, v3
	ds_bpermute_b32 v3, v41, v45 offset:32
	v_mul_f32_e32 v4, v49, v11
	s_waitcnt lgkmcnt(0)
	v_fmac_f32_e32 v36, v4, v3
	ds_bpermute_b32 v3, v41, v45 offset:36
	v_mul_f32_e32 v4, v52, v12
	s_waitcnt lgkmcnt(0)
	v_fmac_f32_e32 v36, v4, v3
	ds_bpermute_b32 v3, v41, v45 offset:40
	v_mul_f32_e32 v4, v51, v13
	s_waitcnt lgkmcnt(0)
	v_fmac_f32_e32 v36, v4, v3
	ds_bpermute_b32 v3, v41, v45 offset:44
	v_mul_f32_e32 v4, v54, v14
	s_waitcnt lgkmcnt(0)
	v_fmac_f32_e32 v36, v4, v3
	ds_bpermute_b32 v3, v41, v45 offset:48
	v_mul_f32_e32 v4, v53, v15
	s_waitcnt lgkmcnt(0)
	v_fmac_f32_e32 v36, v4, v3
	ds_bpermute_b32 v3, v41, v45 offset:52
	v_mul_f32_e32 v4, v56, v16
	s_waitcnt lgkmcnt(0)
	v_fmac_f32_e32 v36, v4, v3
	ds_bpermute_b32 v3, v41, v45 offset:56
	v_mul_f32_e32 v4, v55, v17
	s_waitcnt lgkmcnt(0)
	v_fmac_f32_e32 v36, v4, v3
	ds_bpermute_b32 v3, v41, v45 offset:60
.LBB151_41:                             ;   in Loop: Header=BB151_3 Depth=1
	s_and_b64 vcc, exec, s[8:9]
	s_cbranch_vccz .LBB151_77
; %bb.42:                               ;   in Loop: Header=BB151_3 Depth=1
	s_load_dword s8, s[22:23], 0x0
	v_mov_b32_e32 v60, 0
	v_mov_b32_e32 v36, 0
	s_waitcnt lgkmcnt(0)
	s_cmp_lt_u32 s6, s8
	s_cselect_b32 s8, 12, 18
	s_add_u32 s8, s22, s8
	s_addc_u32 s9, s23, 0
	global_load_ushort v3, v2, s[8:9]
	buffer_load_dword v4, off, s[36:39], 0 offset:224 ; 4-byte Folded Reload
	buffer_load_dword v5, off, s[36:39], 0 offset:208 ; 4-byte Folded Reload
	s_waitcnt vmcnt(0)
	v_mad_u32_u24 v3, v5, v3, v4
	v_and_b32_e32 v3, 63, v3
	v_cmp_gt_u32_e32 vcc, 16, v3
	s_and_saveexec_b64 s[8:9], vcc
	s_cbranch_execz .LBB151_46
; %bb.43:                               ;   in Loop: Header=BB151_3 Depth=1
	v_add_co_u32_e32 v3, vcc, v43, v3
	v_addc_co_u32_e32 v4, vcc, 0, v44, vcc
	v_add_co_u32_e32 v3, vcc, 0xffffff01, v3
	v_addc_co_u32_e32 v4, vcc, -1, v4, vcc
	v_cmp_gt_i64_e32 vcc, s[12:13], v[3:4]
	v_mov_b32_e32 v36, 0
	s_and_saveexec_b64 s[30:31], vcc
	s_cbranch_execz .LBB151_45
; %bb.44:                               ;   in Loop: Header=BB151_3 Depth=1
	v_lshlrev_b64 v[3:4], 2, v[3:4]
	v_mov_b32_e32 v5, s11
	v_add_co_u32_e32 v3, vcc, s10, v3
	v_addc_co_u32_e32 v4, vcc, v5, v4, vcc
	global_load_dword v36, v[3:4], off
.LBB151_45:                             ;   in Loop: Header=BB151_3 Depth=1
	s_or_b64 exec, exec, s[30:31]
.LBB151_46:                             ;   in Loop: Header=BB151_3 Depth=1
	s_or_b64 exec, exec, s[8:9]
	v_mov_b32_e32 v3, v2
	v_mov_b32_e32 v4, v2
	;; [unrolled: 1-line block ×31, first 2 shown]
	s_and_saveexec_b64 s[8:9], s[2:3]
	s_cbranch_execz .LBB151_48
; %bb.47:                               ;   in Loop: Header=BB151_3 Depth=1
	buffer_load_dword v3, off, s[36:39], 0  ; 4-byte Folded Reload
	buffer_load_dword v4, off, s[36:39], 0 offset:4 ; 4-byte Folded Reload
	buffer_load_dword v5, off, s[36:39], 0 offset:12 ; 4-byte Folded Reload
	v_mov_b32_e32 v6, v2
	v_mov_b32_e32 v7, v2
	;; [unrolled: 1-line block ×13, first 2 shown]
	s_waitcnt vmcnt(2)
	v_add_co_u32_e32 v3, vcc, v3, v0
	s_waitcnt vmcnt(1)
	v_addc_co_u32_e32 v4, vcc, v4, v1, vcc
	global_load_dword v3, v[3:4], off
	s_nop 0
	buffer_load_dword v4, off, s[36:39], 0 offset:8 ; 4-byte Folded Reload
	s_waitcnt vmcnt(0)
	v_add_co_u32_e32 v4, vcc, v4, v0
	v_addc_co_u32_e32 v5, vcc, v5, v1, vcc
	global_load_dword v60, v[4:5], off
	v_mov_b32_e32 v4, v2
	v_mov_b32_e32 v5, v2
.LBB151_48:                             ;   in Loop: Header=BB151_3 Depth=1
	s_or_b64 exec, exec, s[8:9]
	v_mov_b32_e32 v43, 0
	v_mov_b32_e32 v44, 0
	s_and_saveexec_b64 s[8:9], s[2:3]
	s_cbranch_execz .LBB151_50
; %bb.49:                               ;   in Loop: Header=BB151_3 Depth=1
	v_add_co_u32_e32 v44, vcc, v37, v0
	v_addc_co_u32_e32 v45, vcc, v38, v1, vcc
	global_load_dword v4, v[44:45], off
	v_add_co_u32_e32 v44, vcc, v39, v0
	v_addc_co_u32_e32 v45, vcc, v40, v1, vcc
	global_load_dword v44, v[44:45], off
.LBB151_50:                             ;   in Loop: Header=BB151_3 Depth=1
	s_or_b64 exec, exec, s[8:9]
	s_and_saveexec_b64 s[8:9], s[2:3]
	s_cbranch_execz .LBB151_52
; %bb.51:                               ;   in Loop: Header=BB151_3 Depth=1
	v_add_co_u32_e32 v45, vcc, v32, v0
	v_addc_co_u32_e32 v46, vcc, v33, v1, vcc
	global_load_dword v5, v[45:46], off
	v_add_co_u32_e32 v45, vcc, v34, v0
	v_addc_co_u32_e32 v46, vcc, v35, v1, vcc
	global_load_dword v43, v[45:46], off
.LBB151_52:                             ;   in Loop: Header=BB151_3 Depth=1
	s_or_b64 exec, exec, s[8:9]
	v_mov_b32_e32 v47, 0
	v_mov_b32_e32 v48, 0
	s_and_saveexec_b64 s[8:9], s[2:3]
	s_cbranch_execz .LBB151_54
; %bb.53:                               ;   in Loop: Header=BB151_3 Depth=1
	v_add_co_u32_e32 v45, vcc, v28, v0
	v_addc_co_u32_e32 v46, vcc, v29, v1, vcc
	global_load_dword v6, v[45:46], off
	v_add_co_u32_e32 v45, vcc, v30, v0
	v_addc_co_u32_e32 v46, vcc, v31, v1, vcc
	global_load_dword v48, v[45:46], off
.LBB151_54:                             ;   in Loop: Header=BB151_3 Depth=1
	s_or_b64 exec, exec, s[8:9]
	s_and_saveexec_b64 s[8:9], s[2:3]
	s_cbranch_execz .LBB151_56
; %bb.55:                               ;   in Loop: Header=BB151_3 Depth=1
	v_add_co_u32_e32 v45, vcc, v24, v0
	v_addc_co_u32_e32 v46, vcc, v25, v1, vcc
	global_load_dword v7, v[45:46], off
	v_add_co_u32_e32 v45, vcc, v26, v0
	v_addc_co_u32_e32 v46, vcc, v27, v1, vcc
	global_load_dword v47, v[45:46], off
.LBB151_56:                             ;   in Loop: Header=BB151_3 Depth=1
	;; [unrolled: 24-line block ×3, first 2 shown]
	s_or_b64 exec, exec, s[8:9]
	v_mov_b32_e32 v51, 0
	v_mov_b32_e32 v52, 0
	s_and_saveexec_b64 s[8:9], s[2:3]
	s_cbranch_execz .LBB151_62
; %bb.61:                               ;   in Loop: Header=BB151_3 Depth=1
	buffer_load_dword v10, off, s[36:39], 0 offset:192 ; 4-byte Folded Reload
	s_waitcnt vmcnt(0)
	v_add_co_u32_e32 v45, vcc, v10, v0
	buffer_load_dword v10, off, s[36:39], 0 offset:196 ; 4-byte Folded Reload
	s_waitcnt vmcnt(0)
	v_addc_co_u32_e32 v46, vcc, v10, v1, vcc
	global_load_dword v10, v[45:46], off
	s_nop 0
	buffer_load_dword v45, off, s[36:39], 0 offset:200 ; 4-byte Folded Reload
	buffer_load_dword v46, off, s[36:39], 0 offset:204 ; 4-byte Folded Reload
	s_waitcnt vmcnt(1)
	v_add_co_u32_e32 v45, vcc, v45, v0
	s_waitcnt vmcnt(0)
	v_addc_co_u32_e32 v46, vcc, v46, v1, vcc
	global_load_dword v52, v[45:46], off
.LBB151_62:                             ;   in Loop: Header=BB151_3 Depth=1
	s_or_b64 exec, exec, s[8:9]
	s_and_saveexec_b64 s[8:9], s[2:3]
	s_cbranch_execz .LBB151_64
; %bb.63:                               ;   in Loop: Header=BB151_3 Depth=1
	buffer_load_dword v11, off, s[36:39], 0 offset:176 ; 4-byte Folded Reload
	s_waitcnt vmcnt(0)
	v_add_co_u32_e32 v45, vcc, v11, v0
	buffer_load_dword v11, off, s[36:39], 0 offset:180 ; 4-byte Folded Reload
	s_waitcnt vmcnt(0)
	v_addc_co_u32_e32 v46, vcc, v11, v1, vcc
	global_load_dword v11, v[45:46], off
	s_nop 0
	buffer_load_dword v45, off, s[36:39], 0 offset:184 ; 4-byte Folded Reload
	buffer_load_dword v46, off, s[36:39], 0 offset:188 ; 4-byte Folded Reload
	s_waitcnt vmcnt(1)
	v_add_co_u32_e32 v45, vcc, v45, v0
	s_waitcnt vmcnt(0)
	v_addc_co_u32_e32 v46, vcc, v46, v1, vcc
	global_load_dword v51, v[45:46], off
.LBB151_64:                             ;   in Loop: Header=BB151_3 Depth=1
	s_or_b64 exec, exec, s[8:9]
	v_mov_b32_e32 v53, 0
	v_mov_b32_e32 v45, 0
	s_and_saveexec_b64 s[8:9], s[2:3]
	s_cbranch_execz .LBB151_66
; %bb.65:                               ;   in Loop: Header=BB151_3 Depth=1
	buffer_load_dword v12, off, s[36:39], 0 offset:160 ; 4-byte Folded Reload
	s_waitcnt vmcnt(0)
	v_add_co_u32_e32 v45, vcc, v12, v0
	buffer_load_dword v12, off, s[36:39], 0 offset:164 ; 4-byte Folded Reload
	s_waitcnt vmcnt(0)
	v_addc_co_u32_e32 v46, vcc, v12, v1, vcc
	global_load_dword v12, v[45:46], off
	s_nop 0
	buffer_load_dword v45, off, s[36:39], 0 offset:168 ; 4-byte Folded Reload
	buffer_load_dword v46, off, s[36:39], 0 offset:172 ; 4-byte Folded Reload
	s_waitcnt vmcnt(1)
	v_add_co_u32_e32 v45, vcc, v45, v0
	s_waitcnt vmcnt(0)
	v_addc_co_u32_e32 v46, vcc, v46, v1, vcc
	global_load_dword v45, v[45:46], off
.LBB151_66:                             ;   in Loop: Header=BB151_3 Depth=1
	s_or_b64 exec, exec, s[8:9]
	s_and_saveexec_b64 s[8:9], s[2:3]
	s_cbranch_execz .LBB151_68
; %bb.67:                               ;   in Loop: Header=BB151_3 Depth=1
	buffer_load_dword v13, off, s[36:39], 0 offset:144 ; 4-byte Folded Reload
	buffer_load_dword v46, off, s[36:39], 0 offset:152 ; 4-byte Folded Reload
	s_waitcnt vmcnt(1)
	v_add_co_u32_e32 v53, vcc, v13, v0
	buffer_load_dword v13, off, s[36:39], 0 offset:148 ; 4-byte Folded Reload
	s_waitcnt vmcnt(0)
	v_addc_co_u32_e32 v54, vcc, v13, v1, vcc
	global_load_dword v13, v[53:54], off
	v_add_co_u32_e32 v53, vcc, v46, v0
	buffer_load_dword v46, off, s[36:39], 0 offset:156 ; 4-byte Folded Reload
	s_waitcnt vmcnt(0)
	v_addc_co_u32_e32 v54, vcc, v46, v1, vcc
	global_load_dword v53, v[53:54], off
.LBB151_68:                             ;   in Loop: Header=BB151_3 Depth=1
	s_or_b64 exec, exec, s[8:9]
	v_mov_b32_e32 v54, 0
	v_mov_b32_e32 v55, 0
	s_and_saveexec_b64 s[8:9], s[2:3]
	s_cbranch_execz .LBB151_70
; %bb.69:                               ;   in Loop: Header=BB151_3 Depth=1
	buffer_load_dword v14, off, s[36:39], 0 offset:128 ; 4-byte Folded Reload
	buffer_load_dword v46, off, s[36:39], 0 offset:136 ; 4-byte Folded Reload
	s_waitcnt vmcnt(1)
	v_add_co_u32_e32 v55, vcc, v14, v0
	buffer_load_dword v14, off, s[36:39], 0 offset:132 ; 4-byte Folded Reload
	s_waitcnt vmcnt(0)
	v_addc_co_u32_e32 v56, vcc, v14, v1, vcc
	global_load_dword v14, v[55:56], off
	v_add_co_u32_e32 v55, vcc, v46, v0
	buffer_load_dword v46, off, s[36:39], 0 offset:140 ; 4-byte Folded Reload
	s_waitcnt vmcnt(0)
	v_addc_co_u32_e32 v56, vcc, v46, v1, vcc
	global_load_dword v55, v[55:56], off
.LBB151_70:                             ;   in Loop: Header=BB151_3 Depth=1
	s_or_b64 exec, exec, s[8:9]
	s_and_saveexec_b64 s[8:9], s[2:3]
	s_cbranch_execz .LBB151_72
; %bb.71:                               ;   in Loop: Header=BB151_3 Depth=1
	buffer_load_dword v15, off, s[36:39], 0 offset:112 ; 4-byte Folded Reload
	buffer_load_dword v46, off, s[36:39], 0 offset:120 ; 4-byte Folded Reload
	s_waitcnt vmcnt(1)
	v_add_co_u32_e32 v56, vcc, v15, v0
	buffer_load_dword v15, off, s[36:39], 0 offset:116 ; 4-byte Folded Reload
	s_waitcnt vmcnt(0)
	v_addc_co_u32_e32 v57, vcc, v15, v1, vcc
	global_load_dword v15, v[56:57], off
	v_add_co_u32_e32 v56, vcc, v46, v0
	buffer_load_dword v46, off, s[36:39], 0 offset:124 ; 4-byte Folded Reload
	s_waitcnt vmcnt(0)
	v_addc_co_u32_e32 v57, vcc, v46, v1, vcc
	global_load_dword v54, v[56:57], off
.LBB151_72:                             ;   in Loop: Header=BB151_3 Depth=1
	s_or_b64 exec, exec, s[8:9]
	v_mov_b32_e32 v56, 0
	v_mov_b32_e32 v57, 0
	s_and_saveexec_b64 s[8:9], s[2:3]
	s_cbranch_execnz .LBB151_79
; %bb.73:                               ;   in Loop: Header=BB151_3 Depth=1
	s_or_b64 exec, exec, s[8:9]
	s_and_saveexec_b64 s[8:9], s[2:3]
	s_cbranch_execnz .LBB151_80
.LBB151_74:                             ;   in Loop: Header=BB151_3 Depth=1
	s_or_b64 exec, exec, s[8:9]
	v_mov_b32_e32 v46, 0
	s_and_saveexec_b64 s[8:9], s[2:3]
	s_cbranch_execz .LBB151_76
.LBB151_75:                             ;   in Loop: Header=BB151_3 Depth=1
	buffer_load_dword v18, off, s[36:39], 0 offset:16 ; 4-byte Folded Reload
	buffer_load_dword v46, off, s[36:39], 0 offset:32 ; 4-byte Folded Reload
	s_waitcnt vmcnt(1)
	v_add_co_u32_e32 v58, vcc, v18, v0
	buffer_load_dword v18, off, s[36:39], 0 offset:24 ; 4-byte Folded Reload
	s_waitcnt vmcnt(0)
	v_addc_co_u32_e32 v59, vcc, v18, v1, vcc
	global_load_dword v18, v[58:59], off
	v_add_co_u32_e32 v58, vcc, v46, v0
	buffer_load_dword v46, off, s[36:39], 0 offset:40 ; 4-byte Folded Reload
	s_waitcnt vmcnt(0)
	v_addc_co_u32_e32 v59, vcc, v46, v1, vcc
	global_load_dword v46, v[58:59], off
	s_nop 0
	buffer_load_dword v59, off, s[36:39], 0 offset:228 ; 4-byte Folded Reload
.LBB151_76:                             ;   in Loop: Header=BB151_3 Depth=1
	s_or_b64 exec, exec, s[8:9]
	s_waitcnt vmcnt(0)
	ds_bpermute_b32 v58, v41, v36
	v_mul_f32_e32 v3, v60, v3
	v_mul_f32_e32 v4, v44, v4
	s_waitcnt lgkmcnt(0)
	v_fmac_f32_e32 v42, v3, v58
	ds_bpermute_b32 v3, v41, v36 offset:4
	s_waitcnt lgkmcnt(0)
	v_fmac_f32_e32 v42, v4, v3
	ds_bpermute_b32 v3, v41, v36 offset:8
	v_mul_f32_e32 v4, v43, v5
	s_waitcnt lgkmcnt(0)
	v_fmac_f32_e32 v42, v4, v3
	ds_bpermute_b32 v3, v41, v36 offset:12
	v_mul_f32_e32 v4, v48, v6
	;; [unrolled: 4-line block ×13, first 2 shown]
	s_waitcnt lgkmcnt(0)
	v_fmac_f32_e32 v42, v4, v3
	ds_bpermute_b32 v3, v41, v36 offset:60
	v_mov_b32_e32 v36, v42
.LBB151_77:                             ;   in Loop: Header=BB151_3 Depth=1
	v_mul_f32_e32 v4, v46, v18
	s_waitcnt lgkmcnt(0)
	v_fmac_f32_e32 v36, v4, v3
	buffer_load_dword v3, off, s[36:39], 0  ; 4-byte Folded Reload
	buffer_load_dword v4, off, s[36:39], 0 offset:4 ; 4-byte Folded Reload
	s_add_u32 s28, s28, s7
	s_addc_u32 s29, s29, 0
	s_add_u32 s26, s26, s7
	s_addc_u32 s27, s27, 0
	s_waitcnt vmcnt(1)
	v_add_co_u32_e32 v3, vcc, s24, v3
	buffer_store_dword v3, off, s[36:39], 0 ; 4-byte Folded Spill
	v_mov_b32_e32 v3, s25
	s_waitcnt vmcnt(1)
	v_addc_co_u32_e32 v4, vcc, v4, v3, vcc
	buffer_store_dword v4, off, s[36:39], 0 offset:4 ; 4-byte Folded Spill
	buffer_load_dword v4, off, s[36:39], 0 offset:8 ; 4-byte Folded Reload
	s_waitcnt vmcnt(0)
	v_add_co_u32_e32 v4, vcc, s24, v4
	buffer_store_dword v4, off, s[36:39], 0 offset:8 ; 4-byte Folded Spill
	buffer_load_dword v4, off, s[36:39], 0 offset:12 ; 4-byte Folded Reload
	s_waitcnt vmcnt(0)
	v_addc_co_u32_e32 v4, vcc, v4, v3, vcc
	buffer_store_dword v4, off, s[36:39], 0 offset:12 ; 4-byte Folded Spill
	buffer_load_dword v4, off, s[36:39], 0 offset:16 ; 4-byte Folded Reload
	s_waitcnt vmcnt(0)
	v_add_co_u32_e32 v4, vcc, s24, v4
	buffer_store_dword v4, off, s[36:39], 0 offset:16 ; 4-byte Folded Spill
	buffer_load_dword v4, off, s[36:39], 0 offset:24 ; 4-byte Folded Reload
	;; [unrolled: 8-line block ×19, first 2 shown]
	s_waitcnt vmcnt(0)
	v_addc_co_u32_e32 v4, vcc, v4, v3, vcc
	v_add_co_u32_e32 v61, vcc, s24, v61
	v_addc_co_u32_e32 v62, vcc, v62, v3, vcc
	v_add_co_u32_e32 v63, vcc, s24, v63
	;; [unrolled: 2-line block ×12, first 2 shown]
	buffer_store_dword v4, off, s[36:39], 0 offset:204 ; 4-byte Folded Spill
	v_addc_co_u32_e32 v40, vcc, v40, v3, vcc
	v_mov_b32_e32 v3, s12
	v_mov_b32_e32 v4, s13
	v_cmp_lt_i64_e32 vcc, s[28:29], v[3:4]
	s_cbranch_vccz .LBB151_82
; %bb.78:                               ;   in Loop: Header=BB151_3 Depth=1
	v_mov_b32_e32 v42, v36
	s_branch .LBB151_3
.LBB151_79:                             ;   in Loop: Header=BB151_3 Depth=1
	buffer_load_dword v16, off, s[36:39], 0 offset:80 ; 4-byte Folded Reload
	buffer_load_dword v46, off, s[36:39], 0 offset:96 ; 4-byte Folded Reload
	s_waitcnt vmcnt(1)
	v_add_co_u32_e32 v57, vcc, v16, v0
	buffer_load_dword v16, off, s[36:39], 0 offset:88 ; 4-byte Folded Reload
	s_waitcnt vmcnt(0)
	v_addc_co_u32_e32 v58, vcc, v16, v1, vcc
	global_load_dword v16, v[57:58], off
	v_add_co_u32_e32 v57, vcc, v46, v0
	buffer_load_dword v46, off, s[36:39], 0 offset:104 ; 4-byte Folded Reload
	s_waitcnt vmcnt(0)
	v_addc_co_u32_e32 v58, vcc, v46, v1, vcc
	global_load_dword v57, v[57:58], off
	s_or_b64 exec, exec, s[8:9]
	s_and_saveexec_b64 s[8:9], s[2:3]
	s_cbranch_execz .LBB151_74
.LBB151_80:                             ;   in Loop: Header=BB151_3 Depth=1
	buffer_load_dword v17, off, s[36:39], 0 offset:48 ; 4-byte Folded Reload
	buffer_load_dword v46, off, s[36:39], 0 offset:64 ; 4-byte Folded Reload
	s_waitcnt vmcnt(1)
	v_add_co_u32_e32 v58, vcc, v17, v0
	buffer_load_dword v17, off, s[36:39], 0 offset:56 ; 4-byte Folded Reload
	s_waitcnt vmcnt(0)
	v_addc_co_u32_e32 v59, vcc, v17, v1, vcc
	global_load_dword v17, v[58:59], off
	v_add_co_u32_e32 v58, vcc, v46, v0
	buffer_load_dword v46, off, s[36:39], 0 offset:72 ; 4-byte Folded Reload
	s_waitcnt vmcnt(0)
	v_addc_co_u32_e32 v59, vcc, v46, v1, vcc
	global_load_dword v56, v[58:59], off
	s_nop 0
	buffer_load_dword v59, off, s[36:39], 0 offset:228 ; 4-byte Folded Reload
	s_or_b64 exec, exec, s[8:9]
	v_mov_b32_e32 v46, 0
	s_and_saveexec_b64 s[8:9], s[2:3]
	s_cbranch_execnz .LBB151_75
	s_branch .LBB151_76
.LBB151_81:
                                        ; implicit-def: $vgpr36
	s_branch .LBB151_84
.LBB151_82:
	buffer_load_dword v42, off, s[36:39], 0 offset:224 ; 4-byte Folded Reload
.LBB151_83:
	s_cbranch_execnz .LBB151_132
.LBB151_84:
	s_and_b64 vcc, exec, s[0:1]
	v_mov_b32_e32 v36, 0
	s_cbranch_vccnz .LBB151_132
; %bb.85:
	buffer_load_dword v5, off, s[36:39], 0 offset:208 ; 4-byte Folded Reload
	s_load_dword s7, s[4:5], 0x44
	s_add_u32 s2, s4, 64
	s_addc_u32 s3, s5, 0
	v_mov_b32_e32 v4, s17
	v_mov_b32_e32 v12, s15
	s_waitcnt lgkmcnt(0)
	s_lshl_b32 s7, s7, 8
	v_mov_b32_e32 v63, 0
	s_waitcnt vmcnt(0)
	v_lshlrev_b32_e32 v0, 4, v5
	v_add_co_u32_e32 v8, vcc, s20, v0
	v_addc_co_u32_e64 v9, s[0:1], 0, 0, vcc
	buffer_store_dword v0, off, s[36:39], 0 offset:412 ; 4-byte Folded Spill
	v_mul_lo_u32 v2, s15, v8
	v_mul_lo_u32 v3, s14, v9
	v_mad_u64_u32 v[0:1], s[0:1], s14, v8, 0
	s_mul_i32 s0, s15, s7
	s_mul_hi_u32 s1, s14, s7
	v_add3_u32 v1, v1, v3, v2
	v_lshlrev_b64 v[2:3], 2, v[0:1]
	s_add_i32 s1, s1, s0
	v_add_co_u32_e32 v6, vcc, s16, v2
	v_addc_co_u32_e32 v4, vcc, v4, v3, vcc
	s_mul_i32 s0, s14, s7
	buffer_store_dword v4, off, s[36:39], 0 offset:4 ; 4-byte Folded Spill
	s_lshl_b64 s[8:9], s[0:1], 2
	v_mov_b32_e32 v4, s19
	v_add_co_u32_e32 v2, vcc, s18, v2
	buffer_store_dword v2, off, s[36:39], 0 offset:8 ; 4-byte Folded Spill
	v_addc_co_u32_e32 v2, vcc, v4, v3, vcc
	s_add_u32 s22, s20, 0xff
	buffer_store_dword v2, off, s[36:39], 0 offset:12 ; 4-byte Folded Spill
	s_addc_u32 s23, 0, 0
	v_lshlrev_b32_e32 v2, 6, v5
	s_lshl_b64 s[0:1], s[20:21], 2
	v_mov_b32_e32 v3, s1
	v_add_co_u32_e32 v10, vcc, s0, v2
	v_addc_co_u32_e32 v11, vcc, 0, v3, vcc
	buffer_store_dword v6, off, s[36:39], 0 ; 4-byte Folded Spill
	v_add_co_u32_e32 v4, vcc, 4, v10
	v_mov_b32_e32 v2, s16
	v_mov_b32_e32 v6, s18
	v_addc_co_u32_e32 v5, vcc, 0, v11, vcc
	v_mov_b32_e32 v3, s17
	v_mov_b32_e32 v7, s19
	v_mad_u64_u32 v[15:16], s[0:1], s14, v4, v[2:3]
	v_mul_lo_u32 v13, s14, v5
	v_mul_lo_u32 v14, s15, v4
	v_mad_u64_u32 v[17:18], s[0:1], s14, v4, v[6:7]
	v_add_co_u32_e32 v4, vcc, s14, v0
	v_addc_co_u32_e32 v5, vcc, v1, v12, vcc
	v_add3_u32 v16, v14, v16, v13
	v_add3_u32 v18, v14, v18, v13
	v_add_co_u32_e32 v0, vcc, 8, v10
	buffer_store_dword v15, off, s[36:39], 0 offset:16 ; 4-byte Folded Spill
	s_nop 0
	buffer_store_dword v16, off, s[36:39], 0 offset:20 ; 4-byte Folded Spill
	buffer_store_dword v17, off, s[36:39], 0 offset:24 ; 4-byte Folded Spill
	s_nop 0
	buffer_store_dword v18, off, s[36:39], 0 offset:28 ; 4-byte Folded Spill
	v_addc_co_u32_e32 v1, vcc, 0, v11, vcc
	v_mul_lo_u32 v1, s14, v1
	v_mul_lo_u32 v12, s15, v0
	v_mad_u64_u32 v[15:16], s[0:1], s14, v0, v[2:3]
	v_mad_u64_u32 v[17:18], s[0:1], s14, v0, v[6:7]
	v_add_co_u32_e32 v0, vcc, 12, v10
	v_addc_co_u32_e32 v13, vcc, 0, v11, vcc
	v_mul_lo_u32 v13, s14, v13
	v_mul_lo_u32 v14, s15, v0
	v_mad_u64_u32 v[19:20], s[0:1], s14, v0, v[2:3]
	v_mad_u64_u32 v[21:22], s[0:1], s14, v0, v[6:7]
	v_add3_u32 v16, v12, v16, v1
	v_add3_u32 v18, v12, v18, v1
	v_add_co_u32_e32 v0, vcc, 16, v10
	buffer_store_dword v15, off, s[36:39], 0 offset:32 ; 4-byte Folded Spill
	s_nop 0
	buffer_store_dword v16, off, s[36:39], 0 offset:36 ; 4-byte Folded Spill
	buffer_store_dword v17, off, s[36:39], 0 offset:40 ; 4-byte Folded Spill
	s_nop 0
	buffer_store_dword v18, off, s[36:39], 0 offset:44 ; 4-byte Folded Spill
	v_addc_co_u32_e32 v1, vcc, 0, v11, vcc
	v_mul_lo_u32 v1, s14, v1
	v_mul_lo_u32 v12, s15, v0
	v_mad_u64_u32 v[15:16], s[0:1], s14, v0, v[2:3]
	v_mad_u64_u32 v[17:18], s[0:1], s14, v0, v[6:7]
	v_add3_u32 v20, v14, v20, v13
	v_add3_u32 v22, v14, v22, v13
	v_add_co_u32_e32 v0, vcc, 20, v10
	buffer_store_dword v19, off, s[36:39], 0 offset:48 ; 4-byte Folded Spill
	s_nop 0
	buffer_store_dword v20, off, s[36:39], 0 offset:52 ; 4-byte Folded Spill
	buffer_store_dword v21, off, s[36:39], 0 offset:56 ; 4-byte Folded Spill
	s_nop 0
	buffer_store_dword v22, off, s[36:39], 0 offset:60 ; 4-byte Folded Spill
	;; [unrolled: 14-line block ×3, first 2 shown]
	v_addc_co_u32_e32 v1, vcc, 0, v11, vcc
	v_mul_lo_u32 v1, s14, v1
	v_mul_lo_u32 v12, s15, v0
	v_mad_u64_u32 v[15:16], s[0:1], s14, v0, v[2:3]
	v_mad_u64_u32 v[17:18], s[0:1], s14, v0, v[6:7]
	v_add_co_u32_e32 v0, vcc, 28, v10
	v_add3_u32 v20, v14, v20, v13
	v_add3_u32 v22, v14, v22, v13
	v_addc_co_u32_e32 v13, vcc, 0, v11, vcc
	v_mul_lo_u32 v13, s14, v13
	v_mul_lo_u32 v14, s15, v0
	v_mad_u64_u32 v[43:44], s[0:1], s14, v0, v[2:3]
	v_mad_u64_u32 v[45:46], s[0:1], s14, v0, v[6:7]
	v_add_co_u32_e32 v0, vcc, 32, v10
	v_add3_u32 v16, v12, v16, v1
	v_add3_u32 v18, v12, v18, v1
	;; [unrolled: 8-line block ×3, first 2 shown]
	v_addc_co_u32_e32 v13, vcc, 0, v11, vcc
	v_mul_lo_u32 v14, s15, v0
	v_mad_u64_u32 v[51:52], s[0:1], s14, v0, v[2:3]
	v_mad_u64_u32 v[53:54], s[0:1], s14, v0, v[6:7]
	v_add_co_u32_e32 v0, vcc, 40, v10
	v_add3_u32 v48, v12, v48, v1
	v_add3_u32 v50, v12, v50, v1
	v_addc_co_u32_e32 v1, vcc, 0, v11, vcc
	v_mul_lo_u32 v1, s14, v1
	v_mul_lo_u32 v12, s15, v0
	v_mad_u64_u32 v[55:56], s[0:1], s14, v0, v[2:3]
	v_mad_u64_u32 v[57:58], s[0:1], s14, v0, v[6:7]
	v_add_co_u32_e32 v0, vcc, 44, v10
	v_add3_u32 v56, v12, v56, v1
	v_add3_u32 v58, v12, v58, v1
	v_addc_co_u32_e32 v1, vcc, 0, v11, vcc
	v_mul_lo_u32 v1, s14, v1
	v_mul_lo_u32 v12, s15, v0
	v_mad_u64_u32 v[59:60], s[0:1], s14, v0, v[2:3]
	v_mad_u64_u32 v[61:62], s[0:1], s14, v0, v[6:7]
	v_mul_lo_u32 v13, s14, v13
	v_add_co_u32_e32 v0, vcc, 48, v10
	buffer_store_dword v19, off, s[36:39], 0 offset:80 ; 4-byte Folded Spill
	s_nop 0
	buffer_store_dword v20, off, s[36:39], 0 offset:84 ; 4-byte Folded Spill
	v_add3_u32 v60, v12, v60, v1
	v_add3_u32 v62, v12, v62, v1
	v_addc_co_u32_e32 v1, vcc, 0, v11, vcc
	v_add3_u32 v52, v14, v52, v13
	v_add3_u32 v54, v14, v54, v13
	v_mul_lo_u32 v12, s14, v1
	v_mul_lo_u32 v13, s15, v0
	v_mad_u64_u32 v[19:20], s[0:1], s14, v0, v[2:3]
	v_mad_u64_u32 v[0:1], s[0:1], s14, v0, v[6:7]
	v_add3_u32 v20, v13, v20, v12
	buffer_store_dword v21, off, s[36:39], 0 offset:88 ; 4-byte Folded Spill
	s_nop 0
	buffer_store_dword v22, off, s[36:39], 0 offset:92 ; 4-byte Folded Spill
	v_add3_u32 v1, v13, v1, v12
	v_add_co_u32_e32 v12, vcc, 52, v10
	v_addc_co_u32_e32 v13, vcc, 0, v11, vcc
	v_mul_lo_u32 v13, s14, v13
	v_mul_lo_u32 v14, s15, v12
	v_mad_u64_u32 v[21:22], s[0:1], s14, v12, v[2:3]
	v_mad_u64_u32 v[23:24], s[0:1], s14, v12, v[6:7]
	v_add_co_u32_e32 v12, vcc, 56, v10
	v_add3_u32 v22, v14, v22, v13
	v_add3_u32 v24, v14, v24, v13
	v_addc_co_u32_e32 v13, vcc, 0, v11, vcc
	v_add_co_u32_e32 v10, vcc, 60, v10
	v_addc_co_u32_e32 v11, vcc, 0, v11, vcc
	v_mad_u64_u32 v[25:26], s[0:1], s14, v12, v[2:3]
	v_mad_u64_u32 v[29:30], s[0:1], s14, v10, v[2:3]
	v_mul_lo_u32 v2, s14, v11
	v_mad_u64_u32 v[31:32], s[0:1], s14, v10, v[6:7]
	v_mul_lo_u32 v3, s15, v10
	v_mad_u64_u32 v[27:28], s[0:1], s14, v12, v[6:7]
	buffer_store_dword v15, off, s[36:39], 0 offset:96 ; 4-byte Folded Spill
	s_nop 0
	buffer_store_dword v16, off, s[36:39], 0 offset:100 ; 4-byte Folded Spill
	v_add3_u32 v30, v3, v30, v2
	v_add3_u32 v32, v3, v32, v2
	v_add_co_u32_e32 v2, vcc, 15, v8
	v_addc_co_u32_e32 v3, vcc, 0, v9, vcc
	v_mul_lo_u32 v6, s14, v3
	v_mul_lo_u32 v7, s15, v2
	v_mad_u64_u32 v[2:3], s[0:1], s14, v2, 0
	buffer_store_dword v17, off, s[36:39], 0 offset:104 ; 4-byte Folded Spill
	s_nop 0
	buffer_store_dword v18, off, s[36:39], 0 offset:108 ; 4-byte Folded Spill
	v_mul_lo_u32 v13, s14, v13
	v_add3_u32 v3, v3, v6, v7
	v_lshlrev_b64 v[2:3], 2, v[2:3]
	v_mov_b32_e32 v6, s17
	v_add_co_u32_e32 v7, vcc, s16, v2
	v_addc_co_u32_e32 v6, vcc, v6, v3, vcc
	buffer_store_dword v6, off, s[36:39], 0 offset:116 ; 4-byte Folded Spill
	v_mov_b32_e32 v6, s19
	v_add_co_u32_e32 v2, vcc, s18, v2
	buffer_store_dword v2, off, s[36:39], 0 offset:120 ; 4-byte Folded Spill
	v_addc_co_u32_e32 v2, vcc, v6, v3, vcc
	buffer_store_dword v2, off, s[36:39], 0 offset:124 ; 4-byte Folded Spill
	v_add_co_u32_e32 v2, vcc, 14, v8
	v_addc_co_u32_e32 v3, vcc, 0, v9, vcc
	buffer_store_dword v7, off, s[36:39], 0 offset:112 ; 4-byte Folded Spill
	v_mul_lo_u32 v6, s14, v3
	v_mul_lo_u32 v7, s15, v2
	v_mad_u64_u32 v[2:3], s[0:1], s14, v2, 0
	v_mul_lo_u32 v14, s15, v12
	v_add3_u32 v3, v3, v6, v7
	v_lshlrev_b64 v[2:3], 2, v[2:3]
	v_mov_b32_e32 v6, s17
	v_add_co_u32_e32 v7, vcc, s16, v2
	v_addc_co_u32_e32 v6, vcc, v6, v3, vcc
	buffer_store_dword v6, off, s[36:39], 0 offset:132 ; 4-byte Folded Spill
	v_mov_b32_e32 v6, s19
	v_add_co_u32_e32 v2, vcc, s18, v2
	buffer_store_dword v2, off, s[36:39], 0 offset:136 ; 4-byte Folded Spill
	v_addc_co_u32_e32 v2, vcc, v6, v3, vcc
	buffer_store_dword v2, off, s[36:39], 0 offset:140 ; 4-byte Folded Spill
	v_add_co_u32_e32 v2, vcc, 13, v8
	v_addc_co_u32_e32 v3, vcc, 0, v9, vcc
	buffer_store_dword v7, off, s[36:39], 0 offset:128 ; 4-byte Folded Spill
	v_mul_lo_u32 v6, s14, v3
	v_mul_lo_u32 v7, s15, v2
	v_mad_u64_u32 v[2:3], s[0:1], s14, v2, 0
	v_add3_u32 v26, v14, v26, v13
	v_add3_u32 v28, v14, v28, v13
	v_add3_u32 v3, v3, v6, v7
	v_lshlrev_b64 v[2:3], 2, v[2:3]
	v_mov_b32_e32 v6, s17
	v_add_co_u32_e32 v7, vcc, s16, v2
	v_addc_co_u32_e32 v6, vcc, v6, v3, vcc
	buffer_store_dword v6, off, s[36:39], 0 offset:148 ; 4-byte Folded Spill
	v_mov_b32_e32 v6, s19
	v_add_co_u32_e32 v2, vcc, s18, v2
	buffer_store_dword v2, off, s[36:39], 0 offset:152 ; 4-byte Folded Spill
	v_addc_co_u32_e32 v2, vcc, v6, v3, vcc
	buffer_store_dword v2, off, s[36:39], 0 offset:156 ; 4-byte Folded Spill
	v_add_co_u32_e32 v2, vcc, 12, v8
	v_addc_co_u32_e32 v3, vcc, 0, v9, vcc
	buffer_store_dword v7, off, s[36:39], 0 offset:144 ; 4-byte Folded Spill
	v_mul_lo_u32 v6, s14, v3
	v_mul_lo_u32 v7, s15, v2
	v_mad_u64_u32 v[2:3], s[0:1], s14, v2, 0
	v_add3_u32 v3, v3, v6, v7
	v_lshlrev_b64 v[2:3], 2, v[2:3]
	v_mov_b32_e32 v6, s17
	v_add_co_u32_e32 v7, vcc, s16, v2
	v_addc_co_u32_e32 v6, vcc, v6, v3, vcc
	buffer_store_dword v6, off, s[36:39], 0 offset:164 ; 4-byte Folded Spill
	v_mov_b32_e32 v6, s19
	v_add_co_u32_e32 v2, vcc, s18, v2
	buffer_store_dword v2, off, s[36:39], 0 offset:168 ; 4-byte Folded Spill
	v_addc_co_u32_e32 v2, vcc, v6, v3, vcc
	buffer_store_dword v2, off, s[36:39], 0 offset:172 ; 4-byte Folded Spill
	v_add_co_u32_e32 v2, vcc, 11, v8
	v_addc_co_u32_e32 v3, vcc, 0, v9, vcc
	buffer_store_dword v7, off, s[36:39], 0 offset:160 ; 4-byte Folded Spill
	v_mul_lo_u32 v6, s14, v3
	v_mul_lo_u32 v7, s15, v2
	v_mad_u64_u32 v[2:3], s[0:1], s14, v2, 0
	v_add3_u32 v3, v3, v6, v7
	;; [unrolled: 17-line block ×11, first 2 shown]
	v_lshlrev_b64 v[2:3], 2, v[2:3]
	v_mov_b32_e32 v6, s17
	v_add_co_u32_e32 v7, vcc, s16, v2
	v_addc_co_u32_e32 v6, vcc, v6, v3, vcc
	buffer_store_dword v6, off, s[36:39], 0 offset:328 ; 4-byte Folded Spill
	v_mov_b32_e32 v6, s19
	v_add_co_u32_e32 v2, vcc, s18, v2
	buffer_store_dword v2, off, s[36:39], 0 offset:332 ; 4-byte Folded Spill
	v_addc_co_u32_e32 v2, vcc, v6, v3, vcc
	buffer_store_dword v2, off, s[36:39], 0 offset:336 ; 4-byte Folded Spill
	v_lshlrev_b64 v[2:3], 2, v[4:5]
	v_mov_b32_e32 v4, s17
	v_add_co_u32_e32 v5, vcc, s16, v2
	v_addc_co_u32_e32 v4, vcc, v4, v3, vcc
	buffer_store_dword v4, off, s[36:39], 0 offset:344 ; 4-byte Folded Spill
	v_mov_b32_e32 v4, s19
	v_add_co_u32_e32 v2, vcc, s18, v2
	buffer_store_dword v2, off, s[36:39], 0 offset:348 ; 4-byte Folded Spill
	v_addc_co_u32_e32 v2, vcc, v4, v3, vcc
	buffer_store_dword v2, off, s[36:39], 0 offset:352 ; 4-byte Folded Spill
	v_mov_b32_e32 v2, 0
	v_add_u32_e32 v3, s33, v42
	v_mov_b32_e32 v4, v2
	v_lshlrev_b64 v[33:34], 2, v[3:4]
	v_mbcnt_lo_u32_b32 v3, -1, 0
	v_mbcnt_hi_u32_b32 v3, -1, v3
	v_lshlrev_b32_e32 v3, 2, v3
	v_and_b32_e32 v35, 0x100, v3
	buffer_store_dword v7, off, s[36:39], 0 offset:324 ; 4-byte Folded Spill
	buffer_store_dword v5, off, s[36:39], 0 offset:340 ; 4-byte Folded Spill
.LBB151_86:                             ; =>This Inner Loop Header: Depth=1
	v_mov_b32_e32 v3, s12
	v_mov_b32_e32 v4, s13
	v_cmp_ge_i64_e32 vcc, s[22:23], v[3:4]
	buffer_load_dword v4, off, s[36:39], 0 offset:412 ; 4-byte Folded Reload
	v_mov_b32_e32 v3, s23
	s_and_b64 vcc, exec, vcc
                                        ; implicit-def: $vgpr36
	s_waitcnt vmcnt(0)
	v_add_co_u32_e64 v37, s[0:1], s22, v4
	v_addc_co_u32_e64 v38, s[0:1], 0, v3, s[0:1]
	s_mov_b64 s[0:1], -1
	s_cbranch_vccz .LBB151_124
; %bb.87:                               ;   in Loop: Header=BB151_86 Depth=1
	buffer_load_dword v3, off, s[36:39], 0 offset:208 ; 4-byte Folded Reload
	s_load_dword s0, s[2:3], 0xc
	v_mov_b32_e32 v36, 0
	v_mov_b32_e32 v39, 0
	s_waitcnt lgkmcnt(0)
	s_and_b32 s0, s0, 0xffff
	s_waitcnt vmcnt(0)
	v_mad_u32_u24 v3, v3, s0, v42
	v_and_b32_e32 v3, 63, v3
	v_cmp_gt_u32_e32 vcc, 16, v3
	s_and_saveexec_b64 s[0:1], vcc
	s_cbranch_execz .LBB151_91
; %bb.88:                               ;   in Loop: Header=BB151_86 Depth=1
	v_add_co_u32_e32 v3, vcc, v37, v3
	v_addc_co_u32_e32 v4, vcc, 0, v38, vcc
	v_add_co_u32_e32 v3, vcc, 0xffffff01, v3
	v_addc_co_u32_e32 v4, vcc, -1, v4, vcc
	v_cmp_gt_i64_e32 vcc, s[12:13], v[3:4]
	v_mov_b32_e32 v39, 0
	s_and_saveexec_b64 s[16:17], vcc
	s_cbranch_execz .LBB151_90
; %bb.89:                               ;   in Loop: Header=BB151_86 Depth=1
	v_lshlrev_b64 v[3:4], 2, v[3:4]
	v_mov_b32_e32 v5, s11
	v_add_co_u32_e32 v3, vcc, s10, v3
	v_addc_co_u32_e32 v4, vcc, v5, v4, vcc
	global_load_dword v39, v[3:4], off
.LBB151_90:                             ;   in Loop: Header=BB151_86 Depth=1
	s_or_b64 exec, exec, s[16:17]
.LBB151_91:                             ;   in Loop: Header=BB151_86 Depth=1
	s_or_b64 exec, exec, s[0:1]
	v_add_co_u32_e32 v3, vcc, 0xffffff01, v37
	v_addc_co_u32_e32 v4, vcc, -1, v38, vcc
	v_cmp_gt_i64_e32 vcc, s[12:13], v[3:4]
	v_mov_b32_e32 v3, v2
	v_mov_b32_e32 v4, v2
	;; [unrolled: 1-line block ×31, first 2 shown]
	s_and_saveexec_b64 s[0:1], vcc
	s_cbranch_execz .LBB151_93
; %bb.92:                               ;   in Loop: Header=BB151_86 Depth=1
	buffer_load_dword v3, off, s[36:39], 0  ; 4-byte Folded Reload
	buffer_load_dword v4, off, s[36:39], 0 offset:4 ; 4-byte Folded Reload
	buffer_load_dword v5, off, s[36:39], 0 offset:12 ; 4-byte Folded Reload
	v_mov_b32_e32 v6, v2
	v_mov_b32_e32 v7, v2
	;; [unrolled: 1-line block ×13, first 2 shown]
	s_waitcnt vmcnt(2)
	v_add_co_u32_e32 v3, vcc, v3, v33
	s_waitcnt vmcnt(1)
	v_addc_co_u32_e32 v4, vcc, v4, v34, vcc
	global_load_dword v3, v[3:4], off
	s_nop 0
	buffer_load_dword v4, off, s[36:39], 0 offset:8 ; 4-byte Folded Reload
	s_waitcnt vmcnt(0)
	v_add_co_u32_e32 v4, vcc, v4, v33
	v_addc_co_u32_e32 v5, vcc, v5, v34, vcc
	global_load_dword v36, v[4:5], off
	v_mov_b32_e32 v4, v2
	v_mov_b32_e32 v5, v2
.LBB151_93:                             ;   in Loop: Header=BB151_86 Depth=1
	s_or_b64 exec, exec, s[0:1]
	v_add_co_u32_e32 v40, vcc, 0xffffff02, v37
	v_addc_co_u32_e32 v41, vcc, -1, v38, vcc
	v_cmp_gt_i64_e32 vcc, s[12:13], v[40:41]
	v_mov_b32_e32 v40, 0
	buffer_store_dword v40, off, s[36:39], 0 offset:356 ; 4-byte Folded Spill
	v_mov_b32_e32 v40, 0
	buffer_store_dword v40, off, s[36:39], 0 offset:360 ; 4-byte Folded Spill
	s_and_saveexec_b64 s[0:1], vcc
	s_cbranch_execz .LBB151_95
; %bb.94:                               ;   in Loop: Header=BB151_86 Depth=1
	buffer_load_dword v4, off, s[36:39], 0 offset:340 ; 4-byte Folded Reload
	s_waitcnt vmcnt(0)
	v_add_co_u32_e32 v40, vcc, v4, v33
	buffer_load_dword v4, off, s[36:39], 0 offset:344 ; 4-byte Folded Reload
	s_waitcnt vmcnt(0)
	v_addc_co_u32_e32 v41, vcc, v4, v34, vcc
	global_load_dword v4, v[40:41], off
	s_nop 0
	buffer_load_dword v40, off, s[36:39], 0 offset:348 ; 4-byte Folded Reload
	buffer_load_dword v41, off, s[36:39], 0 offset:352 ; 4-byte Folded Reload
	s_waitcnt vmcnt(1)
	v_add_co_u32_e32 v40, vcc, v40, v33
	s_waitcnt vmcnt(0)
	v_addc_co_u32_e32 v41, vcc, v41, v34, vcc
	global_load_dword v40, v[40:41], off
	s_waitcnt vmcnt(0)
	buffer_store_dword v40, off, s[36:39], 0 offset:360 ; 4-byte Folded Spill
.LBB151_95:                             ;   in Loop: Header=BB151_86 Depth=1
	s_or_b64 exec, exec, s[0:1]
	v_add_co_u32_e32 v40, vcc, 0xffffff03, v37
	v_addc_co_u32_e32 v41, vcc, -1, v38, vcc
	v_cmp_gt_i64_e32 vcc, s[12:13], v[40:41]
	s_and_saveexec_b64 s[0:1], vcc
	s_cbranch_execz .LBB151_97
; %bb.96:                               ;   in Loop: Header=BB151_86 Depth=1
	buffer_load_dword v5, off, s[36:39], 0 offset:324 ; 4-byte Folded Reload
	s_waitcnt vmcnt(0)
	v_add_co_u32_e32 v40, vcc, v5, v33
	buffer_load_dword v5, off, s[36:39], 0 offset:328 ; 4-byte Folded Reload
	s_waitcnt vmcnt(0)
	v_addc_co_u32_e32 v41, vcc, v5, v34, vcc
	global_load_dword v5, v[40:41], off
	s_nop 0
	buffer_load_dword v40, off, s[36:39], 0 offset:332 ; 4-byte Folded Reload
	buffer_load_dword v41, off, s[36:39], 0 offset:336 ; 4-byte Folded Reload
	s_waitcnt vmcnt(1)
	v_add_co_u32_e32 v40, vcc, v40, v33
	s_waitcnt vmcnt(0)
	v_addc_co_u32_e32 v41, vcc, v41, v34, vcc
	global_load_dword v40, v[40:41], off
	s_waitcnt vmcnt(0)
	buffer_store_dword v40, off, s[36:39], 0 offset:356 ; 4-byte Folded Spill
.LBB151_97:                             ;   in Loop: Header=BB151_86 Depth=1
	s_or_b64 exec, exec, s[0:1]
	v_add_co_u32_e32 v40, vcc, 0xffffff04, v37
	v_addc_co_u32_e32 v41, vcc, -1, v38, vcc
	v_cmp_gt_i64_e32 vcc, s[12:13], v[40:41]
	v_mov_b32_e32 v40, 0
	buffer_store_dword v40, off, s[36:39], 0 offset:364 ; 4-byte Folded Spill
	v_mov_b32_e32 v40, 0
	buffer_store_dword v40, off, s[36:39], 0 offset:368 ; 4-byte Folded Spill
	s_and_saveexec_b64 s[0:1], vcc
	s_cbranch_execz .LBB151_99
; %bb.98:                               ;   in Loop: Header=BB151_86 Depth=1
	buffer_load_dword v6, off, s[36:39], 0 offset:308 ; 4-byte Folded Reload
	s_waitcnt vmcnt(0)
	v_add_co_u32_e32 v40, vcc, v6, v33
	buffer_load_dword v6, off, s[36:39], 0 offset:312 ; 4-byte Folded Reload
	s_waitcnt vmcnt(0)
	v_addc_co_u32_e32 v41, vcc, v6, v34, vcc
	global_load_dword v6, v[40:41], off
	s_nop 0
	buffer_load_dword v40, off, s[36:39], 0 offset:316 ; 4-byte Folded Reload
	buffer_load_dword v41, off, s[36:39], 0 offset:320 ; 4-byte Folded Reload
	s_waitcnt vmcnt(1)
	v_add_co_u32_e32 v40, vcc, v40, v33
	s_waitcnt vmcnt(0)
	v_addc_co_u32_e32 v41, vcc, v41, v34, vcc
	global_load_dword v40, v[40:41], off
	s_waitcnt vmcnt(0)
	buffer_store_dword v40, off, s[36:39], 0 offset:368 ; 4-byte Folded Spill
.LBB151_99:                             ;   in Loop: Header=BB151_86 Depth=1
	s_or_b64 exec, exec, s[0:1]
	v_add_co_u32_e32 v40, vcc, 0xffffff05, v37
	v_addc_co_u32_e32 v41, vcc, -1, v38, vcc
	v_cmp_gt_i64_e32 vcc, s[12:13], v[40:41]
	s_and_saveexec_b64 s[0:1], vcc
	s_cbranch_execz .LBB151_101
; %bb.100:                              ;   in Loop: Header=BB151_86 Depth=1
	buffer_load_dword v7, off, s[36:39], 0 offset:292 ; 4-byte Folded Reload
	s_waitcnt vmcnt(0)
	v_add_co_u32_e32 v40, vcc, v7, v33
	buffer_load_dword v7, off, s[36:39], 0 offset:296 ; 4-byte Folded Reload
	s_waitcnt vmcnt(0)
	v_addc_co_u32_e32 v41, vcc, v7, v34, vcc
	global_load_dword v7, v[40:41], off
	s_nop 0
	buffer_load_dword v40, off, s[36:39], 0 offset:300 ; 4-byte Folded Reload
	buffer_load_dword v41, off, s[36:39], 0 offset:304 ; 4-byte Folded Reload
	s_waitcnt vmcnt(1)
	v_add_co_u32_e32 v40, vcc, v40, v33
	s_waitcnt vmcnt(0)
	v_addc_co_u32_e32 v41, vcc, v41, v34, vcc
	global_load_dword v40, v[40:41], off
	s_waitcnt vmcnt(0)
	buffer_store_dword v40, off, s[36:39], 0 offset:364 ; 4-byte Folded Spill
.LBB151_101:                            ;   in Loop: Header=BB151_86 Depth=1
	s_or_b64 exec, exec, s[0:1]
	v_add_co_u32_e32 v40, vcc, 0xffffff06, v37
	v_addc_co_u32_e32 v41, vcc, -1, v38, vcc
	v_cmp_gt_i64_e32 vcc, s[12:13], v[40:41]
	v_mov_b32_e32 v40, 0
	buffer_store_dword v40, off, s[36:39], 0 offset:372 ; 4-byte Folded Spill
	v_mov_b32_e32 v40, 0
	buffer_store_dword v40, off, s[36:39], 0 offset:376 ; 4-byte Folded Spill
	s_and_saveexec_b64 s[0:1], vcc
	s_cbranch_execz .LBB151_103
; %bb.102:                              ;   in Loop: Header=BB151_86 Depth=1
	buffer_load_dword v8, off, s[36:39], 0 offset:276 ; 4-byte Folded Reload
	s_waitcnt vmcnt(0)
	v_add_co_u32_e32 v40, vcc, v8, v33
	buffer_load_dword v8, off, s[36:39], 0 offset:280 ; 4-byte Folded Reload
	s_waitcnt vmcnt(0)
	v_addc_co_u32_e32 v41, vcc, v8, v34, vcc
	global_load_dword v8, v[40:41], off
	s_nop 0
	buffer_load_dword v40, off, s[36:39], 0 offset:284 ; 4-byte Folded Reload
	buffer_load_dword v41, off, s[36:39], 0 offset:288 ; 4-byte Folded Reload
	s_waitcnt vmcnt(1)
	v_add_co_u32_e32 v40, vcc, v40, v33
	s_waitcnt vmcnt(0)
	v_addc_co_u32_e32 v41, vcc, v41, v34, vcc
	global_load_dword v40, v[40:41], off
	s_waitcnt vmcnt(0)
	buffer_store_dword v40, off, s[36:39], 0 offset:376 ; 4-byte Folded Spill
.LBB151_103:                            ;   in Loop: Header=BB151_86 Depth=1
	s_or_b64 exec, exec, s[0:1]
	v_add_co_u32_e32 v40, vcc, 0xffffff07, v37
	v_addc_co_u32_e32 v41, vcc, -1, v38, vcc
	v_cmp_gt_i64_e32 vcc, s[12:13], v[40:41]
	s_and_saveexec_b64 s[0:1], vcc
	s_cbranch_execz .LBB151_105
; %bb.104:                              ;   in Loop: Header=BB151_86 Depth=1
	buffer_load_dword v9, off, s[36:39], 0 offset:260 ; 4-byte Folded Reload
	s_waitcnt vmcnt(0)
	v_add_co_u32_e32 v40, vcc, v9, v33
	buffer_load_dword v9, off, s[36:39], 0 offset:264 ; 4-byte Folded Reload
	s_waitcnt vmcnt(0)
	v_addc_co_u32_e32 v41, vcc, v9, v34, vcc
	global_load_dword v9, v[40:41], off
	s_nop 0
	buffer_load_dword v40, off, s[36:39], 0 offset:268 ; 4-byte Folded Reload
	buffer_load_dword v41, off, s[36:39], 0 offset:272 ; 4-byte Folded Reload
	s_waitcnt vmcnt(1)
	v_add_co_u32_e32 v40, vcc, v40, v33
	s_waitcnt vmcnt(0)
	v_addc_co_u32_e32 v41, vcc, v41, v34, vcc
	global_load_dword v40, v[40:41], off
	s_waitcnt vmcnt(0)
	buffer_store_dword v40, off, s[36:39], 0 offset:372 ; 4-byte Folded Spill
.LBB151_105:                            ;   in Loop: Header=BB151_86 Depth=1
	s_or_b64 exec, exec, s[0:1]
	v_add_co_u32_e32 v40, vcc, 0xffffff08, v37
	v_addc_co_u32_e32 v41, vcc, -1, v38, vcc
	v_cmp_gt_i64_e32 vcc, s[12:13], v[40:41]
	v_mov_b32_e32 v40, 0
	buffer_store_dword v40, off, s[36:39], 0 offset:380 ; 4-byte Folded Spill
	v_mov_b32_e32 v40, 0
	buffer_store_dword v40, off, s[36:39], 0 offset:384 ; 4-byte Folded Spill
	s_and_saveexec_b64 s[0:1], vcc
	s_cbranch_execz .LBB151_107
; %bb.106:                              ;   in Loop: Header=BB151_86 Depth=1
	buffer_load_dword v10, off, s[36:39], 0 offset:244 ; 4-byte Folded Reload
	s_waitcnt vmcnt(0)
	v_add_co_u32_e32 v40, vcc, v10, v33
	buffer_load_dword v10, off, s[36:39], 0 offset:248 ; 4-byte Folded Reload
	s_waitcnt vmcnt(0)
	v_addc_co_u32_e32 v41, vcc, v10, v34, vcc
	global_load_dword v10, v[40:41], off
	s_nop 0
	buffer_load_dword v40, off, s[36:39], 0 offset:252 ; 4-byte Folded Reload
	buffer_load_dword v41, off, s[36:39], 0 offset:256 ; 4-byte Folded Reload
	s_waitcnt vmcnt(1)
	v_add_co_u32_e32 v40, vcc, v40, v33
	s_waitcnt vmcnt(0)
	v_addc_co_u32_e32 v41, vcc, v41, v34, vcc
	global_load_dword v40, v[40:41], off
	s_waitcnt vmcnt(0)
	buffer_store_dword v40, off, s[36:39], 0 offset:384 ; 4-byte Folded Spill
.LBB151_107:                            ;   in Loop: Header=BB151_86 Depth=1
	;; [unrolled: 54-line block ×5, first 2 shown]
	s_or_b64 exec, exec, s[0:1]
	v_add_co_u32_e32 v40, vcc, 0xffffff0f, v37
	v_addc_co_u32_e32 v41, vcc, -1, v38, vcc
	v_cmp_gt_i64_e32 vcc, s[12:13], v[40:41]
	s_and_saveexec_b64 s[0:1], vcc
	s_cbranch_execz .LBB151_121
; %bb.120:                              ;   in Loop: Header=BB151_86 Depth=1
	buffer_load_dword v17, off, s[36:39], 0 offset:128 ; 4-byte Folded Reload
	s_waitcnt vmcnt(0)
	v_add_co_u32_e32 v40, vcc, v17, v33
	buffer_load_dword v17, off, s[36:39], 0 offset:132 ; 4-byte Folded Reload
	s_waitcnt vmcnt(0)
	v_addc_co_u32_e32 v41, vcc, v17, v34, vcc
	global_load_dword v17, v[40:41], off
	s_nop 0
	buffer_load_dword v40, off, s[36:39], 0 offset:136 ; 4-byte Folded Reload
	buffer_load_dword v41, off, s[36:39], 0 offset:140 ; 4-byte Folded Reload
	s_waitcnt vmcnt(1)
	v_add_co_u32_e32 v40, vcc, v40, v33
	s_waitcnt vmcnt(0)
	v_addc_co_u32_e32 v41, vcc, v41, v34, vcc
	global_load_dword v40, v[40:41], off
	s_waitcnt vmcnt(0)
	buffer_store_dword v40, off, s[36:39], 0 offset:404 ; 4-byte Folded Spill
.LBB151_121:                            ;   in Loop: Header=BB151_86 Depth=1
	s_or_b64 exec, exec, s[0:1]
	v_add_co_u32_e32 v40, vcc, 0xffffff10, v37
	v_addc_co_u32_e32 v41, vcc, -1, v38, vcc
	v_cmp_gt_i64_e32 vcc, s[12:13], v[40:41]
	v_mov_b32_e32 v40, 0
	s_and_saveexec_b64 s[0:1], vcc
	s_cbranch_execz .LBB151_123
; %bb.122:                              ;   in Loop: Header=BB151_86 Depth=1
	buffer_load_dword v18, off, s[36:39], 0 offset:112 ; 4-byte Folded Reload
	s_waitcnt vmcnt(0)
	v_add_co_u32_e32 v40, vcc, v18, v33
	buffer_load_dword v18, off, s[36:39], 0 offset:116 ; 4-byte Folded Reload
	s_waitcnt vmcnt(0)
	v_addc_co_u32_e32 v41, vcc, v18, v34, vcc
	global_load_dword v18, v[40:41], off
	s_nop 0
	buffer_load_dword v40, off, s[36:39], 0 offset:120 ; 4-byte Folded Reload
	buffer_load_dword v41, off, s[36:39], 0 offset:124 ; 4-byte Folded Reload
	s_waitcnt vmcnt(1)
	v_add_co_u32_e32 v40, vcc, v40, v33
	s_waitcnt vmcnt(0)
	v_addc_co_u32_e32 v41, vcc, v41, v34, vcc
	global_load_dword v40, v[40:41], off
.LBB151_123:                            ;   in Loop: Header=BB151_86 Depth=1
	s_or_b64 exec, exec, s[0:1]
	s_waitcnt vmcnt(14)
	ds_bpermute_b32 v41, v35, v39
	v_mul_f32_e32 v3, v36, v3
	s_mov_b64 s[0:1], 0
	s_waitcnt lgkmcnt(0)
	v_fma_f32 v36, v3, v41, v63
	buffer_load_dword v41, off, s[36:39], 0 offset:360 ; 4-byte Folded Reload
	ds_bpermute_b32 v3, v35, v39 offset:4
	s_waitcnt vmcnt(0)
	v_mul_f32_e32 v4, v41, v4
	s_waitcnt lgkmcnt(0)
	v_fmac_f32_e32 v36, v4, v3
	buffer_load_dword v4, off, s[36:39], 0 offset:356 ; 4-byte Folded Reload
	ds_bpermute_b32 v3, v35, v39 offset:8
	s_waitcnt vmcnt(0)
	v_mul_f32_e32 v4, v4, v5
	s_waitcnt lgkmcnt(0)
	v_fmac_f32_e32 v36, v4, v3
	;; [unrolled: 6-line block ×14, first 2 shown]
	ds_bpermute_b32 v3, v35, v39 offset:60
	v_mul_f32_e32 v4, v40, v18
	s_waitcnt lgkmcnt(0)
	v_fmac_f32_e32 v36, v4, v3
.LBB151_124:                            ;   in Loop: Header=BB151_86 Depth=1
	s_and_b64 vcc, exec, s[0:1]
	s_cbranch_vccz .LBB151_130
; %bb.125:                              ;   in Loop: Header=BB151_86 Depth=1
	s_load_dword s0, s[2:3], 0x0
	buffer_load_dword v4, off, s[36:39], 0 offset:208 ; 4-byte Folded Reload
	v_mov_b32_e32 v5, 0
	s_waitcnt lgkmcnt(0)
	s_cmp_lt_u32 s6, s0
	s_cselect_b32 s0, 12, 18
	s_add_u32 s0, s2, s0
	s_addc_u32 s1, s3, 0
	global_load_ushort v3, v2, s[0:1]
	s_waitcnt vmcnt(0)
	v_mad_u32_u24 v3, v4, v3, v42
	v_and_b32_e32 v3, 63, v3
	v_cmp_gt_u32_e32 vcc, 16, v3
	s_and_saveexec_b64 s[0:1], vcc
	s_cbranch_execz .LBB151_129
; %bb.126:                              ;   in Loop: Header=BB151_86 Depth=1
	v_add_co_u32_e32 v3, vcc, v37, v3
	v_addc_co_u32_e32 v4, vcc, 0, v38, vcc
	v_add_co_u32_e32 v3, vcc, 0xffffff01, v3
	v_addc_co_u32_e32 v4, vcc, -1, v4, vcc
	v_cmp_gt_i64_e32 vcc, s[12:13], v[3:4]
	v_mov_b32_e32 v5, 0
	s_and_saveexec_b64 s[16:17], vcc
	s_cbranch_execz .LBB151_128
; %bb.127:                              ;   in Loop: Header=BB151_86 Depth=1
	v_lshlrev_b64 v[3:4], 2, v[3:4]
	v_mov_b32_e32 v5, s11
	v_add_co_u32_e32 v3, vcc, s10, v3
	v_addc_co_u32_e32 v4, vcc, v5, v4, vcc
	global_load_dword v5, v[3:4], off
.LBB151_128:                            ;   in Loop: Header=BB151_86 Depth=1
	s_or_b64 exec, exec, s[16:17]
.LBB151_129:                            ;   in Loop: Header=BB151_86 Depth=1
	s_or_b64 exec, exec, s[0:1]
	buffer_load_dword v3, off, s[36:39], 0  ; 4-byte Folded Reload
	buffer_load_dword v4, off, s[36:39], 0 offset:4 ; 4-byte Folded Reload
	s_waitcnt vmcnt(1)
	v_add_co_u32_e32 v3, vcc, v3, v33
	s_waitcnt vmcnt(0)
	v_addc_co_u32_e32 v4, vcc, v4, v34, vcc
	global_load_dword v3, v[3:4], off
	s_nop 0
	buffer_load_dword v4, off, s[36:39], 0 offset:8 ; 4-byte Folded Reload
	s_waitcnt vmcnt(0)
	v_add_co_u32_e32 v6, vcc, v4, v33
	buffer_load_dword v4, off, s[36:39], 0 offset:12 ; 4-byte Folded Reload
	s_waitcnt vmcnt(0)
	v_addc_co_u32_e32 v7, vcc, v4, v34, vcc
	global_load_dword v4, v[6:7], off
	s_waitcnt vmcnt(0)
	v_mul_f32_e32 v3, v3, v4
	ds_bpermute_b32 v4, v35, v5
	s_waitcnt lgkmcnt(0)
	v_fmac_f32_e32 v63, v3, v4
	buffer_load_dword v3, off, s[36:39], 0 offset:16 ; 4-byte Folded Reload
	buffer_load_dword v4, off, s[36:39], 0 offset:20 ; 4-byte Folded Reload
	s_waitcnt vmcnt(1)
	v_add_co_u32_e32 v3, vcc, v3, v33
	s_waitcnt vmcnt(0)
	v_addc_co_u32_e32 v4, vcc, v4, v34, vcc
	global_load_dword v6, v[3:4], off
	s_nop 0
	buffer_load_dword v3, off, s[36:39], 0 offset:24 ; 4-byte Folded Reload
	buffer_load_dword v4, off, s[36:39], 0 offset:28 ; 4-byte Folded Reload
	s_waitcnt vmcnt(1)
	v_add_co_u32_e32 v3, vcc, v3, v33
	s_waitcnt vmcnt(0)
	v_addc_co_u32_e32 v4, vcc, v4, v34, vcc
	global_load_dword v3, v[3:4], off
	ds_bpermute_b32 v4, v35, v5 offset:4
	s_waitcnt vmcnt(0)
	v_mul_f32_e32 v3, v6, v3
	s_waitcnt lgkmcnt(0)
	v_fmac_f32_e32 v63, v3, v4
	buffer_load_dword v3, off, s[36:39], 0 offset:32 ; 4-byte Folded Reload
	buffer_load_dword v4, off, s[36:39], 0 offset:36 ; 4-byte Folded Reload
	s_waitcnt vmcnt(1)
	v_add_co_u32_e32 v3, vcc, v3, v33
	s_waitcnt vmcnt(0)
	v_addc_co_u32_e32 v4, vcc, v4, v34, vcc
	global_load_dword v6, v[3:4], off
	s_nop 0
	buffer_load_dword v3, off, s[36:39], 0 offset:40 ; 4-byte Folded Reload
	buffer_load_dword v4, off, s[36:39], 0 offset:44 ; 4-byte Folded Reload
	s_waitcnt vmcnt(1)
	v_add_co_u32_e32 v3, vcc, v3, v33
	s_waitcnt vmcnt(0)
	v_addc_co_u32_e32 v4, vcc, v4, v34, vcc
	global_load_dword v3, v[3:4], off
	ds_bpermute_b32 v4, v35, v5 offset:8
	s_waitcnt vmcnt(0)
	v_mul_f32_e32 v3, v6, v3
	;; [unrolled: 20-line block ×6, first 2 shown]
	s_waitcnt lgkmcnt(0)
	v_fmac_f32_e32 v63, v3, v4
	v_add_co_u32_e32 v3, vcc, v43, v33
	v_addc_co_u32_e32 v4, vcc, v44, v34, vcc
	global_load_dword v6, v[3:4], off
	v_add_co_u32_e32 v3, vcc, v45, v33
	v_addc_co_u32_e32 v4, vcc, v46, v34, vcc
	global_load_dword v3, v[3:4], off
	ds_bpermute_b32 v4, v35, v5 offset:28
	s_waitcnt vmcnt(0)
	v_mul_f32_e32 v3, v6, v3
	s_waitcnt lgkmcnt(0)
	v_fmac_f32_e32 v63, v3, v4
	v_add_co_u32_e32 v3, vcc, v47, v33
	v_addc_co_u32_e32 v4, vcc, v48, v34, vcc
	global_load_dword v6, v[3:4], off
	v_add_co_u32_e32 v3, vcc, v49, v33
	v_addc_co_u32_e32 v4, vcc, v50, v34, vcc
	global_load_dword v3, v[3:4], off
	ds_bpermute_b32 v4, v35, v5 offset:32
	s_waitcnt vmcnt(0)
	v_mul_f32_e32 v3, v6, v3
	;; [unrolled: 11-line block ×9, first 2 shown]
	s_waitcnt lgkmcnt(0)
	v_fmac_f32_e32 v63, v3, v4
	v_mov_b32_e32 v36, v63
.LBB151_130:                            ;   in Loop: Header=BB151_86 Depth=1
	buffer_load_dword v3, off, s[36:39], 0  ; 4-byte Folded Reload
	buffer_load_dword v4, off, s[36:39], 0 offset:4 ; 4-byte Folded Reload
	s_add_u32 s20, s20, s7
	s_addc_u32 s21, s21, 0
	s_add_u32 s22, s22, s7
	s_addc_u32 s23, s23, 0
	s_waitcnt vmcnt(1)
	v_add_co_u32_e32 v3, vcc, s8, v3
	buffer_store_dword v3, off, s[36:39], 0 ; 4-byte Folded Spill
	v_mov_b32_e32 v3, s9
	s_waitcnt vmcnt(1)
	v_addc_co_u32_e32 v4, vcc, v4, v3, vcc
	buffer_store_dword v4, off, s[36:39], 0 offset:4 ; 4-byte Folded Spill
	buffer_load_dword v4, off, s[36:39], 0 offset:8 ; 4-byte Folded Reload
	s_waitcnt vmcnt(0)
	v_add_co_u32_e32 v4, vcc, s8, v4
	buffer_store_dword v4, off, s[36:39], 0 offset:8 ; 4-byte Folded Spill
	buffer_load_dword v4, off, s[36:39], 0 offset:12 ; 4-byte Folded Reload
	s_waitcnt vmcnt(0)
	v_addc_co_u32_e32 v4, vcc, v4, v3, vcc
	buffer_store_dword v4, off, s[36:39], 0 offset:12 ; 4-byte Folded Spill
	buffer_load_dword v4, off, s[36:39], 0 offset:16 ; 4-byte Folded Reload
	s_nop 0
	buffer_load_dword v5, off, s[36:39], 0 offset:20 ; 4-byte Folded Reload
	s_waitcnt vmcnt(1)
	v_add_co_u32_e32 v4, vcc, s8, v4
	s_waitcnt vmcnt(0)
	v_addc_co_u32_e32 v5, vcc, v5, v3, vcc
	buffer_store_dword v4, off, s[36:39], 0 offset:16 ; 4-byte Folded Spill
	s_nop 0
	buffer_store_dword v5, off, s[36:39], 0 offset:20 ; 4-byte Folded Spill
	buffer_load_dword v4, off, s[36:39], 0 offset:32 ; 4-byte Folded Reload
	s_nop 0
	buffer_load_dword v5, off, s[36:39], 0 offset:36 ; 4-byte Folded Reload
	s_waitcnt vmcnt(1)
	v_add_co_u32_e32 v4, vcc, s8, v4
	s_waitcnt vmcnt(0)
	v_addc_co_u32_e32 v5, vcc, v5, v3, vcc
	buffer_store_dword v4, off, s[36:39], 0 offset:32 ; 4-byte Folded Spill
	s_nop 0
	;; [unrolled: 10-line block ×6, first 2 shown]
	buffer_store_dword v5, off, s[36:39], 0 offset:100 ; 4-byte Folded Spill
	buffer_load_dword v4, off, s[36:39], 0 offset:24 ; 4-byte Folded Reload
	s_nop 0
	buffer_load_dword v5, off, s[36:39], 0 offset:28 ; 4-byte Folded Reload
	v_add_co_u32_e32 v43, vcc, s8, v43
	v_addc_co_u32_e32 v44, vcc, v44, v3, vcc
	v_add_co_u32_e32 v47, vcc, s8, v47
	v_addc_co_u32_e32 v48, vcc, v48, v3, vcc
	;; [unrolled: 2-line block ×9, first 2 shown]
	s_waitcnt vmcnt(1)
	v_add_co_u32_e32 v4, vcc, s8, v4
	s_waitcnt vmcnt(0)
	v_addc_co_u32_e32 v5, vcc, v5, v3, vcc
	buffer_store_dword v4, off, s[36:39], 0 offset:24 ; 4-byte Folded Spill
	s_nop 0
	buffer_store_dword v5, off, s[36:39], 0 offset:28 ; 4-byte Folded Spill
	buffer_load_dword v4, off, s[36:39], 0 offset:40 ; 4-byte Folded Reload
	s_nop 0
	buffer_load_dword v5, off, s[36:39], 0 offset:44 ; 4-byte Folded Reload
	s_waitcnt vmcnt(1)
	v_add_co_u32_e32 v4, vcc, s8, v4
	s_waitcnt vmcnt(0)
	v_addc_co_u32_e32 v5, vcc, v5, v3, vcc
	buffer_store_dword v4, off, s[36:39], 0 offset:40 ; 4-byte Folded Spill
	s_nop 0
	buffer_store_dword v5, off, s[36:39], 0 offset:44 ; 4-byte Folded Spill
	buffer_load_dword v4, off, s[36:39], 0 offset:56 ; 4-byte Folded Reload
	s_nop 0
	buffer_load_dword v5, off, s[36:39], 0 offset:60 ; 4-byte Folded Reload
	;; [unrolled: 10-line block ×5, first 2 shown]
	s_waitcnt vmcnt(1)
	v_add_co_u32_e32 v4, vcc, s8, v4
	s_waitcnt vmcnt(0)
	v_addc_co_u32_e32 v5, vcc, v5, v3, vcc
	buffer_store_dword v4, off, s[36:39], 0 offset:104 ; 4-byte Folded Spill
	s_nop 0
	buffer_store_dword v5, off, s[36:39], 0 offset:108 ; 4-byte Folded Spill
	buffer_load_dword v4, off, s[36:39], 0 offset:112 ; 4-byte Folded Reload
	v_add_co_u32_e32 v45, vcc, s8, v45
	v_addc_co_u32_e32 v46, vcc, v46, v3, vcc
	v_add_co_u32_e32 v49, vcc, s8, v49
	v_addc_co_u32_e32 v50, vcc, v50, v3, vcc
	;; [unrolled: 2-line block ×9, first 2 shown]
	s_waitcnt vmcnt(0)
	v_add_co_u32_e32 v4, vcc, s8, v4
	buffer_store_dword v4, off, s[36:39], 0 offset:112 ; 4-byte Folded Spill
	buffer_load_dword v4, off, s[36:39], 0 offset:116 ; 4-byte Folded Reload
	s_waitcnt vmcnt(0)
	v_addc_co_u32_e32 v4, vcc, v4, v3, vcc
	buffer_store_dword v4, off, s[36:39], 0 offset:116 ; 4-byte Folded Spill
	buffer_load_dword v4, off, s[36:39], 0 offset:120 ; 4-byte Folded Reload
	s_waitcnt vmcnt(0)
	v_add_co_u32_e32 v4, vcc, s8, v4
	buffer_store_dword v4, off, s[36:39], 0 offset:120 ; 4-byte Folded Spill
	buffer_load_dword v4, off, s[36:39], 0 offset:124 ; 4-byte Folded Reload
	s_waitcnt vmcnt(0)
	v_addc_co_u32_e32 v4, vcc, v4, v3, vcc
	buffer_store_dword v4, off, s[36:39], 0 offset:124 ; 4-byte Folded Spill
	buffer_load_dword v4, off, s[36:39], 0 offset:128 ; 4-byte Folded Reload
	;; [unrolled: 8-line block ×29, first 2 shown]
	s_waitcnt vmcnt(0)
	v_add_co_u32_e32 v4, vcc, s8, v4
	buffer_store_dword v4, off, s[36:39], 0 offset:348 ; 4-byte Folded Spill
	buffer_load_dword v4, off, s[36:39], 0 offset:352 ; 4-byte Folded Reload
	s_waitcnt vmcnt(0)
	v_addc_co_u32_e32 v4, vcc, v4, v3, vcc
	buffer_store_dword v4, off, s[36:39], 0 offset:352 ; 4-byte Folded Spill
	v_mov_b32_e32 v3, s12
	v_mov_b32_e32 v4, s13
	v_cmp_ge_i64_e32 vcc, s[20:21], v[3:4]
	s_cbranch_vccnz .LBB151_132
; %bb.131:                              ;   in Loop: Header=BB151_86 Depth=1
	v_mov_b32_e32 v63, v36
	s_branch .LBB151_86
.LBB151_132:
	buffer_load_dword v2, off, s[36:39], 0 offset:208 ; 4-byte Folded Reload
	s_movk_i32 s0, 0x41
	v_mov_b32_e32 v1, 0
	s_waitcnt vmcnt(0)
	v_mad_u32_u24 v0, v2, s0, v42
	v_lshl_add_u32 v0, v0, 2, 0
	ds_write_b32 v0, v36
	ds_write_b32 v0, v1 offset:4160
	v_lshrrev_b32_e32 v0, 6, v42
	v_add_u32_e32 v2, v0, v2
	v_cmp_gt_u32_e32 vcc, 64, v2
	s_waitcnt lgkmcnt(0)
	s_barrier
	s_and_saveexec_b64 s[0:1], vcc
	s_cbranch_execz .LBB151_152
; %bb.133:
	s_load_dwordx2 s[4:5], s[4:5], 0x30
	v_and_b32_e32 v0, 63, v42
	v_cmp_gt_u32_e32 vcc, 16, v0
	v_mul_u32_u24_e32 v3, 0x41, v0
                                        ; implicit-def: $vgpr0
	s_and_saveexec_b64 s[0:1], vcc
; %bb.134:
	v_lshlrev_b32_e32 v0, 2, v2
	v_lshlrev_b32_e32 v1, 2, v3
	v_add3_u32 v0, 0, v0, v1
	ds_read_b32 v0, v0
; %bb.135:
	s_or_b64 exec, exec, s[0:1]
	v_mbcnt_lo_u32_b32 v1, -1, 0
	v_mbcnt_hi_u32_b32 v1, -1, v1
	v_and_b32_e32 v4, 64, v1
	v_add_u32_e32 v7, 64, v4
	v_xor_b32_e32 v4, 8, v1
	v_cmp_lt_i32_e64 s[0:1], v4, v7
	v_cndmask_b32_e64 v4, v1, v4, s[0:1]
	v_lshlrev_b32_e32 v4, 2, v4
	s_waitcnt lgkmcnt(0)
	ds_bpermute_b32 v5, v4, v0
	v_xor_b32_e32 v6, 4, v1
	v_cmp_lt_i32_e64 s[0:1], v6, v7
	v_xor_b32_e32 v8, 2, v1
	s_mov_b32 s7, 0
	s_waitcnt lgkmcnt(0)
	v_add_f32_e32 v0, v0, v5
	v_cndmask_b32_e64 v5, v1, v6, s[0:1]
	v_lshlrev_b32_e32 v5, 2, v5
	ds_bpermute_b32 v6, v5, v0
	v_cmp_lt_i32_e64 s[0:1], v8, v7
	s_lshl_b64 s[6:7], s[6:7], 6
	s_cmp_eq_u64 s[4:5], 0
	s_cselect_b64 s[8:9], -1, 0
	s_waitcnt lgkmcnt(0)
	v_add_f32_e32 v0, v0, v6
	v_cndmask_b32_e64 v6, v1, v8, s[0:1]
	v_lshlrev_b32_e32 v6, 2, v6
	ds_bpermute_b32 v8, v6, v0
	v_cmp_ne_u32_e64 s[0:1], 0, v42
	s_waitcnt lgkmcnt(0)
	v_add_f32_e32 v8, v0, v8
	v_xor_b32_e32 v0, 1, v1
	v_cmp_lt_i32_e64 s[2:3], v0, v7
	v_cndmask_b32_e64 v0, v1, v0, s[2:3]
	v_lshlrev_b32_e32 v7, 2, v0
	ds_bpermute_b32 v9, v7, v8
	v_or_b32_e32 v0, s6, v2
	v_mov_b32_e32 v1, s7
	v_cmp_le_i64_e64 s[2:3], s[14:15], v[0:1]
	s_or_b64 s[2:3], s[0:1], s[2:3]
	s_waitcnt lgkmcnt(0)
	v_add_f32_e32 v8, v8, v9
	s_nor_b64 s[2:3], s[8:9], s[2:3]
	s_and_saveexec_b64 s[10:11], s[2:3]
	s_cbranch_execz .LBB151_137
; %bb.136:
	v_lshlrev_b64 v[0:1], 2, v[0:1]
	v_mov_b32_e32 v9, s5
	v_add_co_u32_e64 v0, s[2:3], s4, v0
	v_addc_co_u32_e64 v1, s[2:3], v9, v1, s[2:3]
	global_store_dword v[0:1], v8, off
.LBB151_137:
	s_or_b64 exec, exec, s[10:11]
	v_cmp_gt_u32_e64 s[2:3], 48, v2
	s_and_b64 exec, exec, s[2:3]
	s_cbranch_execz .LBB151_152
; %bb.138:
	s_and_saveexec_b64 s[2:3], vcc
; %bb.139:
	v_lshlrev_b32_e32 v0, 2, v2
	v_lshlrev_b32_e32 v1, 2, v3
	v_add3_u32 v0, 0, v0, v1
	ds_read_b32 v8, v0 offset:64
; %bb.140:
	s_or_b64 exec, exec, s[2:3]
	s_waitcnt lgkmcnt(0)
	ds_bpermute_b32 v0, v4, v8
	v_mov_b32_e32 v9, s7
	s_waitcnt lgkmcnt(0)
	v_add_f32_e32 v0, v8, v0
	ds_bpermute_b32 v1, v5, v0
	v_add_u32_e32 v8, 16, v2
	s_waitcnt lgkmcnt(0)
	v_add_f32_e32 v0, v0, v1
	ds_bpermute_b32 v1, v6, v0
	s_waitcnt lgkmcnt(0)
	v_add_f32_e32 v10, v0, v1
	ds_bpermute_b32 v11, v7, v10
	v_add_co_u32_e64 v0, s[2:3], s6, v8
	v_addc_co_u32_e64 v1, s[2:3], 0, v9, s[2:3]
	v_cmp_le_i64_e64 s[2:3], s[14:15], v[0:1]
	s_waitcnt lgkmcnt(0)
	v_add_f32_e32 v0, v10, v11
	s_or_b64 s[2:3], s[0:1], s[2:3]
	s_nor_b64 s[2:3], s[8:9], s[2:3]
	s_and_saveexec_b64 s[10:11], s[2:3]
	s_cbranch_execz .LBB151_142
; %bb.141:
	v_mov_b32_e32 v1, s7
	v_add_co_u32_e64 v8, s[2:3], s6, v2
	v_addc_co_u32_e64 v9, s[2:3], 0, v1, s[2:3]
	v_lshlrev_b64 v[8:9], 2, v[8:9]
	v_mov_b32_e32 v1, s5
	v_add_co_u32_e64 v8, s[2:3], s4, v8
	v_addc_co_u32_e64 v9, s[2:3], v1, v9, s[2:3]
	global_store_dword v[8:9], v0, off offset:64
.LBB151_142:
	s_or_b64 exec, exec, s[10:11]
	v_cmp_gt_u32_e64 s[2:3], 32, v2
	s_and_b64 exec, exec, s[2:3]
	s_cbranch_execz .LBB151_152
; %bb.143:
	s_and_saveexec_b64 s[2:3], vcc
; %bb.144:
	v_lshlrev_b32_e32 v0, 2, v2
	v_lshlrev_b32_e32 v1, 2, v3
	v_add3_u32 v0, 0, v0, v1
	ds_read_b32 v0, v0 offset:128
; %bb.145:
	s_or_b64 exec, exec, s[2:3]
	s_waitcnt lgkmcnt(0)
	ds_bpermute_b32 v1, v4, v0
	v_add_u32_e32 v9, 32, v2
	s_waitcnt lgkmcnt(0)
	v_add_f32_e32 v0, v0, v1
	ds_bpermute_b32 v1, v5, v0
	s_waitcnt lgkmcnt(0)
	v_add_f32_e32 v0, v0, v1
	ds_bpermute_b32 v8, v6, v0
	v_mov_b32_e32 v1, s7
	s_waitcnt lgkmcnt(0)
	v_add_f32_e32 v8, v0, v8
	ds_bpermute_b32 v10, v7, v8
	v_or_b32_e32 v0, s6, v9
	v_cmp_le_i64_e64 s[2:3], s[14:15], v[0:1]
	s_or_b64 s[2:3], s[0:1], s[2:3]
	s_waitcnt lgkmcnt(0)
	v_add_f32_e32 v0, v8, v10
	s_nor_b64 s[2:3], s[8:9], s[2:3]
	s_and_saveexec_b64 s[10:11], s[2:3]
	s_cbranch_execz .LBB151_147
; %bb.146:
	v_mov_b32_e32 v1, s7
	v_add_co_u32_e64 v8, s[2:3], s6, v2
	v_addc_co_u32_e64 v9, s[2:3], 0, v1, s[2:3]
	v_lshlrev_b64 v[8:9], 2, v[8:9]
	v_mov_b32_e32 v1, s5
	v_add_co_u32_e64 v8, s[2:3], s4, v8
	v_addc_co_u32_e64 v9, s[2:3], v1, v9, s[2:3]
	global_store_dword v[8:9], v0, off offset:128
.LBB151_147:
	s_or_b64 exec, exec, s[10:11]
	v_cmp_gt_u32_e64 s[2:3], 16, v2
	s_and_b64 exec, exec, s[2:3]
	s_cbranch_execz .LBB151_152
; %bb.148:
	s_and_saveexec_b64 s[2:3], vcc
; %bb.149:
	v_lshlrev_b32_e32 v0, 2, v2
	v_lshlrev_b32_e32 v1, 2, v3
	v_add3_u32 v0, 0, v0, v1
	ds_read_b32 v0, v0 offset:192
; %bb.150:
	s_or_b64 exec, exec, s[2:3]
	s_waitcnt lgkmcnt(0)
	ds_bpermute_b32 v1, v4, v0
	v_add_u32_e32 v3, 48, v2
	v_or_b32_e32 v3, s6, v3
	v_mov_b32_e32 v4, s7
	v_cmp_le_i64_e32 vcc, s[14:15], v[3:4]
	s_waitcnt lgkmcnt(0)
	v_add_f32_e32 v0, v0, v1
	ds_bpermute_b32 v1, v5, v0
	s_or_b64 s[0:1], s[0:1], vcc
	s_nor_b64 s[0:1], s[8:9], s[0:1]
	s_waitcnt lgkmcnt(0)
	v_add_f32_e32 v0, v0, v1
	ds_bpermute_b32 v1, v6, v0
	s_waitcnt lgkmcnt(0)
	v_add_f32_e32 v0, v0, v1
	ds_bpermute_b32 v1, v7, v0
	s_and_saveexec_b64 s[2:3], s[0:1]
	s_xor_b64 s[2:3], exec, s[2:3]
	s_cbranch_execz .LBB151_152
; %bb.151:
	s_waitcnt lgkmcnt(0)
	v_add_f32_e32 v3, v0, v1
	v_mov_b32_e32 v1, s7
	v_add_co_u32_e32 v0, vcc, s6, v2
	v_addc_co_u32_e32 v1, vcc, 0, v1, vcc
	v_lshlrev_b64 v[0:1], 2, v[0:1]
	v_mov_b32_e32 v2, s5
	v_add_co_u32_e32 v0, vcc, s4, v0
	v_addc_co_u32_e32 v1, vcc, v2, v1, vcc
	global_store_dword v[0:1], v3, off offset:192
.LBB151_152:
	s_endpgm
	.section	.rodata,"a",@progbits
	.p2align	6, 0x0
	.amdhsa_kernel _ZN2at6native12_GLOBAL__N_135GammaBetaBackwardCUDAKernelTemplateIffLj64ELj16ELj256ELb0ELb0ELb1EEEvllPKT_S5_PKT0_S8_PS3_S9_
		.amdhsa_group_segment_fixed_size 0
		.amdhsa_private_segment_fixed_size 420
		.amdhsa_kernarg_size 320
		.amdhsa_user_sgpr_count 6
		.amdhsa_user_sgpr_private_segment_buffer 1
		.amdhsa_user_sgpr_dispatch_ptr 0
		.amdhsa_user_sgpr_queue_ptr 0
		.amdhsa_user_sgpr_kernarg_segment_ptr 1
		.amdhsa_user_sgpr_dispatch_id 0
		.amdhsa_user_sgpr_flat_scratch_init 0
		.amdhsa_user_sgpr_private_segment_size 0
		.amdhsa_uses_dynamic_stack 0
		.amdhsa_system_sgpr_private_segment_wavefront_offset 1
		.amdhsa_system_sgpr_workgroup_id_x 1
		.amdhsa_system_sgpr_workgroup_id_y 1
		.amdhsa_system_sgpr_workgroup_id_z 0
		.amdhsa_system_sgpr_workgroup_info 0
		.amdhsa_system_vgpr_workitem_id 1
		.amdhsa_next_free_vgpr 64
		.amdhsa_next_free_sgpr 40
		.amdhsa_reserve_vcc 1
		.amdhsa_reserve_flat_scratch 0
		.amdhsa_float_round_mode_32 0
		.amdhsa_float_round_mode_16_64 0
		.amdhsa_float_denorm_mode_32 3
		.amdhsa_float_denorm_mode_16_64 3
		.amdhsa_dx10_clamp 1
		.amdhsa_ieee_mode 1
		.amdhsa_fp16_overflow 0
		.amdhsa_exception_fp_ieee_invalid_op 0
		.amdhsa_exception_fp_denorm_src 0
		.amdhsa_exception_fp_ieee_div_zero 0
		.amdhsa_exception_fp_ieee_overflow 0
		.amdhsa_exception_fp_ieee_underflow 0
		.amdhsa_exception_fp_ieee_inexact 0
		.amdhsa_exception_int_div_zero 0
	.end_amdhsa_kernel
	.section	.text._ZN2at6native12_GLOBAL__N_135GammaBetaBackwardCUDAKernelTemplateIffLj64ELj16ELj256ELb0ELb0ELb1EEEvllPKT_S5_PKT0_S8_PS3_S9_,"axG",@progbits,_ZN2at6native12_GLOBAL__N_135GammaBetaBackwardCUDAKernelTemplateIffLj64ELj16ELj256ELb0ELb0ELb1EEEvllPKT_S5_PKT0_S8_PS3_S9_,comdat
.Lfunc_end151:
	.size	_ZN2at6native12_GLOBAL__N_135GammaBetaBackwardCUDAKernelTemplateIffLj64ELj16ELj256ELb0ELb0ELb1EEEvllPKT_S5_PKT0_S8_PS3_S9_, .Lfunc_end151-_ZN2at6native12_GLOBAL__N_135GammaBetaBackwardCUDAKernelTemplateIffLj64ELj16ELj256ELb0ELb0ELb1EEEvllPKT_S5_PKT0_S8_PS3_S9_
                                        ; -- End function
	.set _ZN2at6native12_GLOBAL__N_135GammaBetaBackwardCUDAKernelTemplateIffLj64ELj16ELj256ELb0ELb0ELb1EEEvllPKT_S5_PKT0_S8_PS3_S9_.num_vgpr, 64
	.set _ZN2at6native12_GLOBAL__N_135GammaBetaBackwardCUDAKernelTemplateIffLj64ELj16ELj256ELb0ELb0ELb1EEEvllPKT_S5_PKT0_S8_PS3_S9_.num_agpr, 0
	.set _ZN2at6native12_GLOBAL__N_135GammaBetaBackwardCUDAKernelTemplateIffLj64ELj16ELj256ELb0ELb0ELb1EEEvllPKT_S5_PKT0_S8_PS3_S9_.numbered_sgpr, 40
	.set _ZN2at6native12_GLOBAL__N_135GammaBetaBackwardCUDAKernelTemplateIffLj64ELj16ELj256ELb0ELb0ELb1EEEvllPKT_S5_PKT0_S8_PS3_S9_.num_named_barrier, 0
	.set _ZN2at6native12_GLOBAL__N_135GammaBetaBackwardCUDAKernelTemplateIffLj64ELj16ELj256ELb0ELb0ELb1EEEvllPKT_S5_PKT0_S8_PS3_S9_.private_seg_size, 420
	.set _ZN2at6native12_GLOBAL__N_135GammaBetaBackwardCUDAKernelTemplateIffLj64ELj16ELj256ELb0ELb0ELb1EEEvllPKT_S5_PKT0_S8_PS3_S9_.uses_vcc, 1
	.set _ZN2at6native12_GLOBAL__N_135GammaBetaBackwardCUDAKernelTemplateIffLj64ELj16ELj256ELb0ELb0ELb1EEEvllPKT_S5_PKT0_S8_PS3_S9_.uses_flat_scratch, 0
	.set _ZN2at6native12_GLOBAL__N_135GammaBetaBackwardCUDAKernelTemplateIffLj64ELj16ELj256ELb0ELb0ELb1EEEvllPKT_S5_PKT0_S8_PS3_S9_.has_dyn_sized_stack, 0
	.set _ZN2at6native12_GLOBAL__N_135GammaBetaBackwardCUDAKernelTemplateIffLj64ELj16ELj256ELb0ELb0ELb1EEEvllPKT_S5_PKT0_S8_PS3_S9_.has_recursion, 0
	.set _ZN2at6native12_GLOBAL__N_135GammaBetaBackwardCUDAKernelTemplateIffLj64ELj16ELj256ELb0ELb0ELb1EEEvllPKT_S5_PKT0_S8_PS3_S9_.has_indirect_call, 0
	.section	.AMDGPU.csdata,"",@progbits
; Kernel info:
; codeLenInByte = 17852
; TotalNumSgprs: 44
; NumVgprs: 64
; ScratchSize: 420
; MemoryBound: 0
; FloatMode: 240
; IeeeMode: 1
; LDSByteSize: 0 bytes/workgroup (compile time only)
; SGPRBlocks: 5
; VGPRBlocks: 15
; NumSGPRsForWavesPerEU: 44
; NumVGPRsForWavesPerEU: 64
; Occupancy: 4
; WaveLimiterHint : 0
; COMPUTE_PGM_RSRC2:SCRATCH_EN: 1
; COMPUTE_PGM_RSRC2:USER_SGPR: 6
; COMPUTE_PGM_RSRC2:TRAP_HANDLER: 0
; COMPUTE_PGM_RSRC2:TGID_X_EN: 1
; COMPUTE_PGM_RSRC2:TGID_Y_EN: 1
; COMPUTE_PGM_RSRC2:TGID_Z_EN: 0
; COMPUTE_PGM_RSRC2:TIDIG_COMP_CNT: 1
	.section	.text._ZN2at6native12_GLOBAL__N_135GammaBetaBackwardCUDAKernelTemplateIffLj32ELj1ELj32ELb1ELb1ELb1EEEvllPKT_S5_PKT0_S8_PS3_S9_,"axG",@progbits,_ZN2at6native12_GLOBAL__N_135GammaBetaBackwardCUDAKernelTemplateIffLj32ELj1ELj32ELb1ELb1ELb1EEEvllPKT_S5_PKT0_S8_PS3_S9_,comdat
	.globl	_ZN2at6native12_GLOBAL__N_135GammaBetaBackwardCUDAKernelTemplateIffLj32ELj1ELj32ELb1ELb1ELb1EEEvllPKT_S5_PKT0_S8_PS3_S9_ ; -- Begin function _ZN2at6native12_GLOBAL__N_135GammaBetaBackwardCUDAKernelTemplateIffLj32ELj1ELj32ELb1ELb1ELb1EEEvllPKT_S5_PKT0_S8_PS3_S9_
	.p2align	8
	.type	_ZN2at6native12_GLOBAL__N_135GammaBetaBackwardCUDAKernelTemplateIffLj32ELj1ELj32ELb1ELb1ELb1EEEvllPKT_S5_PKT0_S8_PS3_S9_,@function
_ZN2at6native12_GLOBAL__N_135GammaBetaBackwardCUDAKernelTemplateIffLj32ELj1ELj32ELb1ELb1ELb1EEEvllPKT_S5_PKT0_S8_PS3_S9_: ; @_ZN2at6native12_GLOBAL__N_135GammaBetaBackwardCUDAKernelTemplateIffLj32ELj1ELj32ELb1ELb1ELb1EEEvllPKT_S5_PKT0_S8_PS3_S9_
; %bb.0:
	s_load_dwordx4 s[8:11], s[4:5], 0x0
	s_load_dwordx2 s[16:17], s[4:5], 0x30
	s_lshl_b32 s18, s7, 5
	s_mov_b32 s19, 0
	v_mov_b32_e32 v2, s18
	v_mov_b32_e32 v3, s19
	s_waitcnt lgkmcnt(0)
	v_cmp_le_i64_e32 vcc, s[8:9], v[2:3]
	v_mov_b32_e32 v3, 0
	s_cbranch_vccnz .LBB152_7
; %bb.1:
	s_load_dword s0, s[4:5], 0x4c
	s_load_dword s22, s[4:5], 0x44
	s_load_dwordx4 s[12:15], s[4:5], 0x10
	s_load_dwordx2 s[2:3], s[4:5], 0x28
	v_lshlrev_b32_e32 v4, 5, v1
	s_waitcnt lgkmcnt(0)
	s_and_b32 s0, s0, 0xffff
	v_mad_u32_u24 v2, v1, s0, v0
	v_and_b32_e32 v5, 63, v2
	v_add_co_u32_e32 v9, vcc, s18, v4
	v_mbcnt_lo_u32_b32 v6, -1, 0
	v_addc_co_u32_e64 v10, s[20:21], 0, 0, vcc
	v_add_co_u32_e32 v4, vcc, v9, v5
	v_cmp_gt_u32_e64 s[0:1], 32, v5
	v_mbcnt_hi_u32_b32 v6, -1, v6
	v_addc_co_u32_e32 v5, vcc, 0, v10, vcc
	v_mul_lo_u32 v12, s11, v9
	v_mul_lo_u32 v13, s10, v10
	v_mad_u64_u32 v[9:10], s[20:21], s10, v9, 0
	v_lshlrev_b32_e32 v6, 2, v6
	v_and_b32_e32 v8, 0x100, v6
	v_lshlrev_b64 v[6:7], 2, v[4:5]
	v_mov_b32_e32 v3, 0
	v_lshl_or_b32 v2, s6, 5, v0
	v_mov_b32_e32 v11, s3
	v_add_co_u32_e32 v6, vcc, s2, v6
	v_add3_u32 v10, v10, v13, v12
	v_addc_co_u32_e32 v7, vcc, v11, v7, vcc
	v_lshlrev_b64 v[9:10], 2, v[9:10]
	v_lshlrev_b64 v[11:12], 2, v[2:3]
	s_lshl_b32 s20, s22, 5
	s_mul_i32 s2, s11, s20
	s_mul_hi_u32 s3, s10, s20
	v_add_co_u32_e32 v2, vcc, v9, v11
	s_mov_b32 s21, s19
	s_add_i32 s3, s3, s2
	s_mul_i32 s2, s10, s20
	v_addc_co_u32_e32 v9, vcc, v10, v12, vcc
	s_lshl_b64 s[22:23], s[20:21], 2
	s_lshl_b64 s[24:25], s[2:3], 2
	;; [unrolled: 1-line block ×3, first 2 shown]
	v_or_b32_e32 v10, 0x44, v8
	v_or_b32_e32 v11, 0x48, v8
	;; [unrolled: 1-line block ×15, first 2 shown]
	s_branch .LBB152_4
.LBB152_2:                              ;   in Loop: Header=BB152_4 Depth=1
	s_or_b64 exec, exec, s[28:29]
.LBB152_3:                              ;   in Loop: Header=BB152_4 Depth=1
	s_or_b64 exec, exec, s[2:3]
	v_mov_b32_e32 v26, s13
	v_add_co_u32_e32 v27, vcc, s12, v2
	v_addc_co_u32_e32 v28, vcc, v26, v9, vcc
	v_mov_b32_e32 v26, s27
	v_add_co_u32_e32 v29, vcc, s26, v27
	v_addc_co_u32_e32 v30, vcc, v28, v26, vcc
	global_load_dword v33, v[27:28], off
	v_mov_b32_e32 v28, s15
	v_add_co_u32_e32 v27, vcc, s14, v2
	v_addc_co_u32_e32 v28, vcc, v28, v9, vcc
	global_load_dword v34, v[27:28], off
	v_add_co_u32_e32 v27, vcc, s26, v27
	v_addc_co_u32_e32 v28, vcc, v28, v26, vcc
	global_load_dword v35, v[29:30], off
	global_load_dword v36, v[27:28], off
	v_add_co_u32_e32 v29, vcc, s26, v29
	v_addc_co_u32_e32 v30, vcc, v30, v26, vcc
	v_add_co_u32_e32 v27, vcc, s26, v27
	v_addc_co_u32_e32 v28, vcc, v28, v26, vcc
	v_add_co_u32_e32 v31, vcc, s26, v29
	v_addc_co_u32_e32 v32, vcc, v30, v26, vcc
	global_load_dword v37, v[29:30], off
	global_load_dword v39, v[31:32], off
	v_add_co_u32_e32 v29, vcc, s26, v27
	v_addc_co_u32_e32 v30, vcc, v28, v26, vcc
	global_load_dword v38, v[27:28], off
	v_add_co_u32_e32 v27, vcc, s26, v31
	v_addc_co_u32_e32 v28, vcc, v32, v26, vcc
	v_add_co_u32_e32 v31, vcc, s26, v29
	v_addc_co_u32_e32 v32, vcc, v30, v26, vcc
	global_load_dword v40, v[29:30], off
	global_load_dword v42, v[31:32], off
	v_add_co_u32_e32 v29, vcc, s26, v27
	v_addc_co_u32_e32 v30, vcc, v28, v26, vcc
	global_load_dword v41, v[27:28], off
	v_add_co_u32_e32 v27, vcc, s26, v31
	v_addc_co_u32_e32 v28, vcc, v32, v26, vcc
	v_add_co_u32_e32 v31, vcc, s26, v29
	v_addc_co_u32_e32 v32, vcc, v30, v26, vcc
	global_load_dword v43, v[29:30], off
	global_load_dword v45, v[31:32], off
	v_add_co_u32_e32 v29, vcc, s26, v27
	v_addc_co_u32_e32 v30, vcc, v28, v26, vcc
	global_load_dword v44, v[27:28], off
	v_add_co_u32_e32 v27, vcc, s26, v31
	s_waitcnt vmcnt(13)
	ds_bpermute_b32 v31, v8, v25
	v_addc_co_u32_e32 v28, vcc, v32, v26, vcc
	s_add_u32 s18, s18, s20
	s_addc_u32 s19, s19, 0
	v_add_co_u32_e64 v6, s[2:3], s22, v6
	s_waitcnt vmcnt(11)
	v_mul_f32_e32 v32, v33, v34
	s_waitcnt lgkmcnt(0)
	v_fmac_f32_e32 v3, v32, v31
	v_add_co_u32_e32 v31, vcc, s26, v29
	v_addc_co_u32_e32 v32, vcc, v30, v26, vcc
	s_waitcnt vmcnt(9)
	v_mul_f32_e32 v34, v35, v36
	global_load_dword v35, v[29:30], off
	global_load_dword v36, v[27:28], off
	;; [unrolled: 1-line block ×3, first 2 shown]
	v_add_co_u32_e32 v27, vcc, s26, v27
	v_addc_co_u32_e32 v28, vcc, v28, v26, vcc
	v_add_co_u32_e32 v29, vcc, s26, v31
	v_addc_co_u32_e32 v30, vcc, v32, v26, vcc
	global_load_dword v31, v[27:28], off
	global_load_dword v32, v[29:30], off
	v_or_b32_e32 v33, 4, v8
	ds_bpermute_b32 v33, v33, v25
	v_add_co_u32_e32 v27, vcc, s26, v27
	v_addc_co_u32_e32 v28, vcc, v28, v26, vcc
	s_waitcnt lgkmcnt(0)
	v_fmac_f32_e32 v3, v34, v33
	v_or_b32_e32 v34, 8, v8
	ds_bpermute_b32 v34, v34, v25
	s_waitcnt vmcnt(11)
	v_mul_f32_e32 v33, v37, v38
	v_or_b32_e32 v38, 28, v8
	ds_bpermute_b32 v38, v38, v25
	v_add_co_u32_e32 v29, vcc, s26, v29
	s_waitcnt lgkmcnt(1)
	v_fmac_f32_e32 v3, v33, v34
	v_or_b32_e32 v33, 12, v8
	ds_bpermute_b32 v33, v33, v25
	v_or_b32_e32 v34, 16, v8
	ds_bpermute_b32 v34, v34, v25
	s_waitcnt vmcnt(10)
	v_mul_f32_e32 v37, v39, v40
	v_addc_co_u32_e32 v30, vcc, v30, v26, vcc
	s_waitcnt lgkmcnt(1)
	v_fmac_f32_e32 v3, v37, v33
	s_waitcnt vmcnt(8)
	v_mul_f32_e32 v33, v41, v42
	v_or_b32_e32 v37, 20, v8
	ds_bpermute_b32 v37, v37, v25
	s_waitcnt lgkmcnt(1)
	v_fmac_f32_e32 v3, v33, v34
	v_or_b32_e32 v33, 24, v8
	ds_bpermute_b32 v33, v33, v25
	s_waitcnt vmcnt(5)
	v_mul_f32_e32 v34, v43, v44
	s_waitcnt lgkmcnt(1)
	v_fmac_f32_e32 v3, v34, v37
	s_waitcnt vmcnt(4)
	v_mul_f32_e32 v34, v45, v35
	s_waitcnt lgkmcnt(0)
	v_fmac_f32_e32 v3, v34, v33
	s_waitcnt vmcnt(2)
	v_mul_f32_e32 v33, v36, v46
	v_fmac_f32_e32 v3, v33, v38
	v_or_b32_e32 v33, 32, v8
	ds_bpermute_b32 v33, v33, v25
	global_load_dword v34, v[29:30], off
	s_waitcnt vmcnt(1)
	v_mul_f32_e32 v31, v31, v32
	s_waitcnt lgkmcnt(0)
	v_fmac_f32_e32 v3, v31, v33
	v_add_co_u32_e32 v31, vcc, s26, v27
	v_addc_co_u32_e32 v32, vcc, v28, v26, vcc
	global_load_dword v33, v[27:28], off
	v_add_co_u32_e32 v27, vcc, s26, v29
	v_addc_co_u32_e32 v28, vcc, v30, v26, vcc
	v_add_co_u32_e32 v29, vcc, s26, v31
	v_addc_co_u32_e32 v30, vcc, v32, v26, vcc
	global_load_dword v35, v[31:32], off
	v_add_co_u32_e32 v31, vcc, s26, v27
	v_addc_co_u32_e32 v32, vcc, v28, v26, vcc
	global_load_dword v36, v[27:28], off
	;; [unrolled: 3-line block ×8, first 2 shown]
	global_load_dword v43, v[29:30], off
	global_load_dword v44, v[31:32], off
	v_add_co_u32_e32 v27, vcc, s26, v29
	v_addc_co_u32_e32 v28, vcc, v30, v26, vcc
	v_add_co_u32_e32 v29, vcc, s26, v31
	v_addc_co_u32_e32 v30, vcc, v32, v26, vcc
	global_load_dword v31, v[27:28], off
	global_load_dword v32, v[29:30], off
	v_add_co_u32_e32 v27, vcc, s26, v27
	v_addc_co_u32_e32 v28, vcc, v28, v26, vcc
	v_add_co_u32_e32 v29, vcc, s26, v29
	v_addc_co_u32_e32 v30, vcc, v30, v26, vcc
	s_waitcnt vmcnt(12)
	v_mul_f32_e32 v33, v33, v34
	v_or_b32_e32 v34, 36, v8
	ds_bpermute_b32 v34, v34, v25
	s_waitcnt lgkmcnt(0)
	v_fmac_f32_e32 v3, v33, v34
	v_or_b32_e32 v33, 40, v8
	ds_bpermute_b32 v33, v33, v25
	v_or_b32_e32 v34, 44, v8
	ds_bpermute_b32 v34, v34, v25
	s_waitcnt vmcnt(10)
	v_mul_f32_e32 v35, v35, v36
	s_waitcnt lgkmcnt(1)
	v_fmac_f32_e32 v3, v35, v33
	v_or_b32_e32 v35, 48, v8
	ds_bpermute_b32 v35, v35, v25
	v_or_b32_e32 v36, 56, v8
	ds_bpermute_b32 v36, v36, v25
	s_waitcnt vmcnt(8)
	v_mul_f32_e32 v33, v37, v38
	s_waitcnt lgkmcnt(2)
	v_fmac_f32_e32 v3, v33, v34
	v_or_b32_e32 v33, 52, v8
	ds_bpermute_b32 v33, v33, v25
	s_waitcnt vmcnt(6)
	v_mul_f32_e32 v34, v39, v40
	s_waitcnt lgkmcnt(2)
	v_fmac_f32_e32 v3, v34, v35
	global_load_dword v35, v[27:28], off
	s_waitcnt vmcnt(5)
	v_mul_f32_e32 v34, v41, v42
	s_waitcnt lgkmcnt(0)
	v_fmac_f32_e32 v3, v34, v33
	s_waitcnt vmcnt(3)
	v_mul_f32_e32 v33, v43, v44
	v_fmac_f32_e32 v3, v33, v36
	global_load_dword v36, v[29:30], off
	s_waitcnt vmcnt(2)
	v_mul_f32_e32 v33, v31, v32
	v_or_b32_e32 v31, 60, v8
	ds_bpermute_b32 v34, v31, v25
	v_add_co_u32_e32 v31, vcc, s26, v27
	v_addc_co_u32_e32 v32, vcc, v28, v26, vcc
	v_add_co_u32_e32 v27, vcc, s26, v29
	v_addc_co_u32_e32 v28, vcc, v30, v26, vcc
	;; [unrolled: 2-line block ×3, first 2 shown]
	global_load_dword v37, v[31:32], off
	v_add_co_u32_e32 v31, vcc, s26, v27
	v_addc_co_u32_e32 v32, vcc, v28, v26, vcc
	global_load_dword v38, v[27:28], off
	v_add_co_u32_e32 v27, vcc, s26, v29
	v_addc_co_u32_e32 v28, vcc, v30, v26, vcc
	global_load_dword v39, v[29:30], off
	v_add_co_u32_e32 v29, vcc, s26, v31
	v_addc_co_u32_e32 v30, vcc, v32, v26, vcc
	global_load_dword v40, v[31:32], off
	v_add_co_u32_e32 v31, vcc, s26, v27
	v_addc_co_u32_e32 v32, vcc, v28, v26, vcc
	global_load_dword v41, v[27:28], off
	v_add_co_u32_e32 v27, vcc, s26, v29
	v_addc_co_u32_e32 v28, vcc, v30, v26, vcc
	global_load_dword v42, v[29:30], off
	v_add_co_u32_e32 v29, vcc, s26, v31
	v_addc_co_u32_e32 v30, vcc, v32, v26, vcc
	global_load_dword v43, v[31:32], off
	v_add_co_u32_e32 v31, vcc, s26, v27
	v_addc_co_u32_e32 v32, vcc, v28, v26, vcc
	global_load_dword v44, v[27:28], off
	global_load_dword v45, v[29:30], off
	;; [unrolled: 1-line block ×3, first 2 shown]
	v_add_co_u32_e32 v27, vcc, s26, v29
	v_addc_co_u32_e32 v28, vcc, v30, v26, vcc
	v_add_co_u32_e32 v29, vcc, s26, v31
	v_addc_co_u32_e32 v30, vcc, v32, v26, vcc
	global_load_dword v31, v[27:28], off
	global_load_dword v32, v[29:30], off
	s_waitcnt lgkmcnt(0)
	v_fmac_f32_e32 v3, v33, v34
	v_or_b32_e32 v34, 64, v8
	ds_bpermute_b32 v34, v34, v25
	v_add_co_u32_e32 v27, vcc, s26, v27
	v_addc_co_u32_e32 v28, vcc, v28, v26, vcc
	v_add_co_u32_e32 v29, vcc, s26, v29
	v_addc_co_u32_e32 v30, vcc, v30, v26, vcc
	s_waitcnt vmcnt(12)
	v_mul_f32_e32 v33, v35, v36
	s_waitcnt lgkmcnt(0)
	v_fmac_f32_e32 v3, v33, v34
	ds_bpermute_b32 v33, v10, v25
	ds_bpermute_b32 v34, v11, v25
	;; [unrolled: 1-line block ×3, first 2 shown]
	s_waitcnt vmcnt(10)
	v_mul_f32_e32 v35, v37, v38
	s_waitcnt lgkmcnt(2)
	v_fmac_f32_e32 v3, v35, v33
	ds_bpermute_b32 v35, v12, v25
	s_waitcnt vmcnt(8)
	v_mul_f32_e32 v33, v39, v40
	s_waitcnt lgkmcnt(2)
	v_fmac_f32_e32 v3, v33, v34
	ds_bpermute_b32 v33, v13, v25
	s_waitcnt vmcnt(6)
	v_mul_f32_e32 v34, v41, v42
	s_waitcnt lgkmcnt(1)
	v_fmac_f32_e32 v3, v34, v35
	s_waitcnt vmcnt(4)
	v_mul_f32_e32 v34, v43, v44
	s_waitcnt lgkmcnt(0)
	v_fmac_f32_e32 v3, v34, v33
	s_waitcnt vmcnt(2)
	v_mul_f32_e32 v33, v45, v46
	v_fmac_f32_e32 v3, v33, v36
	ds_bpermute_b32 v33, v15, v25
	global_load_dword v34, v[29:30], off
	s_waitcnt vmcnt(1)
	v_mul_f32_e32 v31, v31, v32
	s_waitcnt lgkmcnt(0)
	v_fmac_f32_e32 v3, v31, v33
	v_add_co_u32_e32 v31, vcc, s26, v27
	v_addc_co_u32_e32 v32, vcc, v28, v26, vcc
	global_load_dword v33, v[27:28], off
	v_add_co_u32_e32 v27, vcc, s26, v29
	v_addc_co_u32_e32 v28, vcc, v30, v26, vcc
	v_add_co_u32_e32 v29, vcc, s26, v31
	v_addc_co_u32_e32 v30, vcc, v32, v26, vcc
	global_load_dword v35, v[31:32], off
	v_add_co_u32_e32 v31, vcc, s26, v27
	v_addc_co_u32_e32 v32, vcc, v28, v26, vcc
	global_load_dword v36, v[27:28], off
	v_add_co_u32_e32 v27, vcc, s26, v29
	v_addc_co_u32_e32 v28, vcc, v30, v26, vcc
	global_load_dword v37, v[29:30], off
	v_add_co_u32_e32 v29, vcc, s26, v31
	v_addc_co_u32_e32 v30, vcc, v32, v26, vcc
	global_load_dword v38, v[31:32], off
	v_add_co_u32_e32 v31, vcc, s26, v27
	v_addc_co_u32_e32 v32, vcc, v28, v26, vcc
	global_load_dword v39, v[27:28], off
	v_add_co_u32_e32 v27, vcc, s26, v29
	v_addc_co_u32_e32 v28, vcc, v30, v26, vcc
	global_load_dword v40, v[29:30], off
	v_add_co_u32_e32 v29, vcc, s26, v31
	v_addc_co_u32_e32 v30, vcc, v32, v26, vcc
	global_load_dword v41, v[31:32], off
	v_add_co_u32_e32 v31, vcc, s26, v27
	v_addc_co_u32_e32 v32, vcc, v28, v26, vcc
	global_load_dword v42, v[27:28], off
	v_add_co_u32_e32 v27, vcc, s26, v29
	v_addc_co_u32_e32 v28, vcc, v30, v26, vcc
	global_load_dword v43, v[29:30], off
	v_add_co_u32_e32 v29, vcc, s26, v31
	v_addc_co_u32_e32 v30, vcc, v32, v26, vcc
	global_load_dword v44, v[31:32], off
	v_add_co_u32_e32 v31, vcc, s26, v27
	v_addc_co_u32_e32 v32, vcc, v28, v26, vcc
	global_load_dword v45, v[27:28], off
	v_add_co_u32_e32 v27, vcc, s26, v29
	v_addc_co_u32_e32 v28, vcc, v30, v26, vcc
	global_load_dword v46, v[29:30], off
	v_add_co_u32_e32 v29, vcc, s26, v31
	v_addc_co_u32_e32 v30, vcc, v32, v26, vcc
	global_load_dword v47, v[31:32], off
	v_add_co_u32_e32 v31, vcc, s26, v27
	v_addc_co_u32_e32 v32, vcc, v28, v26, vcc
	global_load_dword v26, v[27:28], off
	s_nop 0
	global_load_dword v27, v[29:30], off
	global_load_dword v28, v[31:32], off
	ds_bpermute_b32 v29, v16, v25
	ds_bpermute_b32 v31, v17, v25
	s_waitcnt vmcnt(16)
	v_mul_f32_e32 v30, v33, v34
	s_waitcnt lgkmcnt(1)
	v_fmac_f32_e32 v3, v30, v29
	ds_bpermute_b32 v29, v18, v25
	s_waitcnt vmcnt(14)
	v_mul_f32_e32 v30, v35, v36
	s_waitcnt lgkmcnt(1)
	v_fmac_f32_e32 v3, v30, v31
	;; [unrolled: 5-line block ×6, first 2 shown]
	ds_bpermute_b32 v29, v23, v25
	ds_bpermute_b32 v25, v24, v25
	s_waitcnt vmcnt(4)
	v_mul_f32_e32 v30, v45, v46
	s_waitcnt lgkmcnt(2)
	v_fmac_f32_e32 v3, v30, v31
	s_waitcnt vmcnt(2)
	v_mul_f32_e32 v26, v47, v26
	s_waitcnt lgkmcnt(1)
	v_fmac_f32_e32 v3, v26, v29
	;; [unrolled: 4-line block ×3, first 2 shown]
	v_mov_b32_e32 v26, s9
	v_mov_b32_e32 v25, s8
	v_cmp_lt_i64_e32 vcc, s[18:19], v[25:26]
	v_mov_b32_e32 v25, s23
	v_addc_co_u32_e64 v7, s[2:3], v7, v25, s[2:3]
	v_mov_b32_e32 v25, s25
	v_add_co_u32_e64 v2, s[2:3], s24, v2
	v_addc_co_u32_e64 v9, s[2:3], v9, v25, s[2:3]
	v_add_co_u32_e64 v4, s[2:3], s20, v4
	v_addc_co_u32_e64 v5, s[2:3], 0, v5, s[2:3]
	s_cbranch_vccz .LBB152_7
.LBB152_4:                              ; =>This Inner Loop Header: Depth=1
	v_mov_b32_e32 v25, 0
	s_and_saveexec_b64 s[2:3], s[0:1]
	s_cbranch_execz .LBB152_3
; %bb.5:                                ;   in Loop: Header=BB152_4 Depth=1
	v_cmp_gt_i64_e32 vcc, s[8:9], v[4:5]
	v_mov_b32_e32 v25, 0
	s_and_saveexec_b64 s[28:29], vcc
	s_cbranch_execz .LBB152_2
; %bb.6:                                ;   in Loop: Header=BB152_4 Depth=1
	global_load_dword v25, v[6:7], off
	s_branch .LBB152_2
.LBB152_7:
	s_cmp_eq_u64 s[16:17], 0
	s_cbranch_scc1 .LBB152_9
; %bb.8:
	s_load_dword s0, s[4:5], 0x4c
	v_mov_b32_e32 v2, 0
	v_mov_b32_e32 v4, s7
	s_mov_b32 s7, 0
	v_mov_b32_e32 v6, s17
	s_waitcnt lgkmcnt(0)
	s_lshr_b32 s0, s0, 16
	v_mad_u64_u32 v[1:2], s[0:1], s0, v4, v[1:2]
	v_lshlrev_b32_e32 v0, 2, v0
	v_mul_lo_u32 v4, v2, s10
	v_mul_lo_u32 v5, v1, s11
	v_mad_u64_u32 v[1:2], s[0:1], v1, s10, 0
	s_lshl_b64 s[0:1], s[6:7], 7
	v_add3_u32 v2, v2, v5, v4
	v_lshlrev_b64 v[1:2], 2, v[1:2]
	v_mov_b32_e32 v4, s1
	v_add_co_u32_e32 v1, vcc, s16, v1
	v_addc_co_u32_e32 v2, vcc, v6, v2, vcc
	v_add_co_u32_e32 v1, vcc, s0, v1
	v_addc_co_u32_e32 v2, vcc, v2, v4, vcc
	;; [unrolled: 2-line block ×3, first 2 shown]
	global_store_dword v[0:1], v3, off
.LBB152_9:
	s_endpgm
	.section	.rodata,"a",@progbits
	.p2align	6, 0x0
	.amdhsa_kernel _ZN2at6native12_GLOBAL__N_135GammaBetaBackwardCUDAKernelTemplateIffLj32ELj1ELj32ELb1ELb1ELb1EEEvllPKT_S5_PKT0_S8_PS3_S9_
		.amdhsa_group_segment_fixed_size 0
		.amdhsa_private_segment_fixed_size 0
		.amdhsa_kernarg_size 320
		.amdhsa_user_sgpr_count 6
		.amdhsa_user_sgpr_private_segment_buffer 1
		.amdhsa_user_sgpr_dispatch_ptr 0
		.amdhsa_user_sgpr_queue_ptr 0
		.amdhsa_user_sgpr_kernarg_segment_ptr 1
		.amdhsa_user_sgpr_dispatch_id 0
		.amdhsa_user_sgpr_flat_scratch_init 0
		.amdhsa_user_sgpr_private_segment_size 0
		.amdhsa_uses_dynamic_stack 0
		.amdhsa_system_sgpr_private_segment_wavefront_offset 0
		.amdhsa_system_sgpr_workgroup_id_x 1
		.amdhsa_system_sgpr_workgroup_id_y 1
		.amdhsa_system_sgpr_workgroup_id_z 0
		.amdhsa_system_sgpr_workgroup_info 0
		.amdhsa_system_vgpr_workitem_id 1
		.amdhsa_next_free_vgpr 48
		.amdhsa_next_free_sgpr 30
		.amdhsa_reserve_vcc 1
		.amdhsa_reserve_flat_scratch 0
		.amdhsa_float_round_mode_32 0
		.amdhsa_float_round_mode_16_64 0
		.amdhsa_float_denorm_mode_32 3
		.amdhsa_float_denorm_mode_16_64 3
		.amdhsa_dx10_clamp 1
		.amdhsa_ieee_mode 1
		.amdhsa_fp16_overflow 0
		.amdhsa_exception_fp_ieee_invalid_op 0
		.amdhsa_exception_fp_denorm_src 0
		.amdhsa_exception_fp_ieee_div_zero 0
		.amdhsa_exception_fp_ieee_overflow 0
		.amdhsa_exception_fp_ieee_underflow 0
		.amdhsa_exception_fp_ieee_inexact 0
		.amdhsa_exception_int_div_zero 0
	.end_amdhsa_kernel
	.section	.text._ZN2at6native12_GLOBAL__N_135GammaBetaBackwardCUDAKernelTemplateIffLj32ELj1ELj32ELb1ELb1ELb1EEEvllPKT_S5_PKT0_S8_PS3_S9_,"axG",@progbits,_ZN2at6native12_GLOBAL__N_135GammaBetaBackwardCUDAKernelTemplateIffLj32ELj1ELj32ELb1ELb1ELb1EEEvllPKT_S5_PKT0_S8_PS3_S9_,comdat
.Lfunc_end152:
	.size	_ZN2at6native12_GLOBAL__N_135GammaBetaBackwardCUDAKernelTemplateIffLj32ELj1ELj32ELb1ELb1ELb1EEEvllPKT_S5_PKT0_S8_PS3_S9_, .Lfunc_end152-_ZN2at6native12_GLOBAL__N_135GammaBetaBackwardCUDAKernelTemplateIffLj32ELj1ELj32ELb1ELb1ELb1EEEvllPKT_S5_PKT0_S8_PS3_S9_
                                        ; -- End function
	.set _ZN2at6native12_GLOBAL__N_135GammaBetaBackwardCUDAKernelTemplateIffLj32ELj1ELj32ELb1ELb1ELb1EEEvllPKT_S5_PKT0_S8_PS3_S9_.num_vgpr, 48
	.set _ZN2at6native12_GLOBAL__N_135GammaBetaBackwardCUDAKernelTemplateIffLj32ELj1ELj32ELb1ELb1ELb1EEEvllPKT_S5_PKT0_S8_PS3_S9_.num_agpr, 0
	.set _ZN2at6native12_GLOBAL__N_135GammaBetaBackwardCUDAKernelTemplateIffLj32ELj1ELj32ELb1ELb1ELb1EEEvllPKT_S5_PKT0_S8_PS3_S9_.numbered_sgpr, 30
	.set _ZN2at6native12_GLOBAL__N_135GammaBetaBackwardCUDAKernelTemplateIffLj32ELj1ELj32ELb1ELb1ELb1EEEvllPKT_S5_PKT0_S8_PS3_S9_.num_named_barrier, 0
	.set _ZN2at6native12_GLOBAL__N_135GammaBetaBackwardCUDAKernelTemplateIffLj32ELj1ELj32ELb1ELb1ELb1EEEvllPKT_S5_PKT0_S8_PS3_S9_.private_seg_size, 0
	.set _ZN2at6native12_GLOBAL__N_135GammaBetaBackwardCUDAKernelTemplateIffLj32ELj1ELj32ELb1ELb1ELb1EEEvllPKT_S5_PKT0_S8_PS3_S9_.uses_vcc, 1
	.set _ZN2at6native12_GLOBAL__N_135GammaBetaBackwardCUDAKernelTemplateIffLj32ELj1ELj32ELb1ELb1ELb1EEEvllPKT_S5_PKT0_S8_PS3_S9_.uses_flat_scratch, 0
	.set _ZN2at6native12_GLOBAL__N_135GammaBetaBackwardCUDAKernelTemplateIffLj32ELj1ELj32ELb1ELb1ELb1EEEvllPKT_S5_PKT0_S8_PS3_S9_.has_dyn_sized_stack, 0
	.set _ZN2at6native12_GLOBAL__N_135GammaBetaBackwardCUDAKernelTemplateIffLj32ELj1ELj32ELb1ELb1ELb1EEEvllPKT_S5_PKT0_S8_PS3_S9_.has_recursion, 0
	.set _ZN2at6native12_GLOBAL__N_135GammaBetaBackwardCUDAKernelTemplateIffLj32ELj1ELj32ELb1ELb1ELb1EEEvllPKT_S5_PKT0_S8_PS3_S9_.has_indirect_call, 0
	.section	.AMDGPU.csdata,"",@progbits
; Kernel info:
; codeLenInByte = 2540
; TotalNumSgprs: 34
; NumVgprs: 48
; ScratchSize: 0
; MemoryBound: 0
; FloatMode: 240
; IeeeMode: 1
; LDSByteSize: 0 bytes/workgroup (compile time only)
; SGPRBlocks: 4
; VGPRBlocks: 11
; NumSGPRsForWavesPerEU: 34
; NumVGPRsForWavesPerEU: 48
; Occupancy: 5
; WaveLimiterHint : 0
; COMPUTE_PGM_RSRC2:SCRATCH_EN: 0
; COMPUTE_PGM_RSRC2:USER_SGPR: 6
; COMPUTE_PGM_RSRC2:TRAP_HANDLER: 0
; COMPUTE_PGM_RSRC2:TGID_X_EN: 1
; COMPUTE_PGM_RSRC2:TGID_Y_EN: 1
; COMPUTE_PGM_RSRC2:TGID_Z_EN: 0
; COMPUTE_PGM_RSRC2:TIDIG_COMP_CNT: 1
	.section	.text._ZN2at6native12_GLOBAL__N_135GammaBetaBackwardCUDAKernelTemplateIffLj32ELj1ELj32ELb1ELb0ELb1EEEvllPKT_S5_PKT0_S8_PS3_S9_,"axG",@progbits,_ZN2at6native12_GLOBAL__N_135GammaBetaBackwardCUDAKernelTemplateIffLj32ELj1ELj32ELb1ELb0ELb1EEEvllPKT_S5_PKT0_S8_PS3_S9_,comdat
	.globl	_ZN2at6native12_GLOBAL__N_135GammaBetaBackwardCUDAKernelTemplateIffLj32ELj1ELj32ELb1ELb0ELb1EEEvllPKT_S5_PKT0_S8_PS3_S9_ ; -- Begin function _ZN2at6native12_GLOBAL__N_135GammaBetaBackwardCUDAKernelTemplateIffLj32ELj1ELj32ELb1ELb0ELb1EEEvllPKT_S5_PKT0_S8_PS3_S9_
	.p2align	8
	.type	_ZN2at6native12_GLOBAL__N_135GammaBetaBackwardCUDAKernelTemplateIffLj32ELj1ELj32ELb1ELb0ELb1EEEvllPKT_S5_PKT0_S8_PS3_S9_,@function
_ZN2at6native12_GLOBAL__N_135GammaBetaBackwardCUDAKernelTemplateIffLj32ELj1ELj32ELb1ELb0ELb1EEEvllPKT_S5_PKT0_S8_PS3_S9_: ; @_ZN2at6native12_GLOBAL__N_135GammaBetaBackwardCUDAKernelTemplateIffLj32ELj1ELj32ELb1ELb0ELb1EEEvllPKT_S5_PKT0_S8_PS3_S9_
; %bb.0:
	s_mov_b64 s[38:39], s[2:3]
	s_mov_b64 s[36:37], s[0:1]
	s_add_u32 s36, s36, s8
	s_mov_b32 s8, s7
	s_load_dwordx8 s[12:19], s[4:5], 0x0
	s_load_dwordx2 s[20:21], s[4:5], 0x28
	s_addc_u32 s37, s37, 0
	s_lshl_b32 s22, s8, 5
	s_lshl_b32 s7, s6, 5
	s_mov_b32 s23, 0
	v_mov_b32_e32 v2, s22
	s_or_b32 s0, s7, 31
	v_mov_b32_e32 v3, s23
	v_mov_b32_e32 v129, s0
	;; [unrolled: 1-line block ×3, first 2 shown]
	s_waitcnt lgkmcnt(0)
	v_cmp_gt_i64_e64 s[0:1], s[12:13], v[2:3]
	v_cmp_le_i64_e32 vcc, s[14:15], v[129:130]
	v_cndmask_b32_e64 v2, 0, 1, s[0:1]
	v_cmp_ne_u32_e64 s[0:1], 1, v2
	s_cbranch_vccz .LBB153_145
; %bb.1:
	s_and_b64 vcc, exec, s[0:1]
	s_cbranch_vccnz .LBB153_146
; %bb.2:
	v_lshlrev_b32_e32 v204, 5, v1
	v_add_co_u32_e32 v8, vcc, s22, v204
	v_addc_co_u32_e64 v9, s[2:3], 0, 0, vcc
	v_mul_lo_u32 v10, s15, v8
	v_mul_lo_u32 v11, s14, v9
	v_mad_u64_u32 v[6:7], s[2:3], s14, v8, 0
	s_load_dword s9, s[4:5], 0x44
	v_add_u32_e32 v2, s7, v0
	v_add3_u32 v7, v7, v11, v10
	v_lshlrev_b64 v[11:12], 2, v[6:7]
	v_mov_b32_e32 v3, 0
	s_add_u32 s24, s4, 64
	v_cmp_gt_i64_e64 s[2:3], s[14:15], v[2:3]
	v_lshlrev_b64 v[4:5], 2, v[2:3]
	v_mov_b32_e32 v10, s17
	v_add_co_u32_e32 v2, vcc, s16, v11
	s_addc_u32 s25, s5, 0
	s_waitcnt lgkmcnt(0)
	s_lshl_b32 s9, s9, 5
	v_addc_co_u32_e32 v10, vcc, v10, v12, vcc
	s_mul_i32 s10, s15, s9
	s_mul_hi_u32 s11, s14, s9
	v_add_co_u32_e32 v13, vcc, 31, v8
	s_add_i32 s11, s11, s10
	s_mul_i32 s10, s14, s9
	v_addc_co_u32_e32 v14, vcc, 0, v9, vcc
	s_lshl_b64 s[26:27], s[10:11], 2
	v_mul_lo_u32 v16, s15, v13
	v_mul_lo_u32 v17, s14, v14
	v_mad_u64_u32 v[13:14], s[10:11], s14, v13, 0
	v_mov_b32_e32 v15, s19
	v_add_co_u32_e32 v11, vcc, s18, v11
	v_add3_u32 v14, v14, v17, v16
	v_addc_co_u32_e32 v12, vcc, v15, v12, vcc
	v_lshlrev_b64 v[15:16], 2, v[13:14]
	v_mov_b32_e32 v14, s17
	v_add_co_u32_e32 v13, vcc, s16, v15
	v_addc_co_u32_e32 v14, vcc, v14, v16, vcc
	v_add_co_u32_e32 v17, vcc, 30, v8
	v_addc_co_u32_e32 v18, vcc, 0, v9, vcc
	v_mul_lo_u32 v20, s15, v17
	v_mul_lo_u32 v21, s14, v18
	v_mad_u64_u32 v[17:18], s[10:11], s14, v17, 0
	v_mov_b32_e32 v19, s19
	v_add_co_u32_e32 v15, vcc, s18, v15
	v_add3_u32 v18, v18, v21, v20
	v_addc_co_u32_e32 v16, vcc, v19, v16, vcc
	v_lshlrev_b64 v[19:20], 2, v[17:18]
	v_mov_b32_e32 v18, s17
	v_add_co_u32_e32 v17, vcc, s16, v19
	v_addc_co_u32_e32 v18, vcc, v18, v20, vcc
	v_add_co_u32_e32 v21, vcc, 29, v8
	v_addc_co_u32_e32 v22, vcc, 0, v9, vcc
	;; [unrolled: 13-line block ×29, first 2 shown]
	v_mul_lo_u32 v130, s15, v8
	v_mul_lo_u32 v131, s14, v9
	v_mad_u64_u32 v[8:9], s[10:11], s14, v8, 0
	v_mov_b32_e32 v129, s19
	v_add_co_u32_e32 v127, vcc, s18, v127
	v_add3_u32 v9, v9, v131, v130
	v_lshlrev_b64 v[8:9], 2, v[8:9]
	v_addc_co_u32_e32 v128, vcc, v129, v128, vcc
	v_mov_b32_e32 v130, s17
	v_add_co_u32_e32 v129, vcc, s16, v8
	v_addc_co_u32_e32 v131, vcc, v130, v9, vcc
	v_mov_b32_e32 v130, s19
	v_add_co_u32_e32 v132, vcc, s18, v8
	;; [unrolled: 3-line block ×3, first 2 shown]
	v_addc_co_u32_e32 v7, vcc, v7, v8, vcc
	v_lshlrev_b64 v[6:7], 2, v[6:7]
	v_mov_b32_e32 v8, s17
	v_add_co_u32_e32 v134, vcc, s16, v6
	v_addc_co_u32_e32 v135, vcc, v8, v7, vcc
	v_add_co_u32_e32 v136, vcc, s18, v6
	v_mbcnt_lo_u32_b32 v6, -1, 0
	v_mbcnt_hi_u32_b32 v6, -1, v6
	v_mov_b32_e32 v8, s19
	v_lshlrev_b32_e32 v6, 2, v6
	v_mov_b32_e32 v203, v3
	s_mov_b64 s[28:29], 31
	v_addc_co_u32_e32 v137, vcc, v8, v7, vcc
	v_and_b32_e32 v138, 0x100, v6
	s_mov_b64 s[30:31], s[22:23]
	v_mov_b32_e32 v139, 0
.LBB153_3:                              ; =>This Inner Loop Header: Depth=1
	s_add_u32 s10, s22, s28
	v_mov_b32_e32 v6, s12
	s_addc_u32 s11, 0, s29
	v_mov_b32_e32 v7, s13
	v_cmp_ge_i64_e32 vcc, s[10:11], v[6:7]
	v_add_co_u32_e64 v6, s[10:11], s22, v204
	v_addc_co_u32_e64 v7, s[10:11], 0, v203, s[10:11]
	s_mov_b64 s[10:11], -1
                                        ; implicit-def: $vgpr130
                                        ; implicit-def: $vgpr181
                                        ; implicit-def: $vgpr8
	s_cbranch_vccz .LBB153_73
; %bb.4:                                ;   in Loop: Header=BB153_3 Depth=1
	s_load_dword s10, s[24:25], 0xc
	v_mov_b32_e32 v130, 0
	v_mov_b32_e32 v140, 0
	s_waitcnt lgkmcnt(0)
	s_and_b32 s10, s10, 0xffff
	v_mad_u32_u24 v8, v1, s10, v0
	v_and_b32_e32 v8, 63, v8
	v_cmp_gt_u32_e32 vcc, 32, v8
	s_and_saveexec_b64 s[10:11], vcc
	s_cbranch_execz .LBB153_8
; %bb.5:                                ;   in Loop: Header=BB153_3 Depth=1
	v_add_co_u32_e32 v8, vcc, v6, v8
	v_addc_co_u32_e32 v9, vcc, 0, v7, vcc
	v_cmp_gt_i64_e32 vcc, s[12:13], v[8:9]
	v_mov_b32_e32 v140, 0
	s_and_saveexec_b64 s[34:35], vcc
	s_cbranch_execz .LBB153_7
; %bb.6:                                ;   in Loop: Header=BB153_3 Depth=1
	v_lshlrev_b64 v[8:9], 2, v[8:9]
	v_mov_b32_e32 v140, s21
	v_add_co_u32_e32 v8, vcc, s20, v8
	v_addc_co_u32_e32 v9, vcc, v140, v9, vcc
	global_load_dword v140, v[8:9], off
.LBB153_7:                              ;   in Loop: Header=BB153_3 Depth=1
	s_or_b64 exec, exec, s[34:35]
.LBB153_8:                              ;   in Loop: Header=BB153_3 Depth=1
	s_or_b64 exec, exec, s[10:11]
	v_cmp_gt_i64_e32 vcc, s[12:13], v[6:7]
	v_mov_b32_e32 v8, 0
	s_and_b64 s[34:35], s[2:3], vcc
	s_and_saveexec_b64 s[10:11], s[34:35]
	s_cbranch_execz .LBB153_10
; %bb.9:                                ;   in Loop: Header=BB153_3 Depth=1
	v_add_co_u32_e32 v8, vcc, v2, v4
	v_addc_co_u32_e32 v9, vcc, v10, v5, vcc
	global_load_dword v130, v[8:9], off
	v_add_co_u32_e32 v8, vcc, v11, v4
	v_addc_co_u32_e32 v9, vcc, v12, v5, vcc
	global_load_dword v8, v[8:9], off
.LBB153_10:                             ;   in Loop: Header=BB153_3 Depth=1
	s_or_b64 exec, exec, s[10:11]
	v_add_co_u32_e32 v141, vcc, 1, v6
	v_addc_co_u32_e32 v142, vcc, 0, v7, vcc
	v_cmp_gt_i64_e32 vcc, s[12:13], v[141:142]
	v_mov_b32_e32 v9, 0
	s_and_b64 s[34:35], s[2:3], vcc
	v_mov_b32_e32 v141, 0
	v_mov_b32_e32 v142, 0
	s_and_saveexec_b64 s[10:11], s[34:35]
	s_cbranch_execz .LBB153_12
; %bb.11:                               ;   in Loop: Header=BB153_3 Depth=1
	v_add_co_u32_e32 v141, vcc, v134, v4
	v_addc_co_u32_e32 v142, vcc, v135, v5, vcc
	global_load_dword v141, v[141:142], off
	v_add_co_u32_e32 v142, vcc, v136, v4
	v_addc_co_u32_e32 v143, vcc, v137, v5, vcc
	global_load_dword v142, v[142:143], off
.LBB153_12:                             ;   in Loop: Header=BB153_3 Depth=1
	s_or_b64 exec, exec, s[10:11]
	v_add_co_u32_e32 v143, vcc, 2, v6
	v_addc_co_u32_e32 v144, vcc, 0, v7, vcc
	v_cmp_gt_i64_e32 vcc, s[12:13], v[143:144]
	v_mov_b32_e32 v143, 0
	s_and_b64 s[34:35], s[2:3], vcc
	s_and_saveexec_b64 s[10:11], s[34:35]
	s_cbranch_execz .LBB153_14
; %bb.13:                               ;   in Loop: Header=BB153_3 Depth=1
	v_add_co_u32_e32 v143, vcc, v129, v4
	v_addc_co_u32_e32 v144, vcc, v131, v5, vcc
	global_load_dword v9, v[143:144], off
	v_add_co_u32_e32 v143, vcc, v132, v4
	v_addc_co_u32_e32 v144, vcc, v133, v5, vcc
	global_load_dword v143, v[143:144], off
.LBB153_14:                             ;   in Loop: Header=BB153_3 Depth=1
	s_or_b64 exec, exec, s[10:11]
	v_add_co_u32_e32 v144, vcc, 3, v6
	v_addc_co_u32_e32 v145, vcc, 0, v7, vcc
	v_cmp_gt_i64_e32 vcc, s[12:13], v[144:145]
	v_mov_b32_e32 v144, 0
	s_and_b64 s[34:35], s[2:3], vcc
	v_mov_b32_e32 v145, 0
	v_mov_b32_e32 v146, 0
	s_and_saveexec_b64 s[10:11], s[34:35]
	s_cbranch_execz .LBB153_16
; %bb.15:                               ;   in Loop: Header=BB153_3 Depth=1
	v_add_co_u32_e32 v145, vcc, v125, v4
	v_addc_co_u32_e32 v146, vcc, v126, v5, vcc
	global_load_dword v145, v[145:146], off
	v_add_co_u32_e32 v146, vcc, v127, v4
	v_addc_co_u32_e32 v147, vcc, v128, v5, vcc
	global_load_dword v146, v[146:147], off
.LBB153_16:                             ;   in Loop: Header=BB153_3 Depth=1
	s_or_b64 exec, exec, s[10:11]
	v_add_co_u32_e32 v147, vcc, 4, v6
	v_addc_co_u32_e32 v148, vcc, 0, v7, vcc
	v_cmp_gt_i64_e32 vcc, s[12:13], v[147:148]
	v_mov_b32_e32 v147, 0
	s_and_b64 s[34:35], s[2:3], vcc
	s_and_saveexec_b64 s[10:11], s[34:35]
	s_cbranch_execz .LBB153_18
; %bb.17:                               ;   in Loop: Header=BB153_3 Depth=1
	v_add_co_u32_e32 v147, vcc, v121, v4
	v_addc_co_u32_e32 v148, vcc, v122, v5, vcc
	global_load_dword v144, v[147:148], off
	v_add_co_u32_e32 v147, vcc, v123, v4
	v_addc_co_u32_e32 v148, vcc, v124, v5, vcc
	global_load_dword v147, v[147:148], off
.LBB153_18:                             ;   in Loop: Header=BB153_3 Depth=1
	;; [unrolled: 34-line block ×10, first 2 shown]
	s_or_b64 exec, exec, s[10:11]
	v_add_co_u32_e32 v180, vcc, 21, v6
	v_addc_co_u32_e32 v181, vcc, 0, v7, vcc
	v_cmp_gt_i64_e32 vcc, s[12:13], v[180:181]
	v_mov_b32_e32 v180, 0
	s_and_b64 s[34:35], s[2:3], vcc
	v_mov_b32_e32 v182, 0
	v_mov_b32_e32 v183, 0
	s_and_saveexec_b64 s[10:11], s[34:35]
	s_cbranch_execz .LBB153_52
; %bb.51:                               ;   in Loop: Header=BB153_3 Depth=1
	v_add_co_u32_e32 v181, vcc, v53, v4
	v_addc_co_u32_e32 v182, vcc, v54, v5, vcc
	v_add_co_u32_e32 v183, vcc, v55, v4
	v_addc_co_u32_e32 v184, vcc, v56, v5, vcc
	global_load_dword v182, v[181:182], off
	s_nop 0
	global_load_dword v183, v[183:184], off
.LBB153_52:                             ;   in Loop: Header=BB153_3 Depth=1
	s_or_b64 exec, exec, s[10:11]
	v_add_co_u32_e32 v184, vcc, 22, v6
	v_addc_co_u32_e32 v185, vcc, 0, v7, vcc
	v_cmp_gt_i64_e32 vcc, s[12:13], v[184:185]
	v_mov_b32_e32 v184, 0
	s_and_b64 s[34:35], s[2:3], vcc
	s_and_saveexec_b64 s[10:11], s[34:35]
	s_cbranch_execz .LBB153_54
; %bb.53:                               ;   in Loop: Header=BB153_3 Depth=1
	v_add_co_u32_e32 v180, vcc, v49, v4
	v_addc_co_u32_e32 v181, vcc, v50, v5, vcc
	v_add_co_u32_e32 v184, vcc, v51, v4
	v_addc_co_u32_e32 v185, vcc, v52, v5, vcc
	global_load_dword v180, v[180:181], off
	s_nop 0
	global_load_dword v184, v[184:185], off
.LBB153_54:                             ;   in Loop: Header=BB153_3 Depth=1
	s_or_b64 exec, exec, s[10:11]
	v_add_co_u32_e32 v185, vcc, 23, v6
	v_addc_co_u32_e32 v186, vcc, 0, v7, vcc
	v_cmp_gt_i64_e32 vcc, s[12:13], v[185:186]
	v_mov_b32_e32 v185, 0
	s_and_b64 s[34:35], s[2:3], vcc
	v_mov_b32_e32 v186, 0
	v_mov_b32_e32 v187, 0
	s_and_saveexec_b64 s[10:11], s[34:35]
	s_cbranch_execz .LBB153_56
; %bb.55:                               ;   in Loop: Header=BB153_3 Depth=1
	v_add_co_u32_e32 v186, vcc, v45, v4
	v_addc_co_u32_e32 v187, vcc, v46, v5, vcc
	global_load_dword v186, v[186:187], off
	v_add_co_u32_e32 v187, vcc, v47, v4
	v_addc_co_u32_e32 v188, vcc, v48, v5, vcc
	global_load_dword v187, v[187:188], off
.LBB153_56:                             ;   in Loop: Header=BB153_3 Depth=1
	s_or_b64 exec, exec, s[10:11]
	v_add_co_u32_e32 v188, vcc, 24, v6
	v_addc_co_u32_e32 v189, vcc, 0, v7, vcc
	v_cmp_gt_i64_e32 vcc, s[12:13], v[188:189]
	v_mov_b32_e32 v188, 0
	s_and_b64 s[34:35], s[2:3], vcc
	s_and_saveexec_b64 s[10:11], s[34:35]
	s_cbranch_execz .LBB153_58
; %bb.57:                               ;   in Loop: Header=BB153_3 Depth=1
	v_add_co_u32_e32 v188, vcc, v41, v4
	v_addc_co_u32_e32 v189, vcc, v42, v5, vcc
	global_load_dword v185, v[188:189], off
	v_add_co_u32_e32 v188, vcc, v43, v4
	v_addc_co_u32_e32 v189, vcc, v44, v5, vcc
	global_load_dword v188, v[188:189], off
.LBB153_58:                             ;   in Loop: Header=BB153_3 Depth=1
	s_or_b64 exec, exec, s[10:11]
	v_add_co_u32_e32 v189, vcc, 25, v6
	v_addc_co_u32_e32 v190, vcc, 0, v7, vcc
	v_cmp_gt_i64_e32 vcc, s[12:13], v[189:190]
	v_mov_b32_e32 v189, 0
	s_and_b64 s[34:35], s[2:3], vcc
	v_mov_b32_e32 v190, 0
	v_mov_b32_e32 v191, 0
	s_and_saveexec_b64 s[10:11], s[34:35]
	s_cbranch_execz .LBB153_60
; %bb.59:                               ;   in Loop: Header=BB153_3 Depth=1
	v_add_co_u32_e32 v190, vcc, v37, v4
	v_addc_co_u32_e32 v191, vcc, v38, v5, vcc
	global_load_dword v190, v[190:191], off
	v_add_co_u32_e32 v191, vcc, v39, v4
	v_addc_co_u32_e32 v192, vcc, v40, v5, vcc
	global_load_dword v191, v[191:192], off
.LBB153_60:                             ;   in Loop: Header=BB153_3 Depth=1
	s_or_b64 exec, exec, s[10:11]
	v_add_co_u32_e32 v192, vcc, 26, v6
	v_addc_co_u32_e32 v193, vcc, 0, v7, vcc
	v_cmp_gt_i64_e32 vcc, s[12:13], v[192:193]
	v_mov_b32_e32 v192, 0
	s_and_b64 s[34:35], s[2:3], vcc
	s_and_saveexec_b64 s[10:11], s[34:35]
	s_cbranch_execz .LBB153_62
; %bb.61:                               ;   in Loop: Header=BB153_3 Depth=1
	v_add_co_u32_e32 v192, vcc, v33, v4
	v_addc_co_u32_e32 v193, vcc, v34, v5, vcc
	global_load_dword v189, v[192:193], off
	v_add_co_u32_e32 v192, vcc, v35, v4
	v_addc_co_u32_e32 v193, vcc, v36, v5, vcc
	global_load_dword v192, v[192:193], off
.LBB153_62:                             ;   in Loop: Header=BB153_3 Depth=1
	;; [unrolled: 34-line block ×4, first 2 shown]
	s_or_b64 exec, exec, s[10:11]
	v_add_co_u32_e32 v201, vcc, 31, v6
	v_addc_co_u32_e32 v202, vcc, 0, v7, vcc
	v_cmp_gt_i64_e32 vcc, s[12:13], v[201:202]
	v_mov_b32_e32 v181, 0
	s_and_b64 s[34:35], s[2:3], vcc
	s_and_saveexec_b64 s[10:11], s[34:35]
	s_cbranch_execz .LBB153_72
; %bb.71:                               ;   in Loop: Header=BB153_3 Depth=1
	v_add_co_u32_e32 v201, vcc, v13, v4
	v_addc_co_u32_e32 v202, vcc, v14, v5, vcc
	global_load_dword v181, v[201:202], off
	v_add_co_u32_e32 v201, vcc, v15, v4
	v_addc_co_u32_e32 v202, vcc, v16, v5, vcc
	global_load_dword v201, v[201:202], off
	s_waitcnt vmcnt(0)
	v_mul_f32_e32 v181, v181, v201
.LBB153_72:                             ;   in Loop: Header=BB153_3 Depth=1
	s_or_b64 exec, exec, s[10:11]
	s_waitcnt vmcnt(0)
	ds_bpermute_b32 v201, v138, v140
	ds_bpermute_b32 v202, v138, v140 offset:4
	v_mul_f32_e32 v141, v141, v142
	ds_bpermute_b32 v142, v138, v140 offset:8
	v_mul_f32_e32 v8, v130, v8
	s_waitcnt lgkmcnt(2)
	v_fma_f32 v130, v8, v201, v139
	s_waitcnt lgkmcnt(1)
	v_fmac_f32_e32 v130, v141, v202
	ds_bpermute_b32 v8, v138, v140 offset:12
	v_mul_f32_e32 v9, v9, v143
	s_waitcnt lgkmcnt(1)
	v_fmac_f32_e32 v130, v9, v142
	ds_bpermute_b32 v9, v138, v140 offset:16
	v_mul_f32_e32 v141, v145, v146
	;; [unrolled: 4-line block ×26, first 2 shown]
	s_waitcnt lgkmcnt(1)
	v_fmac_f32_e32 v130, v141, v8
	v_mul_f32_e32 v8, v193, v196
	ds_bpermute_b32 v141, v138, v140 offset:116
	s_waitcnt lgkmcnt(1)
	v_fmac_f32_e32 v130, v8, v9
	ds_bpermute_b32 v9, v138, v140 offset:120
	ds_bpermute_b32 v8, v138, v140 offset:124
	v_mul_f32_e32 v142, v198, v199
	s_waitcnt lgkmcnt(2)
	v_fmac_f32_e32 v130, v142, v141
	v_mul_f32_e32 v140, v197, v200
	s_waitcnt lgkmcnt(1)
	v_fmac_f32_e32 v130, v140, v9
	s_mov_b64 s[10:11], 0
.LBB153_73:                             ;   in Loop: Header=BB153_3 Depth=1
	s_and_b64 vcc, exec, s[10:11]
	s_cbranch_vccz .LBB153_143
; %bb.74:                               ;   in Loop: Header=BB153_3 Depth=1
	s_load_dword s10, s[24:25], 0x0
	v_mov_b32_e32 v9, 0
	s_waitcnt lgkmcnt(0)
	s_cmp_lt_u32 s6, s10
	s_cselect_b32 s10, 12, 18
	s_add_u32 s10, s24, s10
	s_addc_u32 s11, s25, 0
	global_load_ushort v8, v3, s[10:11]
	s_waitcnt vmcnt(0)
	v_mad_u32_u24 v8, v1, v8, v0
	v_and_b32_e32 v130, 63, v8
	v_cmp_gt_u32_e32 vcc, 32, v130
	v_mov_b32_e32 v8, 0
	s_and_saveexec_b64 s[10:11], vcc
	s_cbranch_execz .LBB153_78
; %bb.75:                               ;   in Loop: Header=BB153_3 Depth=1
	v_add_co_u32_e32 v6, vcc, v6, v130
	v_addc_co_u32_e32 v7, vcc, 0, v7, vcc
	v_cmp_gt_i64_e32 vcc, s[12:13], v[6:7]
	v_mov_b32_e32 v8, 0
	s_and_saveexec_b64 s[34:35], vcc
	s_cbranch_execz .LBB153_77
; %bb.76:                               ;   in Loop: Header=BB153_3 Depth=1
	v_lshlrev_b64 v[6:7], 2, v[6:7]
	v_mov_b32_e32 v8, s21
	v_add_co_u32_e32 v6, vcc, s20, v6
	v_addc_co_u32_e32 v7, vcc, v8, v7, vcc
	global_load_dword v8, v[6:7], off
.LBB153_77:                             ;   in Loop: Header=BB153_3 Depth=1
	s_or_b64 exec, exec, s[34:35]
.LBB153_78:                             ;   in Loop: Header=BB153_3 Depth=1
	s_or_b64 exec, exec, s[10:11]
	v_mov_b32_e32 v6, 0
	v_mov_b32_e32 v7, 0
	s_and_saveexec_b64 s[10:11], s[2:3]
	s_cbranch_execz .LBB153_80
; %bb.79:                               ;   in Loop: Header=BB153_3 Depth=1
	v_add_co_u32_e32 v6, vcc, v2, v4
	v_addc_co_u32_e32 v7, vcc, v10, v5, vcc
	v_add_co_u32_e32 v140, vcc, v11, v4
	v_addc_co_u32_e32 v141, vcc, v12, v5, vcc
	global_load_dword v6, v[6:7], off
	s_nop 0
	global_load_dword v7, v[140:141], off
.LBB153_80:                             ;   in Loop: Header=BB153_3 Depth=1
	s_or_b64 exec, exec, s[10:11]
	v_mov_b32_e32 v130, 0
	s_and_saveexec_b64 s[10:11], s[2:3]
	s_cbranch_execz .LBB153_82
; %bb.81:                               ;   in Loop: Header=BB153_3 Depth=1
	v_add_co_u32_e32 v140, vcc, v134, v4
	v_addc_co_u32_e32 v141, vcc, v135, v5, vcc
	global_load_dword v9, v[140:141], off
	v_add_co_u32_e32 v140, vcc, v136, v4
	v_addc_co_u32_e32 v141, vcc, v137, v5, vcc
	global_load_dword v130, v[140:141], off
.LBB153_82:                             ;   in Loop: Header=BB153_3 Depth=1
	s_or_b64 exec, exec, s[10:11]
	v_mov_b32_e32 v140, 0
	v_mov_b32_e32 v141, 0
	v_mov_b32_e32 v142, 0
	s_and_saveexec_b64 s[10:11], s[2:3]
	s_cbranch_execz .LBB153_84
; %bb.83:                               ;   in Loop: Header=BB153_3 Depth=1
	v_add_co_u32_e32 v141, vcc, v129, v4
	v_addc_co_u32_e32 v142, vcc, v131, v5, vcc
	global_load_dword v141, v[141:142], off
	v_add_co_u32_e32 v142, vcc, v132, v4
	v_addc_co_u32_e32 v143, vcc, v133, v5, vcc
	global_load_dword v142, v[142:143], off
.LBB153_84:                             ;   in Loop: Header=BB153_3 Depth=1
	s_or_b64 exec, exec, s[10:11]
	v_mov_b32_e32 v143, 0
	s_and_saveexec_b64 s[10:11], s[2:3]
	s_cbranch_execz .LBB153_86
; %bb.85:                               ;   in Loop: Header=BB153_3 Depth=1
	v_add_co_u32_e32 v143, vcc, v125, v4
	v_addc_co_u32_e32 v144, vcc, v126, v5, vcc
	global_load_dword v140, v[143:144], off
	v_add_co_u32_e32 v143, vcc, v127, v4
	v_addc_co_u32_e32 v144, vcc, v128, v5, vcc
	global_load_dword v143, v[143:144], off
.LBB153_86:                             ;   in Loop: Header=BB153_3 Depth=1
	s_or_b64 exec, exec, s[10:11]
	v_mov_b32_e32 v144, 0
	v_mov_b32_e32 v145, 0
	v_mov_b32_e32 v146, 0
	s_and_saveexec_b64 s[10:11], s[2:3]
	s_cbranch_execz .LBB153_88
; %bb.87:                               ;   in Loop: Header=BB153_3 Depth=1
	v_add_co_u32_e32 v145, vcc, v121, v4
	v_addc_co_u32_e32 v146, vcc, v122, v5, vcc
	global_load_dword v145, v[145:146], off
	v_add_co_u32_e32 v146, vcc, v123, v4
	v_addc_co_u32_e32 v147, vcc, v124, v5, vcc
	global_load_dword v146, v[146:147], off
.LBB153_88:                             ;   in Loop: Header=BB153_3 Depth=1
	;; [unrolled: 26-line block ×4, first 2 shown]
	s_or_b64 exec, exec, s[10:11]
	v_mov_b32_e32 v155, 0
	s_and_saveexec_b64 s[10:11], s[2:3]
	s_cbranch_execz .LBB153_98
; %bb.97:                               ;   in Loop: Header=BB153_3 Depth=1
	v_add_co_u32_e32 v155, vcc, v101, v4
	v_addc_co_u32_e32 v156, vcc, v102, v5, vcc
	global_load_dword v152, v[155:156], off
	v_add_co_u32_e32 v155, vcc, v103, v4
	v_addc_co_u32_e32 v156, vcc, v104, v5, vcc
	global_load_dword v155, v[155:156], off
.LBB153_98:                             ;   in Loop: Header=BB153_3 Depth=1
	s_or_b64 exec, exec, s[10:11]
	v_mov_b32_e32 v156, 0
	v_mov_b32_e32 v157, 0
	;; [unrolled: 1-line block ×3, first 2 shown]
	s_and_saveexec_b64 s[10:11], s[2:3]
	s_cbranch_execz .LBB153_100
; %bb.99:                               ;   in Loop: Header=BB153_3 Depth=1
	v_add_co_u32_e32 v157, vcc, v97, v4
	v_addc_co_u32_e32 v158, vcc, v98, v5, vcc
	global_load_dword v157, v[157:158], off
	v_add_co_u32_e32 v158, vcc, v99, v4
	v_addc_co_u32_e32 v159, vcc, v100, v5, vcc
	global_load_dword v158, v[158:159], off
.LBB153_100:                            ;   in Loop: Header=BB153_3 Depth=1
	s_or_b64 exec, exec, s[10:11]
	v_mov_b32_e32 v159, 0
	s_and_saveexec_b64 s[10:11], s[2:3]
	s_cbranch_execz .LBB153_102
; %bb.101:                              ;   in Loop: Header=BB153_3 Depth=1
	v_add_co_u32_e32 v159, vcc, v93, v4
	v_addc_co_u32_e32 v160, vcc, v94, v5, vcc
	global_load_dword v156, v[159:160], off
	v_add_co_u32_e32 v159, vcc, v95, v4
	v_addc_co_u32_e32 v160, vcc, v96, v5, vcc
	global_load_dword v159, v[159:160], off
.LBB153_102:                            ;   in Loop: Header=BB153_3 Depth=1
	s_or_b64 exec, exec, s[10:11]
	v_mov_b32_e32 v160, 0
	v_mov_b32_e32 v161, 0
	v_mov_b32_e32 v162, 0
	s_and_saveexec_b64 s[10:11], s[2:3]
	s_cbranch_execz .LBB153_104
; %bb.103:                              ;   in Loop: Header=BB153_3 Depth=1
	v_add_co_u32_e32 v161, vcc, v89, v4
	v_addc_co_u32_e32 v162, vcc, v90, v5, vcc
	global_load_dword v161, v[161:162], off
	v_add_co_u32_e32 v162, vcc, v91, v4
	v_addc_co_u32_e32 v163, vcc, v92, v5, vcc
	global_load_dword v162, v[162:163], off
.LBB153_104:                            ;   in Loop: Header=BB153_3 Depth=1
	s_or_b64 exec, exec, s[10:11]
	v_mov_b32_e32 v163, 0
	s_and_saveexec_b64 s[10:11], s[2:3]
	s_cbranch_execz .LBB153_106
; %bb.105:                              ;   in Loop: Header=BB153_3 Depth=1
	v_add_co_u32_e32 v163, vcc, v85, v4
	v_addc_co_u32_e32 v164, vcc, v86, v5, vcc
	global_load_dword v160, v[163:164], off
	v_add_co_u32_e32 v163, vcc, v87, v4
	v_addc_co_u32_e32 v164, vcc, v88, v5, vcc
	global_load_dword v163, v[163:164], off
.LBB153_106:                            ;   in Loop: Header=BB153_3 Depth=1
	s_or_b64 exec, exec, s[10:11]
	v_mov_b32_e32 v164, 0
	v_mov_b32_e32 v165, 0
	v_mov_b32_e32 v166, 0
	s_and_saveexec_b64 s[10:11], s[2:3]
	s_cbranch_execz .LBB153_108
; %bb.107:                              ;   in Loop: Header=BB153_3 Depth=1
	v_add_co_u32_e32 v165, vcc, v81, v4
	v_addc_co_u32_e32 v166, vcc, v82, v5, vcc
	global_load_dword v165, v[165:166], off
	v_add_co_u32_e32 v166, vcc, v83, v4
	v_addc_co_u32_e32 v167, vcc, v84, v5, vcc
	global_load_dword v166, v[166:167], off
.LBB153_108:                            ;   in Loop: Header=BB153_3 Depth=1
	;; [unrolled: 26-line block ×5, first 2 shown]
	s_or_b64 exec, exec, s[10:11]
	v_mov_b32_e32 v179, 0
	s_and_saveexec_b64 s[10:11], s[2:3]
	s_cbranch_execz .LBB153_122
; %bb.121:                              ;   in Loop: Header=BB153_3 Depth=1
	v_add_co_u32_e32 v179, vcc, v53, v4
	v_addc_co_u32_e32 v180, vcc, v54, v5, vcc
	global_load_dword v176, v[179:180], off
	v_add_co_u32_e32 v179, vcc, v55, v4
	v_addc_co_u32_e32 v180, vcc, v56, v5, vcc
	global_load_dword v179, v[179:180], off
.LBB153_122:                            ;   in Loop: Header=BB153_3 Depth=1
	s_or_b64 exec, exec, s[10:11]
	v_mov_b32_e32 v180, 0
	v_mov_b32_e32 v182, 0
	;; [unrolled: 1-line block ×3, first 2 shown]
	s_and_saveexec_b64 s[10:11], s[2:3]
	s_cbranch_execz .LBB153_124
; %bb.123:                              ;   in Loop: Header=BB153_3 Depth=1
	v_add_co_u32_e32 v181, vcc, v49, v4
	v_addc_co_u32_e32 v182, vcc, v50, v5, vcc
	v_add_co_u32_e32 v183, vcc, v51, v4
	v_addc_co_u32_e32 v184, vcc, v52, v5, vcc
	global_load_dword v182, v[181:182], off
	s_nop 0
	global_load_dword v183, v[183:184], off
.LBB153_124:                            ;   in Loop: Header=BB153_3 Depth=1
	s_or_b64 exec, exec, s[10:11]
	v_mov_b32_e32 v184, 0
	s_and_saveexec_b64 s[10:11], s[2:3]
	s_cbranch_execz .LBB153_126
; %bb.125:                              ;   in Loop: Header=BB153_3 Depth=1
	v_add_co_u32_e32 v180, vcc, v45, v4
	v_addc_co_u32_e32 v181, vcc, v46, v5, vcc
	v_add_co_u32_e32 v184, vcc, v47, v4
	v_addc_co_u32_e32 v185, vcc, v48, v5, vcc
	global_load_dword v180, v[180:181], off
	s_nop 0
	global_load_dword v184, v[184:185], off
.LBB153_126:                            ;   in Loop: Header=BB153_3 Depth=1
	s_or_b64 exec, exec, s[10:11]
	v_mov_b32_e32 v185, 0
	v_mov_b32_e32 v186, 0
	v_mov_b32_e32 v187, 0
	s_and_saveexec_b64 s[10:11], s[2:3]
	s_cbranch_execz .LBB153_128
; %bb.127:                              ;   in Loop: Header=BB153_3 Depth=1
	v_add_co_u32_e32 v186, vcc, v41, v4
	v_addc_co_u32_e32 v187, vcc, v42, v5, vcc
	global_load_dword v186, v[186:187], off
	v_add_co_u32_e32 v187, vcc, v43, v4
	v_addc_co_u32_e32 v188, vcc, v44, v5, vcc
	global_load_dword v187, v[187:188], off
.LBB153_128:                            ;   in Loop: Header=BB153_3 Depth=1
	s_or_b64 exec, exec, s[10:11]
	v_mov_b32_e32 v188, 0
	s_and_saveexec_b64 s[10:11], s[2:3]
	s_cbranch_execz .LBB153_130
; %bb.129:                              ;   in Loop: Header=BB153_3 Depth=1
	v_add_co_u32_e32 v188, vcc, v37, v4
	v_addc_co_u32_e32 v189, vcc, v38, v5, vcc
	global_load_dword v185, v[188:189], off
	v_add_co_u32_e32 v188, vcc, v39, v4
	v_addc_co_u32_e32 v189, vcc, v40, v5, vcc
	global_load_dword v188, v[188:189], off
.LBB153_130:                            ;   in Loop: Header=BB153_3 Depth=1
	s_or_b64 exec, exec, s[10:11]
	v_mov_b32_e32 v189, 0
	v_mov_b32_e32 v190, 0
	v_mov_b32_e32 v191, 0
	s_and_saveexec_b64 s[10:11], s[2:3]
	s_cbranch_execz .LBB153_132
; %bb.131:                              ;   in Loop: Header=BB153_3 Depth=1
	v_add_co_u32_e32 v190, vcc, v33, v4
	v_addc_co_u32_e32 v191, vcc, v34, v5, vcc
	global_load_dword v190, v[190:191], off
	v_add_co_u32_e32 v191, vcc, v35, v4
	v_addc_co_u32_e32 v192, vcc, v36, v5, vcc
	global_load_dword v191, v[191:192], off
.LBB153_132:                            ;   in Loop: Header=BB153_3 Depth=1
	s_or_b64 exec, exec, s[10:11]
	v_mov_b32_e32 v192, 0
	s_and_saveexec_b64 s[10:11], s[2:3]
	s_cbranch_execz .LBB153_134
; %bb.133:                              ;   in Loop: Header=BB153_3 Depth=1
	v_add_co_u32_e32 v192, vcc, v29, v4
	v_addc_co_u32_e32 v193, vcc, v30, v5, vcc
	global_load_dword v189, v[192:193], off
	v_add_co_u32_e32 v192, vcc, v31, v4
	v_addc_co_u32_e32 v193, vcc, v32, v5, vcc
	global_load_dword v192, v[192:193], off
.LBB153_134:                            ;   in Loop: Header=BB153_3 Depth=1
	s_or_b64 exec, exec, s[10:11]
	v_mov_b32_e32 v193, 0
	v_mov_b32_e32 v194, 0
	v_mov_b32_e32 v195, 0
	s_and_saveexec_b64 s[10:11], s[2:3]
	s_cbranch_execz .LBB153_136
; %bb.135:                              ;   in Loop: Header=BB153_3 Depth=1
	v_add_co_u32_e32 v194, vcc, v25, v4
	v_addc_co_u32_e32 v195, vcc, v26, v5, vcc
	global_load_dword v194, v[194:195], off
	v_add_co_u32_e32 v195, vcc, v27, v4
	v_addc_co_u32_e32 v196, vcc, v28, v5, vcc
	global_load_dword v195, v[195:196], off
.LBB153_136:                            ;   in Loop: Header=BB153_3 Depth=1
	s_or_b64 exec, exec, s[10:11]
	v_mov_b32_e32 v196, 0
	s_and_saveexec_b64 s[10:11], s[2:3]
	s_cbranch_execz .LBB153_138
; %bb.137:                              ;   in Loop: Header=BB153_3 Depth=1
	v_add_co_u32_e32 v196, vcc, v21, v4
	v_addc_co_u32_e32 v197, vcc, v22, v5, vcc
	global_load_dword v193, v[196:197], off
	v_add_co_u32_e32 v196, vcc, v23, v4
	v_addc_co_u32_e32 v197, vcc, v24, v5, vcc
	global_load_dword v196, v[196:197], off
.LBB153_138:                            ;   in Loop: Header=BB153_3 Depth=1
	s_or_b64 exec, exec, s[10:11]
	v_mov_b32_e32 v181, 0
	v_mov_b32_e32 v197, 0
	;; [unrolled: 1-line block ×3, first 2 shown]
	s_and_saveexec_b64 s[10:11], s[2:3]
	s_cbranch_execz .LBB153_140
; %bb.139:                              ;   in Loop: Header=BB153_3 Depth=1
	v_add_co_u32_e32 v197, vcc, v17, v4
	v_addc_co_u32_e32 v198, vcc, v18, v5, vcc
	global_load_dword v197, v[197:198], off
	v_add_co_u32_e32 v198, vcc, v19, v4
	v_addc_co_u32_e32 v199, vcc, v20, v5, vcc
	global_load_dword v198, v[198:199], off
.LBB153_140:                            ;   in Loop: Header=BB153_3 Depth=1
	s_or_b64 exec, exec, s[10:11]
	s_and_saveexec_b64 s[10:11], s[2:3]
	s_cbranch_execz .LBB153_142
; %bb.141:                              ;   in Loop: Header=BB153_3 Depth=1
	v_add_co_u32_e32 v199, vcc, v13, v4
	v_addc_co_u32_e32 v200, vcc, v14, v5, vcc
	global_load_dword v181, v[199:200], off
	v_add_co_u32_e32 v199, vcc, v15, v4
	v_addc_co_u32_e32 v200, vcc, v16, v5, vcc
	global_load_dword v199, v[199:200], off
	s_waitcnt vmcnt(0)
	v_mul_f32_e32 v181, v181, v199
.LBB153_142:                            ;   in Loop: Header=BB153_3 Depth=1
	s_or_b64 exec, exec, s[10:11]
	s_waitcnt vmcnt(0)
	ds_bpermute_b32 v199, v138, v8
	ds_bpermute_b32 v200, v138, v8 offset:4
	v_mul_f32_e32 v6, v6, v7
	v_mul_f32_e32 v7, v9, v130
	ds_bpermute_b32 v9, v138, v8 offset:8
	s_waitcnt lgkmcnt(2)
	v_fmac_f32_e32 v139, v6, v199
	s_waitcnt lgkmcnt(1)
	v_fmac_f32_e32 v139, v7, v200
	ds_bpermute_b32 v6, v138, v8 offset:12
	v_mul_f32_e32 v7, v141, v142
	s_waitcnt lgkmcnt(1)
	v_fmac_f32_e32 v139, v7, v9
	ds_bpermute_b32 v7, v138, v8 offset:16
	v_mul_f32_e32 v9, v140, v143
	s_waitcnt lgkmcnt(1)
	v_fmac_f32_e32 v139, v9, v6
	ds_bpermute_b32 v6, v138, v8 offset:20
	v_mul_f32_e32 v9, v145, v146
	s_waitcnt lgkmcnt(1)
	v_fmac_f32_e32 v139, v9, v7
	ds_bpermute_b32 v7, v138, v8 offset:24
	v_mul_f32_e32 v9, v144, v147
	s_waitcnt lgkmcnt(1)
	v_fmac_f32_e32 v139, v9, v6
	ds_bpermute_b32 v6, v138, v8 offset:28
	v_mul_f32_e32 v9, v149, v150
	s_waitcnt lgkmcnt(1)
	v_fmac_f32_e32 v139, v9, v7
	ds_bpermute_b32 v7, v138, v8 offset:32
	v_mul_f32_e32 v9, v148, v151
	s_waitcnt lgkmcnt(1)
	v_fmac_f32_e32 v139, v9, v6
	ds_bpermute_b32 v6, v138, v8 offset:36
	v_mul_f32_e32 v9, v153, v154
	s_waitcnt lgkmcnt(1)
	v_fmac_f32_e32 v139, v9, v7
	ds_bpermute_b32 v7, v138, v8 offset:40
	v_mul_f32_e32 v9, v152, v155
	s_waitcnt lgkmcnt(1)
	v_fmac_f32_e32 v139, v9, v6
	ds_bpermute_b32 v6, v138, v8 offset:44
	v_mul_f32_e32 v9, v157, v158
	s_waitcnt lgkmcnt(1)
	v_fmac_f32_e32 v139, v9, v7
	ds_bpermute_b32 v7, v138, v8 offset:48
	v_mul_f32_e32 v9, v156, v159
	s_waitcnt lgkmcnt(1)
	v_fmac_f32_e32 v139, v9, v6
	ds_bpermute_b32 v6, v138, v8 offset:52
	v_mul_f32_e32 v9, v161, v162
	s_waitcnt lgkmcnt(1)
	v_fmac_f32_e32 v139, v9, v7
	ds_bpermute_b32 v7, v138, v8 offset:56
	v_mul_f32_e32 v9, v160, v163
	s_waitcnt lgkmcnt(1)
	v_fmac_f32_e32 v139, v9, v6
	ds_bpermute_b32 v6, v138, v8 offset:60
	v_mul_f32_e32 v9, v165, v166
	s_waitcnt lgkmcnt(1)
	v_fmac_f32_e32 v139, v9, v7
	ds_bpermute_b32 v7, v138, v8 offset:64
	v_mul_f32_e32 v9, v164, v167
	s_waitcnt lgkmcnt(1)
	v_fmac_f32_e32 v139, v9, v6
	ds_bpermute_b32 v6, v138, v8 offset:68
	v_mul_f32_e32 v9, v169, v170
	s_waitcnt lgkmcnt(1)
	v_fmac_f32_e32 v139, v9, v7
	ds_bpermute_b32 v7, v138, v8 offset:72
	v_mul_f32_e32 v9, v168, v171
	s_waitcnt lgkmcnt(1)
	v_fmac_f32_e32 v139, v9, v6
	ds_bpermute_b32 v6, v138, v8 offset:76
	v_mul_f32_e32 v9, v173, v174
	s_waitcnt lgkmcnt(1)
	v_fmac_f32_e32 v139, v9, v7
	ds_bpermute_b32 v7, v138, v8 offset:80
	v_mul_f32_e32 v9, v172, v175
	s_waitcnt lgkmcnt(1)
	v_fmac_f32_e32 v139, v9, v6
	ds_bpermute_b32 v6, v138, v8 offset:84
	v_mul_f32_e32 v9, v177, v178
	s_waitcnt lgkmcnt(1)
	v_fmac_f32_e32 v139, v9, v7
	ds_bpermute_b32 v7, v138, v8 offset:88
	v_mul_f32_e32 v9, v176, v179
	s_waitcnt lgkmcnt(1)
	v_fmac_f32_e32 v139, v9, v6
	ds_bpermute_b32 v6, v138, v8 offset:92
	v_mul_f32_e32 v9, v182, v183
	s_waitcnt lgkmcnt(1)
	v_fmac_f32_e32 v139, v9, v7
	ds_bpermute_b32 v7, v138, v8 offset:96
	v_mul_f32_e32 v9, v180, v184
	s_waitcnt lgkmcnt(1)
	v_fmac_f32_e32 v139, v9, v6
	ds_bpermute_b32 v6, v138, v8 offset:100
	v_mul_f32_e32 v9, v186, v187
	s_waitcnt lgkmcnt(1)
	v_fmac_f32_e32 v139, v9, v7
	ds_bpermute_b32 v7, v138, v8 offset:104
	v_mul_f32_e32 v9, v185, v188
	s_waitcnt lgkmcnt(1)
	v_fmac_f32_e32 v139, v9, v6
	ds_bpermute_b32 v6, v138, v8 offset:108
	v_mul_f32_e32 v9, v190, v191
	s_waitcnt lgkmcnt(1)
	v_fmac_f32_e32 v139, v9, v7
	ds_bpermute_b32 v7, v138, v8 offset:112
	v_mul_f32_e32 v9, v189, v192
	s_waitcnt lgkmcnt(1)
	v_fmac_f32_e32 v139, v9, v6
	v_mul_f32_e32 v6, v194, v195
	ds_bpermute_b32 v9, v138, v8 offset:116
	s_waitcnt lgkmcnt(1)
	v_fmac_f32_e32 v139, v6, v7
	ds_bpermute_b32 v6, v138, v8 offset:120
	ds_bpermute_b32 v8, v138, v8 offset:124
	v_mul_f32_e32 v7, v193, v196
	s_waitcnt lgkmcnt(2)
	v_fmac_f32_e32 v139, v7, v9
	v_mul_f32_e32 v7, v197, v198
	s_waitcnt lgkmcnt(1)
	v_fmac_f32_e32 v139, v7, v6
	v_mov_b32_e32 v130, v139
.LBB153_143:                            ;   in Loop: Header=BB153_3 Depth=1
	v_mov_b32_e32 v6, s27
	v_add_co_u32_e32 v2, vcc, s26, v2
	v_addc_co_u32_e32 v10, vcc, v10, v6, vcc
	v_add_co_u32_e32 v11, vcc, s26, v11
	v_addc_co_u32_e32 v12, vcc, v12, v6, vcc
	;; [unrolled: 2-line block ×64, first 2 shown]
	s_add_u32 s30, s30, s9
	v_add_co_u32_e32 v204, vcc, s9, v204
	v_mov_b32_e32 v6, s12
	s_addc_u32 s31, s31, 0
	v_addc_co_u32_e32 v203, vcc, 0, v203, vcc
	v_mov_b32_e32 v7, s13
	v_cmp_lt_i64_e32 vcc, s[30:31], v[6:7]
	s_add_u32 s28, s28, s9
	s_waitcnt lgkmcnt(0)
	v_fmac_f32_e32 v130, v181, v8
	s_addc_u32 s29, 0, s29
	s_cbranch_vccz .LBB153_146
; %bb.144:                              ;   in Loop: Header=BB153_3 Depth=1
	v_mov_b32_e32 v139, v130
	s_branch .LBB153_3
.LBB153_145:
                                        ; implicit-def: $vgpr130
	s_load_dwordx2 s[2:3], s[4:5], 0x30
	s_branch .LBB153_147
.LBB153_146:
	s_load_dwordx2 s[2:3], s[4:5], 0x30
	s_cbranch_execnz .LBB153_228
.LBB153_147:
	s_and_b64 vcc, exec, s[0:1]
	v_mov_b32_e32 v130, 0
	s_cbranch_vccnz .LBB153_228
; %bb.148:
	v_mov_b32_e32 v4, 0
	v_mov_b32_e32 v2, v4
	v_lshlrev_b32_e32 v135, 5, v1
	s_load_dword s0, s[4:5], 0x44
	buffer_store_dword v1, off, s[36:39], 0 offset:292 ; 4-byte Folded Spill
	s_nop 0
	buffer_store_dword v2, off, s[36:39], 0 offset:296 ; 4-byte Folded Spill
	s_add_u32 s10, s4, 64
	v_add_co_u32_e32 v167, vcc, s22, v135
	v_add_u32_e32 v3, s7, v0
	s_addc_u32 s11, s5, 0
	s_waitcnt lgkmcnt(0)
	s_lshl_b32 s7, s0, 5
	v_addc_co_u32_e64 v166, s[0:1], 0, 0, vcc
	v_mov_b32_e32 v136, v4
	v_lshlrev_b64 v[4:5], 2, v[3:4]
	v_mul_lo_u32 v2, s15, v167
	v_mul_lo_u32 v3, s14, v166
	v_mad_u64_u32 v[130:131], s[0:1], s14, v167, 0
	v_mov_b32_e32 v6, s17
	s_mul_i32 s0, s15, s7
	v_add3_u32 v131, v131, v3, v2
	v_lshlrev_b64 v[2:3], 2, v[130:131]
	s_mul_hi_u32 s1, s14, s7
	v_add_co_u32_e32 v205, vcc, s16, v2
	v_addc_co_u32_e32 v207, vcc, v6, v3, vcc
	v_add_co_u32_e32 v208, vcc, s18, v2
	v_mov_b32_e32 v2, s19
	v_addc_co_u32_e32 v209, vcc, v2, v3, vcc
	s_add_i32 s1, s1, s0
	s_mul_i32 s0, s14, s7
	s_lshl_b64 s[24:25], s[0:1], 2
	s_lshl_b64 s[0:1], s[22:23], 2
	s_mov_b64 s[26:27], 31
	v_mov_b32_e32 v2, v1
	buffer_store_dword v2, off, s[36:39], 0 offset:284 ; 4-byte Folded Spill
	s_nop 0
	buffer_store_dword v3, off, s[36:39], 0 offset:288 ; 4-byte Folded Spill
	v_lshlrev_b32_e32 v2, 7, v1
	v_add_co_u32_e32 v66, vcc, s0, v2
	v_mov_b32_e32 v2, s1
	v_addc_co_u32_e32 v67, vcc, 0, v2, vcc
	v_add_co_u32_e32 v68, vcc, 4, v66
	v_addc_co_u32_e32 v8, vcc, 0, v67, vcc
	v_add_co_u32_e32 v72, vcc, 8, v66
	;; [unrolled: 2-line block ×15, first 2 shown]
	v_mov_b32_e32 v2, s16
	v_addc_co_u32_e32 v36, vcc, 0, v67, vcc
	v_mov_b32_e32 v3, s17
	v_add_co_u32_e32 v114, vcc, 64, v66
	v_mad_u64_u32 v[6:7], s[0:1], s14, v68, v[2:3]
	v_mul_lo_u32 v70, s14, v8
	v_mad_u64_u32 v[8:9], s[0:1], s14, v72, v[2:3]
	v_mul_lo_u32 v73, s14, v10
	;; [unrolled: 2-line block ×15, first 2 shown]
	v_mad_u64_u32 v[36:37], s[0:1], s14, v114, v[2:3]
	v_addc_co_u32_e32 v38, vcc, 0, v67, vcc
	s_movk_i32 s0, 0x44
	v_add_co_u32_e32 v117, vcc, s0, v66
	v_mul_lo_u32 v115, s14, v38
	v_mad_u64_u32 v[38:39], s[0:1], s14, v117, v[2:3]
	v_addc_co_u32_e32 v40, vcc, 0, v67, vcc
	s_movk_i32 s0, 0x48
	v_add_co_u32_e32 v120, vcc, s0, v66
	v_mul_lo_u32 v118, s14, v40
	;; [unrolled: 5-line block ×15, first 2 shown]
	v_addc_co_u32_e32 v69, vcc, 0, v67, vcc
	v_mad_u64_u32 v[66:67], s[0:1], s14, v163, v[2:3]
	v_mov_b32_e32 v2, s18
	v_mov_b32_e32 v3, s19
	v_mul_lo_u32 v71, s15, v68
	v_mul_lo_u32 v164, s14, v69
	v_mad_u64_u32 v[68:69], s[0:1], s14, v68, v[2:3]
	v_add3_u32 v7, v71, v7, v70
	v_mul_lo_u32 v74, s15, v72
	v_add3_u32 v69, v71, v69, v70
	v_mad_u64_u32 v[70:71], s[0:1], s14, v72, v[2:3]
	v_add3_u32 v9, v74, v9, v73
	v_mul_lo_u32 v77, s15, v75
	v_add3_u32 v71, v74, v71, v73
	v_mad_u64_u32 v[72:73], s[0:1], s14, v75, v[2:3]
	v_mul_lo_u32 v80, s15, v78
	v_mad_u64_u32 v[74:75], s[0:1], s14, v78, v[2:3]
	v_add3_u32 v11, v77, v11, v76
	v_mul_lo_u32 v83, s15, v81
	v_add3_u32 v73, v77, v73, v76
	v_mad_u64_u32 v[76:77], s[0:1], s14, v81, v[2:3]
	v_add3_u32 v13, v80, v13, v79
	v_mul_lo_u32 v86, s15, v84
	v_add3_u32 v75, v80, v75, v79
	v_mad_u64_u32 v[78:79], s[0:1], s14, v84, v[2:3]
	v_add3_u32 v15, v83, v15, v82
	v_mul_lo_u32 v89, s15, v87
	v_mul_lo_u32 v92, s15, v90
	v_add3_u32 v77, v83, v77, v82
	v_mad_u64_u32 v[80:81], s[0:1], s14, v87, v[2:3]
	v_mad_u64_u32 v[82:83], s[0:1], s14, v90, v[2:3]
	v_add3_u32 v17, v86, v17, v85
	v_mul_lo_u32 v95, s15, v93
	v_add3_u32 v79, v86, v79, v85
	v_mad_u64_u32 v[84:85], s[0:1], s14, v93, v[2:3]
	v_add3_u32 v19, v89, v19, v88
	v_add3_u32 v21, v92, v21, v91
	v_mul_lo_u32 v98, s15, v96
	v_mul_lo_u32 v101, s15, v99
	;; [unrolled: 1-line block ×4, first 2 shown]
	v_add3_u32 v81, v89, v81, v88
	v_add3_u32 v83, v92, v83, v91
	v_mad_u64_u32 v[86:87], s[0:1], s14, v96, v[2:3]
	v_mad_u64_u32 v[88:89], s[0:1], s14, v99, v[2:3]
	;; [unrolled: 1-line block ×4, first 2 shown]
	v_add3_u32 v23, v95, v23, v94
	v_mul_lo_u32 v110, s15, v108
	v_add3_u32 v85, v95, v85, v94
	v_mad_u64_u32 v[94:95], s[0:1], s14, v108, v[2:3]
	v_add3_u32 v25, v98, v25, v97
	v_add3_u32 v27, v101, v27, v100
	;; [unrolled: 1-line block ×4, first 2 shown]
	v_mul_lo_u32 v113, s15, v111
	v_mul_lo_u32 v116, s15, v114
	;; [unrolled: 1-line block ×6, first 2 shown]
	v_add3_u32 v87, v98, v87, v97
	v_add3_u32 v89, v101, v89, v100
	;; [unrolled: 1-line block ×4, first 2 shown]
	v_mad_u64_u32 v[96:97], s[0:1], s14, v111, v[2:3]
	v_mad_u64_u32 v[98:99], s[0:1], s14, v114, v[2:3]
	;; [unrolled: 1-line block ×6, first 2 shown]
	v_add3_u32 v33, v110, v33, v109
	v_mul_lo_u32 v133, s15, v129
	v_add3_u32 v95, v110, v95, v109
	v_mad_u64_u32 v[108:109], s[0:1], s14, v129, v[2:3]
	v_add3_u32 v35, v113, v35, v112
	v_add3_u32 v37, v116, v37, v115
	;; [unrolled: 1-line block ×12, first 2 shown]
	v_mad_u64_u32 v[110:111], s[0:1], s14, v134, v[2:3]
	v_mad_u64_u32 v[112:113], s[0:1], s14, v139, v[2:3]
	;; [unrolled: 1-line block ×10, first 2 shown]
	v_add_co_u32_e32 v2, vcc, 31, v167
	v_addc_co_u32_e32 v3, vcc, 0, v166, vcc
	v_add3_u32 v47, v133, v47, v132
	v_add3_u32 v109, v133, v109, v132
	v_mul_lo_u32 v132, s15, v2
	v_mul_lo_u32 v133, s14, v3
	v_mad_u64_u32 v[2:3], s[0:1], s14, v2, 0
	v_mul_lo_u32 v141, s15, v139
	v_mul_lo_u32 v138, s15, v134
	v_add3_u32 v3, v3, v133, v132
	v_lshlrev_b64 v[2:3], 2, v[2:3]
	v_mov_b32_e32 v132, s17
	v_add_co_u32_e32 v210, vcc, s16, v2
	v_addc_co_u32_e32 v211, vcc, v132, v3, vcc
	v_add_co_u32_e32 v212, vcc, s18, v2
	v_mov_b32_e32 v2, s19
	v_addc_co_u32_e32 v213, vcc, v2, v3, vcc
	v_add_co_u32_e32 v2, vcc, 30, v167
	v_addc_co_u32_e32 v3, vcc, 0, v166, vcc
	v_mul_lo_u32 v132, s15, v2
	v_mul_lo_u32 v133, s14, v3
	v_mad_u64_u32 v[2:3], s[0:1], s14, v2, 0
	v_add3_u32 v51, v141, v51, v140
	v_add3_u32 v113, v141, v113, v140
	;; [unrolled: 1-line block ×3, first 2 shown]
	v_lshlrev_b64 v[2:3], 2, v[2:3]
	v_mov_b32_e32 v132, s17
	v_add_co_u32_e32 v214, vcc, s16, v2
	v_addc_co_u32_e32 v215, vcc, v132, v3, vcc
	v_add_co_u32_e32 v216, vcc, s18, v2
	v_mov_b32_e32 v2, s19
	v_addc_co_u32_e32 v217, vcc, v2, v3, vcc
	v_add_co_u32_e32 v2, vcc, 29, v167
	v_addc_co_u32_e32 v3, vcc, 0, v166, vcc
	v_mul_lo_u32 v132, s15, v2
	v_mul_lo_u32 v133, s14, v3
	v_mad_u64_u32 v[2:3], s[0:1], s14, v2, 0
	v_add3_u32 v49, v138, v49, v137
	v_add3_u32 v111, v138, v111, v137
	;; [unrolled: 1-line block ×3, first 2 shown]
	v_lshlrev_b64 v[2:3], 2, v[2:3]
	v_mov_b32_e32 v132, s17
	v_add_co_u32_e32 v218, vcc, s16, v2
	v_addc_co_u32_e32 v219, vcc, v132, v3, vcc
	v_add_co_u32_e32 v220, vcc, s18, v2
	v_mov_b32_e32 v2, s19
	v_addc_co_u32_e32 v221, vcc, v2, v3, vcc
	v_add_co_u32_e32 v2, vcc, 28, v167
	v_addc_co_u32_e32 v3, vcc, 0, v166, vcc
	v_mul_lo_u32 v132, s15, v2
	v_mul_lo_u32 v133, s14, v3
	v_mad_u64_u32 v[2:3], s[0:1], s14, v2, 0
	v_mul_lo_u32 v144, s15, v142
	v_mul_lo_u32 v147, s15, v145
	v_add3_u32 v3, v3, v133, v132
	v_lshlrev_b64 v[2:3], 2, v[2:3]
	v_mov_b32_e32 v132, s17
	v_add_co_u32_e32 v222, vcc, s16, v2
	v_addc_co_u32_e32 v223, vcc, v132, v3, vcc
	v_add_co_u32_e32 v224, vcc, s18, v2
	v_mov_b32_e32 v2, s19
	v_addc_co_u32_e32 v225, vcc, v2, v3, vcc
	v_add_co_u32_e32 v2, vcc, 27, v167
	v_addc_co_u32_e32 v3, vcc, 0, v166, vcc
	v_mul_lo_u32 v132, s15, v2
	v_mul_lo_u32 v133, s14, v3
	v_mad_u64_u32 v[2:3], s[0:1], s14, v2, 0
	v_add3_u32 v53, v144, v53, v143
	v_mul_lo_u32 v150, s15, v148
	v_add3_u32 v3, v3, v133, v132
	v_lshlrev_b64 v[2:3], 2, v[2:3]
	v_mov_b32_e32 v132, s17
	v_add_co_u32_e32 v226, vcc, s16, v2
	v_addc_co_u32_e32 v227, vcc, v132, v3, vcc
	v_add_co_u32_e32 v228, vcc, s18, v2
	v_mov_b32_e32 v2, s19
	v_addc_co_u32_e32 v229, vcc, v2, v3, vcc
	v_add_co_u32_e32 v2, vcc, 26, v167
	v_addc_co_u32_e32 v3, vcc, 0, v166, vcc
	v_mul_lo_u32 v132, s15, v2
	v_mul_lo_u32 v133, s14, v3
	v_mad_u64_u32 v[2:3], s[0:1], s14, v2, 0
	v_mul_lo_u32 v153, s15, v151
	v_mul_lo_u32 v156, s15, v154
	v_add3_u32 v3, v3, v133, v132
	v_lshlrev_b64 v[2:3], 2, v[2:3]
	v_mov_b32_e32 v132, s17
	v_add_co_u32_e32 v230, vcc, s16, v2
	v_addc_co_u32_e32 v231, vcc, v132, v3, vcc
	v_add_co_u32_e32 v232, vcc, s18, v2
	v_mov_b32_e32 v2, s19
	v_addc_co_u32_e32 v233, vcc, v2, v3, vcc
	v_add_co_u32_e32 v2, vcc, 25, v167
	v_addc_co_u32_e32 v3, vcc, 0, v166, vcc
	v_mul_lo_u32 v132, s15, v2
	v_mul_lo_u32 v133, s14, v3
	v_mad_u64_u32 v[2:3], s[0:1], s14, v2, 0
	v_mul_lo_u32 v159, s15, v157
	;; [unrolled: 15-line block ×3, first 2 shown]
	v_add3_u32 v115, v144, v115, v143
	v_add3_u32 v3, v3, v133, v132
	v_lshlrev_b64 v[2:3], 2, v[2:3]
	v_mov_b32_e32 v132, s17
	v_add_co_u32_e32 v238, vcc, s16, v2
	v_addc_co_u32_e32 v239, vcc, v132, v3, vcc
	v_add_co_u32_e32 v240, vcc, s18, v2
	v_mov_b32_e32 v2, s19
	v_addc_co_u32_e32 v241, vcc, v2, v3, vcc
	v_add_co_u32_e32 v2, vcc, 23, v167
	v_addc_co_u32_e32 v3, vcc, 0, v166, vcc
	v_mul_lo_u32 v132, s15, v2
	v_mul_lo_u32 v133, s14, v3
	v_mad_u64_u32 v[2:3], s[0:1], s14, v2, 0
	v_add3_u32 v55, v147, v55, v146
	v_add3_u32 v57, v150, v57, v149
	v_add3_u32 v3, v3, v133, v132
	v_lshlrev_b64 v[2:3], 2, v[2:3]
	v_mov_b32_e32 v132, s17
	v_add_co_u32_e32 v242, vcc, s16, v2
	v_addc_co_u32_e32 v243, vcc, v132, v3, vcc
	v_add_co_u32_e32 v244, vcc, s18, v2
	v_mov_b32_e32 v2, s19
	v_addc_co_u32_e32 v245, vcc, v2, v3, vcc
	v_add_co_u32_e32 v2, vcc, 22, v167
	v_addc_co_u32_e32 v3, vcc, 0, v166, vcc
	v_mul_lo_u32 v132, s15, v2
	v_mul_lo_u32 v133, s14, v3
	v_mad_u64_u32 v[2:3], s[0:1], s14, v2, 0
	v_add3_u32 v59, v153, v59, v152
	;; [unrolled: 15-line block ×5, first 2 shown]
	v_add3_u32 v121, v153, v121, v152
	v_add3_u32 v3, v3, v133, v132
	v_lshlrev_b64 v[2:3], 2, v[2:3]
	v_mov_b32_e32 v132, s17
	v_add_co_u32_e32 v206, vcc, s16, v2
	v_addc_co_u32_e32 v137, vcc, v132, v3, vcc
	v_add_co_u32_e32 v1, vcc, s18, v2
	v_mov_b32_e32 v2, s19
	buffer_store_dword v1, off, s[36:39], 0 ; 4-byte Folded Spill
	v_addc_co_u32_e32 v1, vcc, v2, v3, vcc
	v_add_co_u32_e32 v2, vcc, 18, v167
	v_addc_co_u32_e32 v3, vcc, 0, v166, vcc
	v_mul_lo_u32 v132, s15, v2
	v_mul_lo_u32 v133, s14, v3
	v_mad_u64_u32 v[2:3], s[0:1], s14, v2, 0
	buffer_store_dword v1, off, s[36:39], 0 offset:4 ; 4-byte Folded Spill
	v_add3_u32 v123, v156, v123, v155
	v_add3_u32 v3, v3, v133, v132
	v_lshlrev_b64 v[2:3], 2, v[2:3]
	v_mov_b32_e32 v132, s17
	v_add_co_u32_e32 v1, vcc, s16, v2
	buffer_store_dword v1, off, s[36:39], 0 offset:8 ; 4-byte Folded Spill
	v_addc_co_u32_e32 v1, vcc, v132, v3, vcc
	buffer_store_dword v1, off, s[36:39], 0 offset:12 ; 4-byte Folded Spill
	v_add_co_u32_e32 v1, vcc, s18, v2
	v_mov_b32_e32 v2, s19
	buffer_store_dword v1, off, s[36:39], 0 offset:16 ; 4-byte Folded Spill
	v_addc_co_u32_e32 v1, vcc, v2, v3, vcc
	v_add_co_u32_e32 v2, vcc, 17, v167
	v_addc_co_u32_e32 v3, vcc, 0, v166, vcc
	v_mul_lo_u32 v132, s15, v2
	v_mul_lo_u32 v133, s14, v3
	v_mad_u64_u32 v[2:3], s[0:1], s14, v2, 0
	buffer_store_dword v1, off, s[36:39], 0 offset:20 ; 4-byte Folded Spill
	v_add3_u32 v125, v159, v125, v158
	v_add3_u32 v3, v3, v133, v132
	v_lshlrev_b64 v[2:3], 2, v[2:3]
	v_mov_b32_e32 v132, s17
	v_add_co_u32_e32 v1, vcc, s16, v2
	buffer_store_dword v1, off, s[36:39], 0 offset:24 ; 4-byte Folded Spill
	v_addc_co_u32_e32 v1, vcc, v132, v3, vcc
	buffer_store_dword v1, off, s[36:39], 0 offset:28 ; 4-byte Folded Spill
	v_add_co_u32_e32 v1, vcc, s18, v2
	v_mov_b32_e32 v2, s19
	buffer_store_dword v1, off, s[36:39], 0 offset:32 ; 4-byte Folded Spill
	;; [unrolled: 18-line block ×4, first 2 shown]
	v_addc_co_u32_e32 v1, vcc, v2, v3, vcc
	v_add_co_u32_e32 v2, vcc, 14, v167
	v_addc_co_u32_e32 v3, vcc, 0, v166, vcc
	v_mul_lo_u32 v132, s15, v2
	v_mul_lo_u32 v133, s14, v3
	v_mad_u64_u32 v[2:3], s[0:1], s14, v2, 0
	buffer_store_dword v1, off, s[36:39], 0 offset:68 ; 4-byte Folded Spill
	v_mov_b32_e32 v146, 0
	v_add3_u32 v3, v3, v133, v132
	v_lshlrev_b64 v[2:3], 2, v[2:3]
	v_mov_b32_e32 v132, s17
	v_add_co_u32_e32 v1, vcc, s16, v2
	buffer_store_dword v1, off, s[36:39], 0 offset:72 ; 4-byte Folded Spill
	v_addc_co_u32_e32 v1, vcc, v132, v3, vcc
	buffer_store_dword v1, off, s[36:39], 0 offset:76 ; 4-byte Folded Spill
	v_add_co_u32_e32 v1, vcc, s18, v2
	v_mov_b32_e32 v2, s19
	buffer_store_dword v1, off, s[36:39], 0 offset:80 ; 4-byte Folded Spill
	v_addc_co_u32_e32 v1, vcc, v2, v3, vcc
	v_add_co_u32_e32 v2, vcc, 13, v167
	v_addc_co_u32_e32 v3, vcc, 0, v166, vcc
	v_mul_lo_u32 v132, s15, v2
	v_mul_lo_u32 v133, s14, v3
	v_mad_u64_u32 v[2:3], s[0:1], s14, v2, 0
	buffer_store_dword v1, off, s[36:39], 0 offset:84 ; 4-byte Folded Spill
	v_add3_u32 v3, v3, v133, v132
	v_lshlrev_b64 v[2:3], 2, v[2:3]
	v_mov_b32_e32 v132, s17
	v_add_co_u32_e32 v1, vcc, s16, v2
	buffer_store_dword v1, off, s[36:39], 0 offset:88 ; 4-byte Folded Spill
	v_addc_co_u32_e32 v1, vcc, v132, v3, vcc
	buffer_store_dword v1, off, s[36:39], 0 offset:92 ; 4-byte Folded Spill
	v_add_co_u32_e32 v1, vcc, s18, v2
	v_mov_b32_e32 v2, s19
	buffer_store_dword v1, off, s[36:39], 0 offset:96 ; 4-byte Folded Spill
	v_addc_co_u32_e32 v1, vcc, v2, v3, vcc
	v_add_co_u32_e32 v2, vcc, 12, v167
	v_addc_co_u32_e32 v3, vcc, 0, v166, vcc
	v_mul_lo_u32 v132, s15, v2
	v_mul_lo_u32 v133, s14, v3
	v_mad_u64_u32 v[2:3], s[0:1], s14, v2, 0
	buffer_store_dword v1, off, s[36:39], 0 offset:100 ; 4-byte Folded Spill
	;; [unrolled: 17-line block ×11, first 2 shown]
	v_add3_u32 v3, v3, v133, v132
	v_lshlrev_b64 v[2:3], 2, v[2:3]
	v_mov_b32_e32 v132, s17
	v_add_co_u32_e32 v1, vcc, s16, v2
	buffer_store_dword v1, off, s[36:39], 0 offset:248 ; 4-byte Folded Spill
	v_addc_co_u32_e32 v1, vcc, v132, v3, vcc
	buffer_store_dword v1, off, s[36:39], 0 offset:252 ; 4-byte Folded Spill
	v_add_co_u32_e32 v1, vcc, s18, v2
	v_mov_b32_e32 v2, s19
	buffer_store_dword v1, off, s[36:39], 0 offset:256 ; 4-byte Folded Spill
	v_addc_co_u32_e32 v1, vcc, v2, v3, vcc
	v_add_co_u32_e32 v132, vcc, 2, v167
	buffer_store_dword v1, off, s[36:39], 0 offset:260 ; 4-byte Folded Spill
	v_addc_co_u32_e32 v1, vcc, 0, v166, vcc
	v_mul_lo_u32 v2, s15, v132
	v_mul_lo_u32 v3, s14, v1
	v_mad_u64_u32 v[132:133], s[0:1], s14, v132, 0
	v_mov_b32_e32 v1, v137
	v_add3_u32 v133, v133, v3, v2
	v_lshlrev_b64 v[132:133], 2, v[132:133]
	v_mov_b32_e32 v3, v134
	v_add_co_u32_e32 v2, vcc, s16, v132
	buffer_store_dword v2, off, s[36:39], 0 offset:264 ; 4-byte Folded Spill
	v_mov_b32_e32 v2, s17
	v_addc_co_u32_e32 v2, vcc, v2, v133, vcc
	buffer_store_dword v2, off, s[36:39], 0 offset:268 ; 4-byte Folded Spill
	v_add_co_u32_e32 v2, vcc, s18, v132
	buffer_store_dword v2, off, s[36:39], 0 offset:272 ; 4-byte Folded Spill
	v_mov_b32_e32 v2, s19
	v_addc_co_u32_e32 v2, vcc, v2, v133, vcc
	buffer_store_dword v2, off, s[36:39], 0 offset:276 ; 4-byte Folded Spill
	v_add_co_u32_e32 v130, vcc, s14, v130
	v_mov_b32_e32 v2, s15
	v_addc_co_u32_e32 v131, vcc, v131, v2, vcc
	v_lshlrev_b64 v[130:131], 2, v[130:131]
	v_mov_b32_e32 v2, s17
	v_add_co_u32_e32 v141, vcc, s16, v130
	v_addc_co_u32_e32 v142, vcc, v2, v131, vcc
	v_add_co_u32_e32 v143, vcc, s18, v130
	v_mov_b32_e32 v2, s19
	v_addc_co_u32_e32 v144, vcc, v2, v131, vcc
	v_mbcnt_lo_u32_b32 v2, -1, 0
	v_mbcnt_hi_u32_b32 v2, -1, v2
	v_lshlrev_b32_e32 v2, 2, v2
	v_and_b32_e32 v145, 0x100, v2
	s_mov_b64 s[16:17], s[22:23]
.LBB153_149:                            ; =>This Inner Loop Header: Depth=1
	s_add_u32 s0, s22, s26
	v_mov_b32_e32 v131, s13
	s_addc_u32 s1, 0, s27
	v_mov_b32_e32 v130, s12
	v_cmp_ge_i64_e32 vcc, s[0:1], v[130:131]
	v_add_co_u32_e64 v131, s[0:1], s22, v135
	v_addc_co_u32_e64 v132, s[0:1], 0, v136, s[0:1]
	s_mov_b64 s[0:1], -1
                                        ; implicit-def: $vgpr130
	s_cbranch_vccz .LBB153_219
; %bb.150:                              ;   in Loop: Header=BB153_149 Depth=1
	v_mov_b32_e32 v2, 0
	buffer_store_dword v2, off, s[36:39], 0 offset:280 ; 4-byte Folded Spill
	s_load_dword s0, s[10:11], 0xc
	buffer_load_dword v133, off, s[36:39], 0 offset:284 ; 4-byte Folded Reload
	buffer_load_dword v134, off, s[36:39], 0 offset:288 ; 4-byte Folded Reload
	v_mov_b32_e32 v147, 0
	s_waitcnt lgkmcnt(0)
	s_and_b32 s0, s0, 0xffff
	s_waitcnt vmcnt(1)
	v_mad_u32_u24 v2, v133, s0, v0
	v_and_b32_e32 v2, 63, v2
	v_cmp_gt_u32_e32 vcc, 32, v2
	s_and_saveexec_b64 s[0:1], vcc
	s_cbranch_execz .LBB153_154
; %bb.151:                              ;   in Loop: Header=BB153_149 Depth=1
	v_add_co_u32_e32 v133, vcc, v131, v2
	s_waitcnt vmcnt(0)
	v_addc_co_u32_e32 v134, vcc, 0, v132, vcc
	v_cmp_gt_i64_e32 vcc, s[12:13], v[133:134]
	v_mov_b32_e32 v147, 0
	s_and_saveexec_b64 s[18:19], vcc
	s_cbranch_execz .LBB153_153
; %bb.152:                              ;   in Loop: Header=BB153_149 Depth=1
	v_lshlrev_b64 v[133:134], 2, v[133:134]
	v_mov_b32_e32 v2, s21
	v_add_co_u32_e32 v133, vcc, s20, v133
	v_addc_co_u32_e32 v134, vcc, v2, v134, vcc
	global_load_dword v147, v[133:134], off
.LBB153_153:                            ;   in Loop: Header=BB153_149 Depth=1
	s_or_b64 exec, exec, s[18:19]
.LBB153_154:                            ;   in Loop: Header=BB153_149 Depth=1
	s_or_b64 exec, exec, s[0:1]
	v_cmp_gt_i64_e32 vcc, s[12:13], v[131:132]
	v_mov_b32_e32 v133, 0
	s_and_saveexec_b64 s[0:1], vcc
	s_cbranch_execz .LBB153_156
; %bb.155:                              ;   in Loop: Header=BB153_149 Depth=1
	v_add_co_u32_e32 v133, vcc, v205, v4
	s_waitcnt vmcnt(0)
	v_addc_co_u32_e32 v134, vcc, v207, v5, vcc
	global_load_dword v2, v[133:134], off
	v_add_co_u32_e32 v133, vcc, v208, v4
	v_addc_co_u32_e32 v134, vcc, v209, v5, vcc
	global_load_dword v133, v[133:134], off
	s_waitcnt vmcnt(1)
	buffer_store_dword v2, off, s[36:39], 0 offset:280 ; 4-byte Folded Spill
.LBB153_156:                            ;   in Loop: Header=BB153_149 Depth=1
	s_or_b64 exec, exec, s[0:1]
	v_add_co_u32_e32 v137, vcc, 1, v131
	v_addc_co_u32_e32 v138, vcc, 0, v132, vcc
	v_cmp_gt_i64_e32 vcc, s[12:13], v[137:138]
	s_waitcnt vmcnt(0)
	v_mov_b32_e32 v134, 0
	v_mov_b32_e32 v148, 0
	;; [unrolled: 1-line block ×3, first 2 shown]
	s_and_saveexec_b64 s[0:1], vcc
	s_cbranch_execz .LBB153_158
; %bb.157:                              ;   in Loop: Header=BB153_149 Depth=1
	v_add_co_u32_e32 v137, vcc, v141, v4
	v_addc_co_u32_e32 v138, vcc, v142, v5, vcc
	global_load_dword v148, v[137:138], off
	v_add_co_u32_e32 v137, vcc, v143, v4
	v_addc_co_u32_e32 v138, vcc, v144, v5, vcc
	global_load_dword v149, v[137:138], off
.LBB153_158:                            ;   in Loop: Header=BB153_149 Depth=1
	s_or_b64 exec, exec, s[0:1]
	v_add_co_u32_e32 v137, vcc, 2, v131
	v_addc_co_u32_e32 v138, vcc, 0, v132, vcc
	v_cmp_gt_i64_e32 vcc, s[12:13], v[137:138]
	v_mov_b32_e32 v151, 0
	s_and_saveexec_b64 s[0:1], vcc
	s_cbranch_execz .LBB153_160
; %bb.159:                              ;   in Loop: Header=BB153_149 Depth=1
	buffer_load_dword v2, off, s[36:39], 0 offset:264 ; 4-byte Folded Reload
	s_waitcnt vmcnt(0)
	v_add_co_u32_e32 v137, vcc, v2, v4
	buffer_load_dword v2, off, s[36:39], 0 offset:268 ; 4-byte Folded Reload
	s_waitcnt vmcnt(0)
	v_addc_co_u32_e32 v138, vcc, v2, v5, vcc
	buffer_load_dword v2, off, s[36:39], 0 offset:272 ; 4-byte Folded Reload
	global_load_dword v134, v[137:138], off
	s_waitcnt vmcnt(1)
	v_add_co_u32_e32 v137, vcc, v2, v4
	buffer_load_dword v2, off, s[36:39], 0 offset:276 ; 4-byte Folded Reload
	s_waitcnt vmcnt(0)
	v_addc_co_u32_e32 v138, vcc, v2, v5, vcc
	global_load_dword v151, v[137:138], off
.LBB153_160:                            ;   in Loop: Header=BB153_149 Depth=1
	s_or_b64 exec, exec, s[0:1]
	v_add_co_u32_e32 v137, vcc, 3, v131
	v_addc_co_u32_e32 v138, vcc, 0, v132, vcc
	v_cmp_gt_i64_e32 vcc, s[12:13], v[137:138]
	v_mov_b32_e32 v150, 0
	v_mov_b32_e32 v152, 0
	;; [unrolled: 1-line block ×3, first 2 shown]
	s_and_saveexec_b64 s[0:1], vcc
	s_cbranch_execz .LBB153_162
; %bb.161:                              ;   in Loop: Header=BB153_149 Depth=1
	buffer_load_dword v2, off, s[36:39], 0 offset:248 ; 4-byte Folded Reload
	s_waitcnt vmcnt(0)
	v_add_co_u32_e32 v137, vcc, v2, v4
	buffer_load_dword v2, off, s[36:39], 0 offset:252 ; 4-byte Folded Reload
	s_waitcnt vmcnt(0)
	v_addc_co_u32_e32 v138, vcc, v2, v5, vcc
	buffer_load_dword v2, off, s[36:39], 0 offset:256 ; 4-byte Folded Reload
	global_load_dword v152, v[137:138], off
	s_waitcnt vmcnt(1)
	v_add_co_u32_e32 v137, vcc, v2, v4
	buffer_load_dword v2, off, s[36:39], 0 offset:260 ; 4-byte Folded Reload
	s_waitcnt vmcnt(0)
	v_addc_co_u32_e32 v138, vcc, v2, v5, vcc
	global_load_dword v153, v[137:138], off
.LBB153_162:                            ;   in Loop: Header=BB153_149 Depth=1
	s_or_b64 exec, exec, s[0:1]
	v_add_co_u32_e32 v137, vcc, 4, v131
	v_addc_co_u32_e32 v138, vcc, 0, v132, vcc
	v_cmp_gt_i64_e32 vcc, s[12:13], v[137:138]
	v_mov_b32_e32 v154, 0
	s_and_saveexec_b64 s[0:1], vcc
	s_cbranch_execz .LBB153_164
; %bb.163:                              ;   in Loop: Header=BB153_149 Depth=1
	buffer_load_dword v2, off, s[36:39], 0 offset:232 ; 4-byte Folded Reload
	s_waitcnt vmcnt(0)
	v_add_co_u32_e32 v137, vcc, v2, v4
	buffer_load_dword v2, off, s[36:39], 0 offset:236 ; 4-byte Folded Reload
	s_waitcnt vmcnt(0)
	v_addc_co_u32_e32 v138, vcc, v2, v5, vcc
	buffer_load_dword v2, off, s[36:39], 0 offset:240 ; 4-byte Folded Reload
	global_load_dword v150, v[137:138], off
	s_waitcnt vmcnt(1)
	v_add_co_u32_e32 v137, vcc, v2, v4
	buffer_load_dword v2, off, s[36:39], 0 offset:244 ; 4-byte Folded Reload
	s_waitcnt vmcnt(0)
	v_addc_co_u32_e32 v138, vcc, v2, v5, vcc
	global_load_dword v154, v[137:138], off
.LBB153_164:                            ;   in Loop: Header=BB153_149 Depth=1
	s_or_b64 exec, exec, s[0:1]
	v_add_co_u32_e32 v137, vcc, 5, v131
	v_addc_co_u32_e32 v138, vcc, 0, v132, vcc
	v_cmp_gt_i64_e32 vcc, s[12:13], v[137:138]
	v_mov_b32_e32 v2, 0
	v_mov_b32_e32 v155, 0
	v_mov_b32_e32 v137, 0
	s_and_saveexec_b64 s[0:1], vcc
	s_cbranch_execz .LBB153_166
; %bb.165:                              ;   in Loop: Header=BB153_149 Depth=1
	buffer_load_dword v130, off, s[36:39], 0 offset:216 ; 4-byte Folded Reload
	s_waitcnt vmcnt(0)
	v_add_co_u32_e32 v137, vcc, v130, v4
	buffer_load_dword v130, off, s[36:39], 0 offset:220 ; 4-byte Folded Reload
	s_waitcnt vmcnt(0)
	v_addc_co_u32_e32 v138, vcc, v130, v5, vcc
	buffer_load_dword v130, off, s[36:39], 0 offset:224 ; 4-byte Folded Reload
	global_load_dword v155, v[137:138], off
	s_waitcnt vmcnt(1)
	v_add_co_u32_e32 v137, vcc, v130, v4
	buffer_load_dword v130, off, s[36:39], 0 offset:228 ; 4-byte Folded Reload
	s_waitcnt vmcnt(0)
	v_addc_co_u32_e32 v138, vcc, v130, v5, vcc
	global_load_dword v137, v[137:138], off
.LBB153_166:                            ;   in Loop: Header=BB153_149 Depth=1
	s_or_b64 exec, exec, s[0:1]
	v_add_co_u32_e32 v138, vcc, 6, v131
	v_addc_co_u32_e32 v139, vcc, 0, v132, vcc
	v_cmp_gt_i64_e32 vcc, s[12:13], v[138:139]
	v_mov_b32_e32 v156, 0
	s_and_saveexec_b64 s[0:1], vcc
	s_cbranch_execz .LBB153_168
; %bb.167:                              ;   in Loop: Header=BB153_149 Depth=1
	buffer_load_dword v2, off, s[36:39], 0 offset:200 ; 4-byte Folded Reload
	buffer_load_dword v130, off, s[36:39], 0 offset:208 ; 4-byte Folded Reload
	s_waitcnt vmcnt(1)
	v_add_co_u32_e32 v138, vcc, v2, v4
	buffer_load_dword v2, off, s[36:39], 0 offset:204 ; 4-byte Folded Reload
	s_waitcnt vmcnt(0)
	v_addc_co_u32_e32 v139, vcc, v2, v5, vcc
	global_load_dword v2, v[138:139], off
	v_add_co_u32_e32 v138, vcc, v130, v4
	buffer_load_dword v130, off, s[36:39], 0 offset:212 ; 4-byte Folded Reload
	s_waitcnt vmcnt(0)
	v_addc_co_u32_e32 v139, vcc, v130, v5, vcc
	global_load_dword v156, v[138:139], off
.LBB153_168:                            ;   in Loop: Header=BB153_149 Depth=1
	s_or_b64 exec, exec, s[0:1]
	v_add_co_u32_e32 v138, vcc, 7, v131
	v_addc_co_u32_e32 v139, vcc, 0, v132, vcc
	v_cmp_gt_i64_e32 vcc, s[12:13], v[138:139]
	v_mov_b32_e32 v138, 0
	v_mov_b32_e32 v157, 0
	;; [unrolled: 1-line block ×3, first 2 shown]
	s_and_saveexec_b64 s[0:1], vcc
	s_cbranch_execz .LBB153_170
; %bb.169:                              ;   in Loop: Header=BB153_149 Depth=1
	buffer_load_dword v130, off, s[36:39], 0 offset:184 ; 4-byte Folded Reload
	s_waitcnt vmcnt(0)
	v_add_co_u32_e32 v157, vcc, v130, v4
	buffer_load_dword v130, off, s[36:39], 0 offset:188 ; 4-byte Folded Reload
	s_waitcnt vmcnt(0)
	v_addc_co_u32_e32 v158, vcc, v130, v5, vcc
	buffer_load_dword v130, off, s[36:39], 0 offset:192 ; 4-byte Folded Reload
	s_nop 0
	global_load_dword v157, v[157:158], off
	s_waitcnt vmcnt(1)
	v_add_co_u32_e32 v158, vcc, v130, v4
	buffer_load_dword v130, off, s[36:39], 0 offset:196 ; 4-byte Folded Reload
	s_waitcnt vmcnt(0)
	v_addc_co_u32_e32 v159, vcc, v130, v5, vcc
	global_load_dword v158, v[158:159], off
.LBB153_170:                            ;   in Loop: Header=BB153_149 Depth=1
	s_or_b64 exec, exec, s[0:1]
	v_add_co_u32_e32 v159, vcc, 8, v131
	v_addc_co_u32_e32 v160, vcc, 0, v132, vcc
	v_cmp_gt_i64_e32 vcc, s[12:13], v[159:160]
	v_mov_b32_e32 v139, 0
	s_and_saveexec_b64 s[0:1], vcc
	s_cbranch_execz .LBB153_172
; %bb.171:                              ;   in Loop: Header=BB153_149 Depth=1
	buffer_load_dword v130, off, s[36:39], 0 offset:168 ; 4-byte Folded Reload
	s_waitcnt vmcnt(0)
	v_add_co_u32_e32 v138, vcc, v130, v4
	buffer_load_dword v130, off, s[36:39], 0 offset:172 ; 4-byte Folded Reload
	s_waitcnt vmcnt(0)
	v_addc_co_u32_e32 v139, vcc, v130, v5, vcc
	buffer_load_dword v130, off, s[36:39], 0 offset:176 ; 4-byte Folded Reload
	s_waitcnt vmcnt(0)
	v_add_co_u32_e32 v159, vcc, v130, v4
	buffer_load_dword v130, off, s[36:39], 0 offset:180 ; 4-byte Folded Reload
	s_waitcnt vmcnt(0)
	v_addc_co_u32_e32 v160, vcc, v130, v5, vcc
	global_load_dword v138, v[138:139], off
	s_nop 0
	global_load_dword v139, v[159:160], off
.LBB153_172:                            ;   in Loop: Header=BB153_149 Depth=1
	s_or_b64 exec, exec, s[0:1]
	v_add_co_u32_e32 v159, vcc, 9, v131
	v_addc_co_u32_e32 v160, vcc, 0, v132, vcc
	v_cmp_gt_i64_e32 vcc, s[12:13], v[159:160]
	v_mov_b32_e32 v159, 0
	v_mov_b32_e32 v160, 0
	v_mov_b32_e32 v161, 0
	s_and_saveexec_b64 s[0:1], vcc
	s_cbranch_execz .LBB153_174
; %bb.173:                              ;   in Loop: Header=BB153_149 Depth=1
	buffer_load_dword v130, off, s[36:39], 0 offset:152 ; 4-byte Folded Reload
	s_waitcnt vmcnt(0)
	v_add_co_u32_e32 v160, vcc, v130, v4
	buffer_load_dword v130, off, s[36:39], 0 offset:156 ; 4-byte Folded Reload
	s_waitcnt vmcnt(0)
	v_addc_co_u32_e32 v161, vcc, v130, v5, vcc
	buffer_load_dword v130, off, s[36:39], 0 offset:160 ; 4-byte Folded Reload
	s_nop 0
	global_load_dword v160, v[160:161], off
	s_waitcnt vmcnt(1)
	v_add_co_u32_e32 v161, vcc, v130, v4
	buffer_load_dword v130, off, s[36:39], 0 offset:164 ; 4-byte Folded Reload
	s_waitcnt vmcnt(0)
	v_addc_co_u32_e32 v162, vcc, v130, v5, vcc
	global_load_dword v161, v[161:162], off
.LBB153_174:                            ;   in Loop: Header=BB153_149 Depth=1
	s_or_b64 exec, exec, s[0:1]
	v_add_co_u32_e32 v162, vcc, 10, v131
	v_addc_co_u32_e32 v163, vcc, 0, v132, vcc
	v_cmp_gt_i64_e32 vcc, s[12:13], v[162:163]
	v_mov_b32_e32 v163, 0
	s_and_saveexec_b64 s[0:1], vcc
	s_cbranch_execz .LBB153_176
; %bb.175:                              ;   in Loop: Header=BB153_149 Depth=1
	buffer_load_dword v130, off, s[36:39], 0 offset:136 ; 4-byte Folded Reload
	s_waitcnt vmcnt(0)
	v_add_co_u32_e32 v162, vcc, v130, v4
	buffer_load_dword v130, off, s[36:39], 0 offset:140 ; 4-byte Folded Reload
	s_waitcnt vmcnt(0)
	v_addc_co_u32_e32 v163, vcc, v130, v5, vcc
	buffer_load_dword v130, off, s[36:39], 0 offset:144 ; 4-byte Folded Reload
	global_load_dword v159, v[162:163], off
	s_waitcnt vmcnt(1)
	v_add_co_u32_e32 v162, vcc, v130, v4
	buffer_load_dword v130, off, s[36:39], 0 offset:148 ; 4-byte Folded Reload
	s_waitcnt vmcnt(0)
	v_addc_co_u32_e32 v163, vcc, v130, v5, vcc
	global_load_dword v163, v[162:163], off
.LBB153_176:                            ;   in Loop: Header=BB153_149 Depth=1
	s_or_b64 exec, exec, s[0:1]
	v_add_co_u32_e32 v164, vcc, 11, v131
	v_addc_co_u32_e32 v165, vcc, 0, v132, vcc
	v_cmp_gt_i64_e32 vcc, s[12:13], v[164:165]
	v_mov_b32_e32 v162, 0
	v_mov_b32_e32 v164, 0
	v_mov_b32_e32 v165, 0
	s_and_saveexec_b64 s[0:1], vcc
	s_cbranch_execz .LBB153_178
; %bb.177:                              ;   in Loop: Header=BB153_149 Depth=1
	buffer_load_dword v130, off, s[36:39], 0 offset:120 ; 4-byte Folded Reload
	s_waitcnt vmcnt(0)
	v_add_co_u32_e32 v164, vcc, v130, v4
	buffer_load_dword v130, off, s[36:39], 0 offset:124 ; 4-byte Folded Reload
	s_waitcnt vmcnt(0)
	v_addc_co_u32_e32 v165, vcc, v130, v5, vcc
	buffer_load_dword v130, off, s[36:39], 0 offset:128 ; 4-byte Folded Reload
	s_nop 0
	global_load_dword v164, v[164:165], off
	s_waitcnt vmcnt(1)
	v_add_co_u32_e32 v165, vcc, v130, v4
	buffer_load_dword v130, off, s[36:39], 0 offset:132 ; 4-byte Folded Reload
	s_waitcnt vmcnt(0)
	v_addc_co_u32_e32 v166, vcc, v130, v5, vcc
	global_load_dword v165, v[165:166], off
.LBB153_178:                            ;   in Loop: Header=BB153_149 Depth=1
	s_or_b64 exec, exec, s[0:1]
	v_add_co_u32_e32 v166, vcc, 12, v131
	v_addc_co_u32_e32 v167, vcc, 0, v132, vcc
	v_cmp_gt_i64_e32 vcc, s[12:13], v[166:167]
	v_mov_b32_e32 v167, 0
	s_and_saveexec_b64 s[0:1], vcc
	s_cbranch_execz .LBB153_180
; %bb.179:                              ;   in Loop: Header=BB153_149 Depth=1
	buffer_load_dword v130, off, s[36:39], 0 offset:104 ; 4-byte Folded Reload
	s_waitcnt vmcnt(0)
	v_add_co_u32_e32 v166, vcc, v130, v4
	buffer_load_dword v130, off, s[36:39], 0 offset:108 ; 4-byte Folded Reload
	s_waitcnt vmcnt(0)
	v_addc_co_u32_e32 v167, vcc, v130, v5, vcc
	buffer_load_dword v130, off, s[36:39], 0 offset:112 ; 4-byte Folded Reload
	global_load_dword v162, v[166:167], off
	s_waitcnt vmcnt(1)
	v_add_co_u32_e32 v166, vcc, v130, v4
	buffer_load_dword v130, off, s[36:39], 0 offset:116 ; 4-byte Folded Reload
	s_waitcnt vmcnt(0)
	v_addc_co_u32_e32 v167, vcc, v130, v5, vcc
	global_load_dword v167, v[166:167], off
.LBB153_180:                            ;   in Loop: Header=BB153_149 Depth=1
	;; [unrolled: 49-line block ×5, first 2 shown]
	s_or_b64 exec, exec, s[0:1]
	v_add_co_u32_e32 v180, vcc, 19, v131
	v_addc_co_u32_e32 v181, vcc, 0, v132, vcc
	v_cmp_gt_i64_e32 vcc, s[12:13], v[180:181]
	v_mov_b32_e32 v178, 0
	v_mov_b32_e32 v180, 0
	;; [unrolled: 1-line block ×3, first 2 shown]
	s_and_saveexec_b64 s[0:1], vcc
	s_cbranch_execz .LBB153_194
; %bb.193:                              ;   in Loop: Header=BB153_149 Depth=1
	buffer_load_dword v130, off, s[36:39], 0 ; 4-byte Folded Reload
	v_add_co_u32_e32 v180, vcc, v206, v4
	v_addc_co_u32_e32 v181, vcc, v1, v5, vcc
	global_load_dword v180, v[180:181], off
	s_waitcnt vmcnt(1)
	v_add_co_u32_e32 v181, vcc, v130, v4
	buffer_load_dword v130, off, s[36:39], 0 offset:4 ; 4-byte Folded Reload
	s_waitcnt vmcnt(0)
	v_addc_co_u32_e32 v182, vcc, v130, v5, vcc
	global_load_dword v181, v[181:182], off
.LBB153_194:                            ;   in Loop: Header=BB153_149 Depth=1
	s_or_b64 exec, exec, s[0:1]
	v_add_co_u32_e32 v182, vcc, 20, v131
	v_addc_co_u32_e32 v183, vcc, 0, v132, vcc
	v_cmp_gt_i64_e32 vcc, s[12:13], v[182:183]
	v_mov_b32_e32 v183, 0
	s_and_saveexec_b64 s[0:1], vcc
	s_cbranch_execz .LBB153_196
; %bb.195:                              ;   in Loop: Header=BB153_149 Depth=1
	v_add_co_u32_e32 v182, vcc, v254, v4
	v_addc_co_u32_e32 v183, vcc, v255, v5, vcc
	global_load_dword v178, v[182:183], off
	v_add_co_u32_e32 v182, vcc, v3, v4
	v_addc_co_u32_e32 v183, vcc, v140, v5, vcc
	global_load_dword v183, v[182:183], off
.LBB153_196:                            ;   in Loop: Header=BB153_149 Depth=1
	s_or_b64 exec, exec, s[0:1]
	v_add_co_u32_e32 v184, vcc, 21, v131
	v_addc_co_u32_e32 v185, vcc, 0, v132, vcc
	v_cmp_gt_i64_e32 vcc, s[12:13], v[184:185]
	v_mov_b32_e32 v182, 0
	v_mov_b32_e32 v184, 0
	v_mov_b32_e32 v185, 0
	s_and_saveexec_b64 s[0:1], vcc
	s_cbranch_execz .LBB153_198
; %bb.197:                              ;   in Loop: Header=BB153_149 Depth=1
	v_add_co_u32_e32 v184, vcc, v250, v4
	v_addc_co_u32_e32 v185, vcc, v251, v5, vcc
	global_load_dword v184, v[184:185], off
	v_add_co_u32_e32 v185, vcc, v252, v4
	v_addc_co_u32_e32 v186, vcc, v253, v5, vcc
	global_load_dword v185, v[185:186], off
.LBB153_198:                            ;   in Loop: Header=BB153_149 Depth=1
	s_or_b64 exec, exec, s[0:1]
	v_add_co_u32_e32 v186, vcc, 22, v131
	v_addc_co_u32_e32 v187, vcc, 0, v132, vcc
	v_cmp_gt_i64_e32 vcc, s[12:13], v[186:187]
	v_mov_b32_e32 v187, 0
	s_and_saveexec_b64 s[0:1], vcc
	s_cbranch_execz .LBB153_200
; %bb.199:                              ;   in Loop: Header=BB153_149 Depth=1
	v_add_co_u32_e32 v186, vcc, v246, v4
	v_addc_co_u32_e32 v187, vcc, v247, v5, vcc
	global_load_dword v182, v[186:187], off
	v_add_co_u32_e32 v186, vcc, v248, v4
	v_addc_co_u32_e32 v187, vcc, v249, v5, vcc
	global_load_dword v187, v[186:187], off
.LBB153_200:                            ;   in Loop: Header=BB153_149 Depth=1
	s_or_b64 exec, exec, s[0:1]
	v_add_co_u32_e32 v188, vcc, 23, v131
	v_addc_co_u32_e32 v189, vcc, 0, v132, vcc
	v_cmp_gt_i64_e32 vcc, s[12:13], v[188:189]
	v_mov_b32_e32 v186, 0
	v_mov_b32_e32 v188, 0
	v_mov_b32_e32 v189, 0
	s_and_saveexec_b64 s[0:1], vcc
	s_cbranch_execz .LBB153_202
; %bb.201:                              ;   in Loop: Header=BB153_149 Depth=1
	v_add_co_u32_e32 v188, vcc, v242, v4
	v_addc_co_u32_e32 v189, vcc, v243, v5, vcc
	global_load_dword v188, v[188:189], off
	v_add_co_u32_e32 v189, vcc, v244, v4
	v_addc_co_u32_e32 v190, vcc, v245, v5, vcc
	global_load_dword v189, v[189:190], off
.LBB153_202:                            ;   in Loop: Header=BB153_149 Depth=1
	;; [unrolled: 32-line block ×5, first 2 shown]
	s_or_b64 exec, exec, s[0:1]
	v_add_co_u32_e32 v202, vcc, 30, v131
	v_addc_co_u32_e32 v203, vcc, 0, v132, vcc
	v_cmp_gt_i64_e32 vcc, s[12:13], v[202:203]
	v_mov_b32_e32 v202, 0
	s_and_saveexec_b64 s[0:1], vcc
	s_cbranch_execz .LBB153_216
; %bb.215:                              ;   in Loop: Header=BB153_149 Depth=1
	v_add_co_u32_e32 v202, vcc, v214, v4
	v_addc_co_u32_e32 v203, vcc, v215, v5, vcc
	global_load_dword v199, v[202:203], off
	v_add_co_u32_e32 v202, vcc, v216, v4
	v_addc_co_u32_e32 v203, vcc, v217, v5, vcc
	global_load_dword v202, v[202:203], off
.LBB153_216:                            ;   in Loop: Header=BB153_149 Depth=1
	s_or_b64 exec, exec, s[0:1]
	v_add_co_u32_e32 v203, vcc, 31, v131
	v_addc_co_u32_e32 v204, vcc, 0, v132, vcc
	v_cmp_gt_i64_e32 vcc, s[12:13], v[203:204]
	v_mov_b32_e32 v203, 0
	s_and_saveexec_b64 s[0:1], vcc
	s_cbranch_execz .LBB153_218
; %bb.217:                              ;   in Loop: Header=BB153_149 Depth=1
	v_add_co_u32_e32 v203, vcc, v210, v4
	v_addc_co_u32_e32 v204, vcc, v211, v5, vcc
	v_mov_b32_e32 v130, v1
	v_mov_b32_e32 v1, v206
	;; [unrolled: 1-line block ×52, first 2 shown]
	global_load_dword v205, v[203:204], off
	v_add_co_u32_e32 v203, vcc, v212, v4
	v_addc_co_u32_e32 v204, vcc, v213, v5, vcc
	global_load_dword v203, v[203:204], off
	s_waitcnt vmcnt(0)
	v_mul_f32_e32 v203, v205, v203
	v_mov_b32_e32 v205, v207
	v_mov_b32_e32 v207, v136
	;; [unrolled: 1-line block ×52, first 2 shown]
.LBB153_218:                            ;   in Loop: Header=BB153_149 Depth=1
	s_or_b64 exec, exec, s[0:1]
	buffer_load_dword v130, off, s[36:39], 0 offset:280 ; 4-byte Folded Reload
	ds_bpermute_b32 v204, v145, v147
	s_waitcnt vmcnt(1)
	v_mul_f32_e32 v148, v148, v149
	v_mul_f32_e32 v134, v134, v151
	v_mul_f32_e32 v2, v2, v156
	s_mov_b64 s[0:1], 0
	s_waitcnt vmcnt(0)
	v_mul_f32_e32 v130, v130, v133
	ds_bpermute_b32 v133, v145, v147 offset:4
	s_waitcnt lgkmcnt(1)
	v_fma_f32 v130, v130, v204, v146
	s_waitcnt lgkmcnt(0)
	v_fmac_f32_e32 v130, v148, v133
	ds_bpermute_b32 v133, v145, v147 offset:8
	s_waitcnt lgkmcnt(0)
	v_fmac_f32_e32 v130, v134, v133
	ds_bpermute_b32 v133, v145, v147 offset:12
	v_mul_f32_e32 v134, v152, v153
	s_waitcnt lgkmcnt(0)
	v_fmac_f32_e32 v130, v134, v133
	ds_bpermute_b32 v133, v145, v147 offset:16
	v_mul_f32_e32 v134, v150, v154
	;; [unrolled: 4-line block ×3, first 2 shown]
	s_waitcnt lgkmcnt(0)
	v_fmac_f32_e32 v130, v134, v133
	ds_bpermute_b32 v133, v145, v147 offset:24
	s_waitcnt lgkmcnt(0)
	v_fmac_f32_e32 v130, v2, v133
	ds_bpermute_b32 v2, v145, v147 offset:28
	v_mul_f32_e32 v133, v157, v158
	s_waitcnt lgkmcnt(0)
	v_fmac_f32_e32 v130, v133, v2
	ds_bpermute_b32 v2, v145, v147 offset:32
	v_mul_f32_e32 v133, v138, v139
	;; [unrolled: 4-line block ×24, first 2 shown]
	s_waitcnt lgkmcnt(0)
	v_fmac_f32_e32 v130, v133, v2
	ds_bpermute_b32 v2, v145, v147 offset:124
	s_waitcnt lgkmcnt(0)
	v_fmac_f32_e32 v130, v203, v2
.LBB153_219:                            ;   in Loop: Header=BB153_149 Depth=1
	s_and_b64 vcc, exec, s[0:1]
	s_cbranch_vccz .LBB153_225
; %bb.220:                              ;   in Loop: Header=BB153_149 Depth=1
	s_load_dword s0, s[10:11], 0x0
	buffer_load_dword v133, off, s[36:39], 0 offset:292 ; 4-byte Folded Reload
	buffer_load_dword v134, off, s[36:39], 0 offset:296 ; 4-byte Folded Reload
	s_waitcnt lgkmcnt(0)
	s_cmp_lt_u32 s6, s0
	s_cselect_b32 s0, 12, 18
	s_add_u32 s0, s10, s0
	s_addc_u32 s1, s11, 0
	s_waitcnt vmcnt(0)
	global_load_ushort v2, v134, s[0:1]
	s_nop 0
	buffer_load_dword v133, off, s[36:39], 0 offset:284 ; 4-byte Folded Reload
	buffer_load_dword v134, off, s[36:39], 0 offset:288 ; 4-byte Folded Reload
	s_waitcnt vmcnt(1)
	v_mad_u32_u24 v2, v133, v2, v0
	v_and_b32_e32 v130, 63, v2
	v_cmp_gt_u32_e32 vcc, 32, v130
	v_mov_b32_e32 v2, 0
	s_and_saveexec_b64 s[0:1], vcc
	s_cbranch_execz .LBB153_224
; %bb.221:                              ;   in Loop: Header=BB153_149 Depth=1
	v_add_co_u32_e32 v130, vcc, v131, v130
	v_addc_co_u32_e32 v131, vcc, 0, v132, vcc
	v_cmp_gt_i64_e32 vcc, s[12:13], v[130:131]
	v_mov_b32_e32 v2, 0
	s_and_saveexec_b64 s[18:19], vcc
	s_cbranch_execz .LBB153_223
; %bb.222:                              ;   in Loop: Header=BB153_149 Depth=1
	v_lshlrev_b64 v[130:131], 2, v[130:131]
	v_mov_b32_e32 v2, s21
	v_add_co_u32_e32 v130, vcc, s20, v130
	v_addc_co_u32_e32 v131, vcc, v2, v131, vcc
	global_load_dword v2, v[130:131], off
.LBB153_223:                            ;   in Loop: Header=BB153_149 Depth=1
	s_or_b64 exec, exec, s[18:19]
.LBB153_224:                            ;   in Loop: Header=BB153_149 Depth=1
	s_or_b64 exec, exec, s[0:1]
	v_add_co_u32_e32 v130, vcc, v205, v4
	v_addc_co_u32_e32 v131, vcc, v207, v5, vcc
	global_load_dword v133, v[130:131], off
	v_add_co_u32_e32 v130, vcc, v208, v4
	v_addc_co_u32_e32 v131, vcc, v209, v5, vcc
	global_load_dword v134, v[130:131], off
	;; [unrolled: 3-line block ×64, first 2 shown]
	s_waitcnt vmcnt(62)
	ds_bpermute_b32 v132, v145, v2
	v_mul_f32_e32 v133, v133, v134
	s_waitcnt lgkmcnt(0)
	v_fmac_f32_e32 v146, v133, v132
	ds_bpermute_b32 v132, v145, v2 offset:4
	s_waitcnt vmcnt(60)
	v_mul_f32_e32 v133, v137, v138
	s_waitcnt lgkmcnt(0)
	v_fmac_f32_e32 v146, v133, v132
	ds_bpermute_b32 v132, v145, v2 offset:8
	s_waitcnt vmcnt(58)
	;; [unrolled: 5-line block ×13, first 2 shown]
	v_mul_f32_e32 v133, v168, v169
	s_waitcnt vmcnt(0)
	v_mul_f32_e32 v130, v130, v131
	s_waitcnt lgkmcnt(0)
	v_fmac_f32_e32 v146, v133, v132
	ds_bpermute_b32 v132, v145, v2 offset:56
	v_mul_f32_e32 v133, v170, v171
	s_waitcnt lgkmcnt(0)
	v_fmac_f32_e32 v146, v133, v132
	ds_bpermute_b32 v132, v145, v2 offset:60
	;; [unrolled: 4-line block ×17, first 2 shown]
	ds_bpermute_b32 v2, v145, v2 offset:124
	v_mul_f32_e32 v133, v202, v203
	s_waitcnt lgkmcnt(1)
	v_fmac_f32_e32 v146, v133, v132
	s_waitcnt lgkmcnt(0)
	v_fmac_f32_e32 v146, v130, v2
	v_mov_b32_e32 v130, v146
.LBB153_225:                            ;   in Loop: Header=BB153_149 Depth=1
	v_add_co_u32_e32 v205, vcc, s24, v205
	v_mov_b32_e32 v2, s25
	v_addc_co_u32_e32 v207, vcc, v207, v2, vcc
	v_add_co_u32_e32 v208, vcc, s24, v208
	v_addc_co_u32_e32 v209, vcc, v209, v2, vcc
	v_add_co_u32_e32 v135, vcc, s7, v135
	;; [unrolled: 2-line block ×50, first 2 shown]
	buffer_load_dword v131, off, s[36:39], 0 ; 4-byte Folded Reload
	v_addc_co_u32_e32 v101, vcc, v101, v2, vcc
	v_add_co_u32_e32 v102, vcc, s24, v102
	v_addc_co_u32_e32 v103, vcc, v103, v2, vcc
	v_add_co_u32_e32 v104, vcc, s24, v104
	;; [unrolled: 2-line block ×39, first 2 shown]
	v_addc_co_u32_e32 v1, vcc, v1, v2, vcc
	s_waitcnt vmcnt(0)
	v_add_co_u32_e32 v131, vcc, s24, v131
	buffer_store_dword v131, off, s[36:39], 0 ; 4-byte Folded Spill
	buffer_load_dword v131, off, s[36:39], 0 offset:4 ; 4-byte Folded Reload
	s_add_u32 s16, s16, s7
	s_addc_u32 s17, s17, 0
	s_add_u32 s26, s26, s7
	s_addc_u32 s27, 0, s27
	s_waitcnt vmcnt(0)
	v_addc_co_u32_e32 v131, vcc, v131, v2, vcc
	buffer_store_dword v131, off, s[36:39], 0 offset:4 ; 4-byte Folded Spill
	buffer_load_dword v131, off, s[36:39], 0 offset:8 ; 4-byte Folded Reload
	s_waitcnt vmcnt(0)
	v_add_co_u32_e32 v131, vcc, s24, v131
	buffer_store_dword v131, off, s[36:39], 0 offset:8 ; 4-byte Folded Spill
	buffer_load_dword v131, off, s[36:39], 0 offset:12 ; 4-byte Folded Reload
	s_waitcnt vmcnt(0)
	v_addc_co_u32_e32 v131, vcc, v131, v2, vcc
	buffer_store_dword v131, off, s[36:39], 0 offset:12 ; 4-byte Folded Spill
	buffer_load_dword v131, off, s[36:39], 0 offset:16 ; 4-byte Folded Reload
	s_waitcnt vmcnt(0)
	v_add_co_u32_e32 v131, vcc, s24, v131
	buffer_store_dword v131, off, s[36:39], 0 offset:16 ; 4-byte Folded Spill
	buffer_load_dword v131, off, s[36:39], 0 offset:20 ; 4-byte Folded Reload
	s_waitcnt vmcnt(0)
	v_addc_co_u32_e32 v131, vcc, v131, v2, vcc
	buffer_store_dword v131, off, s[36:39], 0 offset:20 ; 4-byte Folded Spill
	buffer_load_dword v131, off, s[36:39], 0 offset:24 ; 4-byte Folded Reload
	s_waitcnt vmcnt(0)
	v_add_co_u32_e32 v131, vcc, s24, v131
	buffer_store_dword v131, off, s[36:39], 0 offset:24 ; 4-byte Folded Spill
	buffer_load_dword v131, off, s[36:39], 0 offset:28 ; 4-byte Folded Reload
	s_waitcnt vmcnt(0)
	v_addc_co_u32_e32 v131, vcc, v131, v2, vcc
	buffer_store_dword v131, off, s[36:39], 0 offset:28 ; 4-byte Folded Spill
	buffer_load_dword v131, off, s[36:39], 0 offset:32 ; 4-byte Folded Reload
	s_waitcnt vmcnt(0)
	v_add_co_u32_e32 v131, vcc, s24, v131
	buffer_store_dword v131, off, s[36:39], 0 offset:32 ; 4-byte Folded Spill
	buffer_load_dword v131, off, s[36:39], 0 offset:36 ; 4-byte Folded Reload
	s_waitcnt vmcnt(0)
	v_addc_co_u32_e32 v131, vcc, v131, v2, vcc
	buffer_store_dword v131, off, s[36:39], 0 offset:36 ; 4-byte Folded Spill
	buffer_load_dword v131, off, s[36:39], 0 offset:40 ; 4-byte Folded Reload
	s_waitcnt vmcnt(0)
	v_add_co_u32_e32 v131, vcc, s24, v131
	buffer_store_dword v131, off, s[36:39], 0 offset:40 ; 4-byte Folded Spill
	buffer_load_dword v131, off, s[36:39], 0 offset:44 ; 4-byte Folded Reload
	s_waitcnt vmcnt(0)
	v_addc_co_u32_e32 v131, vcc, v131, v2, vcc
	buffer_store_dword v131, off, s[36:39], 0 offset:44 ; 4-byte Folded Spill
	buffer_load_dword v131, off, s[36:39], 0 offset:48 ; 4-byte Folded Reload
	s_waitcnt vmcnt(0)
	v_add_co_u32_e32 v131, vcc, s24, v131
	buffer_store_dword v131, off, s[36:39], 0 offset:48 ; 4-byte Folded Spill
	buffer_load_dword v131, off, s[36:39], 0 offset:52 ; 4-byte Folded Reload
	s_waitcnt vmcnt(0)
	v_addc_co_u32_e32 v131, vcc, v131, v2, vcc
	buffer_store_dword v131, off, s[36:39], 0 offset:52 ; 4-byte Folded Spill
	buffer_load_dword v131, off, s[36:39], 0 offset:56 ; 4-byte Folded Reload
	s_waitcnt vmcnt(0)
	v_add_co_u32_e32 v131, vcc, s24, v131
	buffer_store_dword v131, off, s[36:39], 0 offset:56 ; 4-byte Folded Spill
	buffer_load_dword v131, off, s[36:39], 0 offset:60 ; 4-byte Folded Reload
	s_waitcnt vmcnt(0)
	v_addc_co_u32_e32 v131, vcc, v131, v2, vcc
	buffer_store_dword v131, off, s[36:39], 0 offset:60 ; 4-byte Folded Spill
	buffer_load_dword v131, off, s[36:39], 0 offset:64 ; 4-byte Folded Reload
	s_waitcnt vmcnt(0)
	v_add_co_u32_e32 v131, vcc, s24, v131
	buffer_store_dword v131, off, s[36:39], 0 offset:64 ; 4-byte Folded Spill
	buffer_load_dword v131, off, s[36:39], 0 offset:68 ; 4-byte Folded Reload
	s_waitcnt vmcnt(0)
	v_addc_co_u32_e32 v131, vcc, v131, v2, vcc
	buffer_store_dword v131, off, s[36:39], 0 offset:68 ; 4-byte Folded Spill
	buffer_load_dword v131, off, s[36:39], 0 offset:72 ; 4-byte Folded Reload
	s_waitcnt vmcnt(0)
	v_add_co_u32_e32 v131, vcc, s24, v131
	buffer_store_dword v131, off, s[36:39], 0 offset:72 ; 4-byte Folded Spill
	buffer_load_dword v131, off, s[36:39], 0 offset:76 ; 4-byte Folded Reload
	s_waitcnt vmcnt(0)
	v_addc_co_u32_e32 v131, vcc, v131, v2, vcc
	buffer_store_dword v131, off, s[36:39], 0 offset:76 ; 4-byte Folded Spill
	buffer_load_dword v131, off, s[36:39], 0 offset:80 ; 4-byte Folded Reload
	s_waitcnt vmcnt(0)
	v_add_co_u32_e32 v131, vcc, s24, v131
	buffer_store_dword v131, off, s[36:39], 0 offset:80 ; 4-byte Folded Spill
	buffer_load_dword v131, off, s[36:39], 0 offset:84 ; 4-byte Folded Reload
	s_waitcnt vmcnt(0)
	v_addc_co_u32_e32 v131, vcc, v131, v2, vcc
	buffer_store_dword v131, off, s[36:39], 0 offset:84 ; 4-byte Folded Spill
	buffer_load_dword v131, off, s[36:39], 0 offset:88 ; 4-byte Folded Reload
	s_waitcnt vmcnt(0)
	v_add_co_u32_e32 v131, vcc, s24, v131
	buffer_store_dword v131, off, s[36:39], 0 offset:88 ; 4-byte Folded Spill
	buffer_load_dword v131, off, s[36:39], 0 offset:92 ; 4-byte Folded Reload
	s_waitcnt vmcnt(0)
	v_addc_co_u32_e32 v131, vcc, v131, v2, vcc
	buffer_store_dword v131, off, s[36:39], 0 offset:92 ; 4-byte Folded Spill
	buffer_load_dword v131, off, s[36:39], 0 offset:96 ; 4-byte Folded Reload
	s_waitcnt vmcnt(0)
	v_add_co_u32_e32 v131, vcc, s24, v131
	buffer_store_dword v131, off, s[36:39], 0 offset:96 ; 4-byte Folded Spill
	buffer_load_dword v131, off, s[36:39], 0 offset:100 ; 4-byte Folded Reload
	s_waitcnt vmcnt(0)
	v_addc_co_u32_e32 v131, vcc, v131, v2, vcc
	buffer_store_dword v131, off, s[36:39], 0 offset:100 ; 4-byte Folded Spill
	buffer_load_dword v131, off, s[36:39], 0 offset:104 ; 4-byte Folded Reload
	s_waitcnt vmcnt(0)
	v_add_co_u32_e32 v131, vcc, s24, v131
	buffer_store_dword v131, off, s[36:39], 0 offset:104 ; 4-byte Folded Spill
	buffer_load_dword v131, off, s[36:39], 0 offset:108 ; 4-byte Folded Reload
	s_waitcnt vmcnt(0)
	v_addc_co_u32_e32 v131, vcc, v131, v2, vcc
	buffer_store_dword v131, off, s[36:39], 0 offset:108 ; 4-byte Folded Spill
	buffer_load_dword v131, off, s[36:39], 0 offset:112 ; 4-byte Folded Reload
	s_waitcnt vmcnt(0)
	v_add_co_u32_e32 v131, vcc, s24, v131
	buffer_store_dword v131, off, s[36:39], 0 offset:112 ; 4-byte Folded Spill
	buffer_load_dword v131, off, s[36:39], 0 offset:116 ; 4-byte Folded Reload
	s_waitcnt vmcnt(0)
	v_addc_co_u32_e32 v131, vcc, v131, v2, vcc
	buffer_store_dword v131, off, s[36:39], 0 offset:116 ; 4-byte Folded Spill
	buffer_load_dword v131, off, s[36:39], 0 offset:120 ; 4-byte Folded Reload
	s_waitcnt vmcnt(0)
	v_add_co_u32_e32 v131, vcc, s24, v131
	buffer_store_dword v131, off, s[36:39], 0 offset:120 ; 4-byte Folded Spill
	buffer_load_dword v131, off, s[36:39], 0 offset:124 ; 4-byte Folded Reload
	s_waitcnt vmcnt(0)
	v_addc_co_u32_e32 v131, vcc, v131, v2, vcc
	buffer_store_dword v131, off, s[36:39], 0 offset:124 ; 4-byte Folded Spill
	buffer_load_dword v131, off, s[36:39], 0 offset:128 ; 4-byte Folded Reload
	s_waitcnt vmcnt(0)
	v_add_co_u32_e32 v131, vcc, s24, v131
	buffer_store_dword v131, off, s[36:39], 0 offset:128 ; 4-byte Folded Spill
	buffer_load_dword v131, off, s[36:39], 0 offset:132 ; 4-byte Folded Reload
	s_waitcnt vmcnt(0)
	v_addc_co_u32_e32 v131, vcc, v131, v2, vcc
	buffer_store_dword v131, off, s[36:39], 0 offset:132 ; 4-byte Folded Spill
	buffer_load_dword v131, off, s[36:39], 0 offset:136 ; 4-byte Folded Reload
	s_waitcnt vmcnt(0)
	v_add_co_u32_e32 v131, vcc, s24, v131
	buffer_store_dword v131, off, s[36:39], 0 offset:136 ; 4-byte Folded Spill
	buffer_load_dword v131, off, s[36:39], 0 offset:140 ; 4-byte Folded Reload
	s_waitcnt vmcnt(0)
	v_addc_co_u32_e32 v131, vcc, v131, v2, vcc
	buffer_store_dword v131, off, s[36:39], 0 offset:140 ; 4-byte Folded Spill
	buffer_load_dword v131, off, s[36:39], 0 offset:144 ; 4-byte Folded Reload
	s_waitcnt vmcnt(0)
	v_add_co_u32_e32 v131, vcc, s24, v131
	buffer_store_dword v131, off, s[36:39], 0 offset:144 ; 4-byte Folded Spill
	buffer_load_dword v131, off, s[36:39], 0 offset:148 ; 4-byte Folded Reload
	s_waitcnt vmcnt(0)
	v_addc_co_u32_e32 v131, vcc, v131, v2, vcc
	buffer_store_dword v131, off, s[36:39], 0 offset:148 ; 4-byte Folded Spill
	buffer_load_dword v131, off, s[36:39], 0 offset:152 ; 4-byte Folded Reload
	s_waitcnt vmcnt(0)
	v_add_co_u32_e32 v131, vcc, s24, v131
	buffer_store_dword v131, off, s[36:39], 0 offset:152 ; 4-byte Folded Spill
	buffer_load_dword v131, off, s[36:39], 0 offset:156 ; 4-byte Folded Reload
	s_waitcnt vmcnt(0)
	v_addc_co_u32_e32 v131, vcc, v131, v2, vcc
	buffer_store_dword v131, off, s[36:39], 0 offset:156 ; 4-byte Folded Spill
	buffer_load_dword v131, off, s[36:39], 0 offset:160 ; 4-byte Folded Reload
	s_waitcnt vmcnt(0)
	v_add_co_u32_e32 v131, vcc, s24, v131
	buffer_store_dword v131, off, s[36:39], 0 offset:160 ; 4-byte Folded Spill
	buffer_load_dword v131, off, s[36:39], 0 offset:164 ; 4-byte Folded Reload
	s_waitcnt vmcnt(0)
	v_addc_co_u32_e32 v131, vcc, v131, v2, vcc
	buffer_store_dword v131, off, s[36:39], 0 offset:164 ; 4-byte Folded Spill
	buffer_load_dword v131, off, s[36:39], 0 offset:168 ; 4-byte Folded Reload
	s_waitcnt vmcnt(0)
	v_add_co_u32_e32 v131, vcc, s24, v131
	buffer_store_dword v131, off, s[36:39], 0 offset:168 ; 4-byte Folded Spill
	buffer_load_dword v131, off, s[36:39], 0 offset:172 ; 4-byte Folded Reload
	s_waitcnt vmcnt(0)
	v_addc_co_u32_e32 v131, vcc, v131, v2, vcc
	buffer_store_dword v131, off, s[36:39], 0 offset:172 ; 4-byte Folded Spill
	buffer_load_dword v131, off, s[36:39], 0 offset:176 ; 4-byte Folded Reload
	s_waitcnt vmcnt(0)
	v_add_co_u32_e32 v131, vcc, s24, v131
	buffer_store_dword v131, off, s[36:39], 0 offset:176 ; 4-byte Folded Spill
	buffer_load_dword v131, off, s[36:39], 0 offset:180 ; 4-byte Folded Reload
	s_waitcnt vmcnt(0)
	v_addc_co_u32_e32 v131, vcc, v131, v2, vcc
	buffer_store_dword v131, off, s[36:39], 0 offset:180 ; 4-byte Folded Spill
	buffer_load_dword v131, off, s[36:39], 0 offset:184 ; 4-byte Folded Reload
	s_waitcnt vmcnt(0)
	v_add_co_u32_e32 v131, vcc, s24, v131
	buffer_store_dword v131, off, s[36:39], 0 offset:184 ; 4-byte Folded Spill
	buffer_load_dword v131, off, s[36:39], 0 offset:188 ; 4-byte Folded Reload
	s_waitcnt vmcnt(0)
	v_addc_co_u32_e32 v131, vcc, v131, v2, vcc
	buffer_store_dword v131, off, s[36:39], 0 offset:188 ; 4-byte Folded Spill
	buffer_load_dword v131, off, s[36:39], 0 offset:192 ; 4-byte Folded Reload
	s_waitcnt vmcnt(0)
	v_add_co_u32_e32 v131, vcc, s24, v131
	buffer_store_dword v131, off, s[36:39], 0 offset:192 ; 4-byte Folded Spill
	buffer_load_dword v131, off, s[36:39], 0 offset:196 ; 4-byte Folded Reload
	s_waitcnt vmcnt(0)
	v_addc_co_u32_e32 v131, vcc, v131, v2, vcc
	buffer_store_dword v131, off, s[36:39], 0 offset:196 ; 4-byte Folded Spill
	buffer_load_dword v131, off, s[36:39], 0 offset:200 ; 4-byte Folded Reload
	s_waitcnt vmcnt(0)
	v_add_co_u32_e32 v131, vcc, s24, v131
	buffer_store_dword v131, off, s[36:39], 0 offset:200 ; 4-byte Folded Spill
	buffer_load_dword v131, off, s[36:39], 0 offset:204 ; 4-byte Folded Reload
	s_waitcnt vmcnt(0)
	v_addc_co_u32_e32 v131, vcc, v131, v2, vcc
	buffer_store_dword v131, off, s[36:39], 0 offset:204 ; 4-byte Folded Spill
	buffer_load_dword v131, off, s[36:39], 0 offset:208 ; 4-byte Folded Reload
	s_waitcnt vmcnt(0)
	v_add_co_u32_e32 v131, vcc, s24, v131
	buffer_store_dword v131, off, s[36:39], 0 offset:208 ; 4-byte Folded Spill
	buffer_load_dword v131, off, s[36:39], 0 offset:212 ; 4-byte Folded Reload
	s_waitcnt vmcnt(0)
	v_addc_co_u32_e32 v131, vcc, v131, v2, vcc
	buffer_store_dword v131, off, s[36:39], 0 offset:212 ; 4-byte Folded Spill
	buffer_load_dword v131, off, s[36:39], 0 offset:216 ; 4-byte Folded Reload
	s_waitcnt vmcnt(0)
	v_add_co_u32_e32 v131, vcc, s24, v131
	buffer_store_dword v131, off, s[36:39], 0 offset:216 ; 4-byte Folded Spill
	buffer_load_dword v131, off, s[36:39], 0 offset:220 ; 4-byte Folded Reload
	s_waitcnt vmcnt(0)
	v_addc_co_u32_e32 v131, vcc, v131, v2, vcc
	buffer_store_dword v131, off, s[36:39], 0 offset:220 ; 4-byte Folded Spill
	buffer_load_dword v131, off, s[36:39], 0 offset:224 ; 4-byte Folded Reload
	s_waitcnt vmcnt(0)
	v_add_co_u32_e32 v131, vcc, s24, v131
	buffer_store_dword v131, off, s[36:39], 0 offset:224 ; 4-byte Folded Spill
	buffer_load_dword v131, off, s[36:39], 0 offset:228 ; 4-byte Folded Reload
	s_waitcnt vmcnt(0)
	v_addc_co_u32_e32 v131, vcc, v131, v2, vcc
	buffer_store_dword v131, off, s[36:39], 0 offset:228 ; 4-byte Folded Spill
	buffer_load_dword v131, off, s[36:39], 0 offset:232 ; 4-byte Folded Reload
	s_waitcnt vmcnt(0)
	v_add_co_u32_e32 v131, vcc, s24, v131
	buffer_store_dword v131, off, s[36:39], 0 offset:232 ; 4-byte Folded Spill
	buffer_load_dword v131, off, s[36:39], 0 offset:236 ; 4-byte Folded Reload
	s_waitcnt vmcnt(0)
	v_addc_co_u32_e32 v131, vcc, v131, v2, vcc
	buffer_store_dword v131, off, s[36:39], 0 offset:236 ; 4-byte Folded Spill
	buffer_load_dword v131, off, s[36:39], 0 offset:240 ; 4-byte Folded Reload
	s_waitcnt vmcnt(0)
	v_add_co_u32_e32 v131, vcc, s24, v131
	buffer_store_dword v131, off, s[36:39], 0 offset:240 ; 4-byte Folded Spill
	buffer_load_dword v131, off, s[36:39], 0 offset:244 ; 4-byte Folded Reload
	s_waitcnt vmcnt(0)
	v_addc_co_u32_e32 v131, vcc, v131, v2, vcc
	buffer_store_dword v131, off, s[36:39], 0 offset:244 ; 4-byte Folded Spill
	buffer_load_dword v131, off, s[36:39], 0 offset:248 ; 4-byte Folded Reload
	s_waitcnt vmcnt(0)
	v_add_co_u32_e32 v131, vcc, s24, v131
	buffer_store_dword v131, off, s[36:39], 0 offset:248 ; 4-byte Folded Spill
	buffer_load_dword v131, off, s[36:39], 0 offset:252 ; 4-byte Folded Reload
	s_waitcnt vmcnt(0)
	v_addc_co_u32_e32 v131, vcc, v131, v2, vcc
	buffer_store_dword v131, off, s[36:39], 0 offset:252 ; 4-byte Folded Spill
	buffer_load_dword v131, off, s[36:39], 0 offset:256 ; 4-byte Folded Reload
	s_waitcnt vmcnt(0)
	v_add_co_u32_e32 v131, vcc, s24, v131
	buffer_store_dword v131, off, s[36:39], 0 offset:256 ; 4-byte Folded Spill
	buffer_load_dword v131, off, s[36:39], 0 offset:260 ; 4-byte Folded Reload
	s_waitcnt vmcnt(0)
	v_addc_co_u32_e32 v131, vcc, v131, v2, vcc
	buffer_store_dword v131, off, s[36:39], 0 offset:260 ; 4-byte Folded Spill
	buffer_load_dword v131, off, s[36:39], 0 offset:264 ; 4-byte Folded Reload
	s_waitcnt vmcnt(0)
	v_add_co_u32_e32 v131, vcc, s24, v131
	buffer_store_dword v131, off, s[36:39], 0 offset:264 ; 4-byte Folded Spill
	buffer_load_dword v131, off, s[36:39], 0 offset:268 ; 4-byte Folded Reload
	s_waitcnt vmcnt(0)
	v_addc_co_u32_e32 v131, vcc, v131, v2, vcc
	buffer_store_dword v131, off, s[36:39], 0 offset:268 ; 4-byte Folded Spill
	buffer_load_dword v131, off, s[36:39], 0 offset:272 ; 4-byte Folded Reload
	s_waitcnt vmcnt(0)
	v_add_co_u32_e32 v131, vcc, s24, v131
	buffer_store_dword v131, off, s[36:39], 0 offset:272 ; 4-byte Folded Spill
	buffer_load_dword v131, off, s[36:39], 0 offset:276 ; 4-byte Folded Reload
	s_waitcnt vmcnt(0)
	v_addc_co_u32_e32 v131, vcc, v131, v2, vcc
	v_add_co_u32_e32 v141, vcc, s24, v141
	v_addc_co_u32_e32 v142, vcc, v142, v2, vcc
	buffer_store_dword v131, off, s[36:39], 0 offset:276 ; 4-byte Folded Spill
	v_add_co_u32_e32 v143, vcc, s24, v143
	v_mov_b32_e32 v132, s13
	v_addc_co_u32_e32 v144, vcc, v144, v2, vcc
	v_mov_b32_e32 v131, s12
	v_cmp_ge_i64_e32 vcc, s[16:17], v[131:132]
	s_cbranch_vccnz .LBB153_227
; %bb.226:                              ;   in Loop: Header=BB153_149 Depth=1
	v_mov_b32_e32 v146, v130
	s_branch .LBB153_149
.LBB153_227:
	buffer_load_dword v1, off, s[36:39], 0 offset:284 ; 4-byte Folded Reload
	buffer_load_dword v2, off, s[36:39], 0 offset:288 ; 4-byte Folded Reload
.LBB153_228:
	s_mov_b32 s7, 0
	s_lshl_b64 s[0:1], s[6:7], 5
	v_or_b32_e32 v3, s0, v0
	v_mov_b32_e32 v4, s1
	v_cmp_gt_i64_e32 vcc, s[14:15], v[3:4]
	s_waitcnt lgkmcnt(0)
	s_cmp_lg_u64 s[2:3], 0
	s_cselect_b64 s[0:1], -1, 0
	s_and_b64 s[0:1], vcc, s[0:1]
	s_and_saveexec_b64 s[6:7], s[0:1]
	s_cbranch_execz .LBB153_230
; %bb.229:
	s_load_dword s0, s[4:5], 0x4c
	s_waitcnt vmcnt(0)
	v_mov_b32_e32 v2, 0
	v_mov_b32_e32 v0, s8
	;; [unrolled: 1-line block ×3, first 2 shown]
	s_waitcnt lgkmcnt(0)
	s_lshr_b32 s0, s0, 16
	v_mad_u64_u32 v[0:1], s[0:1], s0, v0, v[1:2]
	v_lshlrev_b64 v[2:3], 2, v[3:4]
	v_mul_lo_u32 v5, v1, s14
	v_mul_lo_u32 v6, v0, s15
	v_mad_u64_u32 v[0:1], s[0:1], v0, s14, 0
	v_add3_u32 v1, v1, v6, v5
	v_lshlrev_b64 v[0:1], 2, v[0:1]
	v_add_co_u32_e32 v0, vcc, s2, v0
	v_addc_co_u32_e32 v1, vcc, v7, v1, vcc
	v_add_co_u32_e32 v0, vcc, v0, v2
	v_addc_co_u32_e32 v1, vcc, v1, v3, vcc
	global_store_dword v[0:1], v130, off
.LBB153_230:
	s_endpgm
	.section	.rodata,"a",@progbits
	.p2align	6, 0x0
	.amdhsa_kernel _ZN2at6native12_GLOBAL__N_135GammaBetaBackwardCUDAKernelTemplateIffLj32ELj1ELj32ELb1ELb0ELb1EEEvllPKT_S5_PKT0_S8_PS3_S9_
		.amdhsa_group_segment_fixed_size 0
		.amdhsa_private_segment_fixed_size 304
		.amdhsa_kernarg_size 320
		.amdhsa_user_sgpr_count 6
		.amdhsa_user_sgpr_private_segment_buffer 1
		.amdhsa_user_sgpr_dispatch_ptr 0
		.amdhsa_user_sgpr_queue_ptr 0
		.amdhsa_user_sgpr_kernarg_segment_ptr 1
		.amdhsa_user_sgpr_dispatch_id 0
		.amdhsa_user_sgpr_flat_scratch_init 0
		.amdhsa_user_sgpr_private_segment_size 0
		.amdhsa_uses_dynamic_stack 0
		.amdhsa_system_sgpr_private_segment_wavefront_offset 1
		.amdhsa_system_sgpr_workgroup_id_x 1
		.amdhsa_system_sgpr_workgroup_id_y 1
		.amdhsa_system_sgpr_workgroup_id_z 0
		.amdhsa_system_sgpr_workgroup_info 0
		.amdhsa_system_vgpr_workitem_id 1
		.amdhsa_next_free_vgpr 256
		.amdhsa_next_free_sgpr 40
		.amdhsa_reserve_vcc 1
		.amdhsa_reserve_flat_scratch 0
		.amdhsa_float_round_mode_32 0
		.amdhsa_float_round_mode_16_64 0
		.amdhsa_float_denorm_mode_32 3
		.amdhsa_float_denorm_mode_16_64 3
		.amdhsa_dx10_clamp 1
		.amdhsa_ieee_mode 1
		.amdhsa_fp16_overflow 0
		.amdhsa_exception_fp_ieee_invalid_op 0
		.amdhsa_exception_fp_denorm_src 0
		.amdhsa_exception_fp_ieee_div_zero 0
		.amdhsa_exception_fp_ieee_overflow 0
		.amdhsa_exception_fp_ieee_underflow 0
		.amdhsa_exception_fp_ieee_inexact 0
		.amdhsa_exception_int_div_zero 0
	.end_amdhsa_kernel
	.section	.text._ZN2at6native12_GLOBAL__N_135GammaBetaBackwardCUDAKernelTemplateIffLj32ELj1ELj32ELb1ELb0ELb1EEEvllPKT_S5_PKT0_S8_PS3_S9_,"axG",@progbits,_ZN2at6native12_GLOBAL__N_135GammaBetaBackwardCUDAKernelTemplateIffLj32ELj1ELj32ELb1ELb0ELb1EEEvllPKT_S5_PKT0_S8_PS3_S9_,comdat
.Lfunc_end153:
	.size	_ZN2at6native12_GLOBAL__N_135GammaBetaBackwardCUDAKernelTemplateIffLj32ELj1ELj32ELb1ELb0ELb1EEEvllPKT_S5_PKT0_S8_PS3_S9_, .Lfunc_end153-_ZN2at6native12_GLOBAL__N_135GammaBetaBackwardCUDAKernelTemplateIffLj32ELj1ELj32ELb1ELb0ELb1EEEvllPKT_S5_PKT0_S8_PS3_S9_
                                        ; -- End function
	.set _ZN2at6native12_GLOBAL__N_135GammaBetaBackwardCUDAKernelTemplateIffLj32ELj1ELj32ELb1ELb0ELb1EEEvllPKT_S5_PKT0_S8_PS3_S9_.num_vgpr, 256
	.set _ZN2at6native12_GLOBAL__N_135GammaBetaBackwardCUDAKernelTemplateIffLj32ELj1ELj32ELb1ELb0ELb1EEEvllPKT_S5_PKT0_S8_PS3_S9_.num_agpr, 0
	.set _ZN2at6native12_GLOBAL__N_135GammaBetaBackwardCUDAKernelTemplateIffLj32ELj1ELj32ELb1ELb0ELb1EEEvllPKT_S5_PKT0_S8_PS3_S9_.numbered_sgpr, 40
	.set _ZN2at6native12_GLOBAL__N_135GammaBetaBackwardCUDAKernelTemplateIffLj32ELj1ELj32ELb1ELb0ELb1EEEvllPKT_S5_PKT0_S8_PS3_S9_.num_named_barrier, 0
	.set _ZN2at6native12_GLOBAL__N_135GammaBetaBackwardCUDAKernelTemplateIffLj32ELj1ELj32ELb1ELb0ELb1EEEvllPKT_S5_PKT0_S8_PS3_S9_.private_seg_size, 304
	.set _ZN2at6native12_GLOBAL__N_135GammaBetaBackwardCUDAKernelTemplateIffLj32ELj1ELj32ELb1ELb0ELb1EEEvllPKT_S5_PKT0_S8_PS3_S9_.uses_vcc, 1
	.set _ZN2at6native12_GLOBAL__N_135GammaBetaBackwardCUDAKernelTemplateIffLj32ELj1ELj32ELb1ELb0ELb1EEEvllPKT_S5_PKT0_S8_PS3_S9_.uses_flat_scratch, 0
	.set _ZN2at6native12_GLOBAL__N_135GammaBetaBackwardCUDAKernelTemplateIffLj32ELj1ELj32ELb1ELb0ELb1EEEvllPKT_S5_PKT0_S8_PS3_S9_.has_dyn_sized_stack, 0
	.set _ZN2at6native12_GLOBAL__N_135GammaBetaBackwardCUDAKernelTemplateIffLj32ELj1ELj32ELb1ELb0ELb1EEEvllPKT_S5_PKT0_S8_PS3_S9_.has_recursion, 0
	.set _ZN2at6native12_GLOBAL__N_135GammaBetaBackwardCUDAKernelTemplateIffLj32ELj1ELj32ELb1ELb0ELb1EEEvllPKT_S5_PKT0_S8_PS3_S9_.has_indirect_call, 0
	.section	.AMDGPU.csdata,"",@progbits
; Kernel info:
; codeLenInByte = 22104
; TotalNumSgprs: 44
; NumVgprs: 256
; ScratchSize: 304
; MemoryBound: 0
; FloatMode: 240
; IeeeMode: 1
; LDSByteSize: 0 bytes/workgroup (compile time only)
; SGPRBlocks: 5
; VGPRBlocks: 63
; NumSGPRsForWavesPerEU: 44
; NumVGPRsForWavesPerEU: 256
; Occupancy: 1
; WaveLimiterHint : 0
; COMPUTE_PGM_RSRC2:SCRATCH_EN: 1
; COMPUTE_PGM_RSRC2:USER_SGPR: 6
; COMPUTE_PGM_RSRC2:TRAP_HANDLER: 0
; COMPUTE_PGM_RSRC2:TGID_X_EN: 1
; COMPUTE_PGM_RSRC2:TGID_Y_EN: 1
; COMPUTE_PGM_RSRC2:TGID_Z_EN: 0
; COMPUTE_PGM_RSRC2:TIDIG_COMP_CNT: 1
	.section	.text._ZN2at6native12_GLOBAL__N_135GammaBetaBackwardCUDAKernelTemplateIffLj32ELj1ELj8ELb1ELb1ELb1EEEvllPKT_S5_PKT0_S8_PS3_S9_,"axG",@progbits,_ZN2at6native12_GLOBAL__N_135GammaBetaBackwardCUDAKernelTemplateIffLj32ELj1ELj8ELb1ELb1ELb1EEEvllPKT_S5_PKT0_S8_PS3_S9_,comdat
	.globl	_ZN2at6native12_GLOBAL__N_135GammaBetaBackwardCUDAKernelTemplateIffLj32ELj1ELj8ELb1ELb1ELb1EEEvllPKT_S5_PKT0_S8_PS3_S9_ ; -- Begin function _ZN2at6native12_GLOBAL__N_135GammaBetaBackwardCUDAKernelTemplateIffLj32ELj1ELj8ELb1ELb1ELb1EEEvllPKT_S5_PKT0_S8_PS3_S9_
	.p2align	8
	.type	_ZN2at6native12_GLOBAL__N_135GammaBetaBackwardCUDAKernelTemplateIffLj32ELj1ELj8ELb1ELb1ELb1EEEvllPKT_S5_PKT0_S8_PS3_S9_,@function
_ZN2at6native12_GLOBAL__N_135GammaBetaBackwardCUDAKernelTemplateIffLj32ELj1ELj8ELb1ELb1ELb1EEEvllPKT_S5_PKT0_S8_PS3_S9_: ; @_ZN2at6native12_GLOBAL__N_135GammaBetaBackwardCUDAKernelTemplateIffLj32ELj1ELj8ELb1ELb1ELb1EEEvllPKT_S5_PKT0_S8_PS3_S9_
; %bb.0:
	s_load_dwordx4 s[8:11], s[4:5], 0x0
	s_load_dwordx2 s[16:17], s[4:5], 0x30
	s_lshl_b32 s18, s7, 3
	s_mov_b32 s19, 0
	v_mov_b32_e32 v2, s18
	v_mov_b32_e32 v3, s19
	s_waitcnt lgkmcnt(0)
	v_cmp_le_i64_e32 vcc, s[8:9], v[2:3]
	v_mov_b32_e32 v3, 0
	s_cbranch_vccnz .LBB154_7
; %bb.1:
	s_load_dword s0, s[4:5], 0x4c
	s_load_dword s22, s[4:5], 0x44
	s_load_dwordx4 s[12:15], s[4:5], 0x10
	s_load_dwordx2 s[2:3], s[4:5], 0x28
	v_lshlrev_b32_e32 v4, 3, v1
	s_waitcnt lgkmcnt(0)
	s_and_b32 s0, s0, 0xffff
	v_mad_u32_u24 v2, v1, s0, v0
	v_and_b32_e32 v5, 63, v2
	v_add_co_u32_e32 v9, vcc, s18, v4
	v_mbcnt_lo_u32_b32 v6, -1, 0
	v_addc_co_u32_e64 v10, s[20:21], 0, 0, vcc
	v_add_co_u32_e32 v4, vcc, v9, v5
	v_cmp_gt_u32_e64 s[0:1], 8, v5
	v_mbcnt_hi_u32_b32 v6, -1, v6
	v_addc_co_u32_e32 v5, vcc, 0, v10, vcc
	v_mul_lo_u32 v13, s11, v9
	v_mul_lo_u32 v14, s10, v10
	v_mad_u64_u32 v[10:11], s[20:21], s10, v9, 0
	v_lshlrev_b32_e32 v6, 2, v6
	v_and_b32_e32 v8, 0x100, v6
	v_lshlrev_b64 v[6:7], 2, v[4:5]
	v_mov_b32_e32 v3, 0
	v_lshl_or_b32 v2, s6, 5, v0
	v_mov_b32_e32 v12, s3
	v_add_co_u32_e32 v6, vcc, s2, v6
	v_add3_u32 v11, v11, v14, v13
	v_addc_co_u32_e32 v7, vcc, v12, v7, vcc
	v_lshlrev_b64 v[10:11], 2, v[10:11]
	v_lshlrev_b64 v[12:13], 2, v[2:3]
	s_lshl_b32 s20, s22, 3
	s_mul_i32 s2, s11, s20
	s_mul_hi_u32 s3, s10, s20
	v_add_co_u32_e32 v2, vcc, v10, v12
	s_mov_b32 s21, s19
	s_add_i32 s3, s3, s2
	s_mul_i32 s2, s10, s20
	v_or_b32_e32 v9, 20, v8
	v_addc_co_u32_e32 v10, vcc, v11, v13, vcc
	v_or_b32_e32 v11, 24, v8
	v_or_b32_e32 v12, 28, v8
	s_lshl_b64 s[22:23], s[20:21], 2
	s_lshl_b64 s[24:25], s[2:3], 2
	;; [unrolled: 1-line block ×3, first 2 shown]
	s_branch .LBB154_4
.LBB154_2:                              ;   in Loop: Header=BB154_4 Depth=1
	s_or_b64 exec, exec, s[28:29]
.LBB154_3:                              ;   in Loop: Header=BB154_4 Depth=1
	s_or_b64 exec, exec, s[2:3]
	v_mov_b32_e32 v15, s13
	v_add_co_u32_e32 v14, vcc, s12, v2
	v_addc_co_u32_e32 v15, vcc, v15, v10, vcc
	v_mov_b32_e32 v20, s27
	v_add_co_u32_e32 v16, vcc, s26, v14
	v_addc_co_u32_e32 v17, vcc, v15, v20, vcc
	global_load_dword v21, v[14:15], off
	v_mov_b32_e32 v15, s15
	v_add_co_u32_e32 v14, vcc, s14, v2
	v_addc_co_u32_e32 v15, vcc, v15, v10, vcc
	v_add_co_u32_e32 v18, vcc, s26, v14
	global_load_dword v14, v[14:15], off
	v_addc_co_u32_e32 v19, vcc, v15, v20, vcc
	s_waitcnt vmcnt(2)
	ds_bpermute_b32 v15, v8, v13
	s_add_u32 s18, s18, s20
	s_addc_u32 s19, s19, 0
	v_add_co_u32_e64 v6, s[2:3], s22, v6
	s_waitcnt vmcnt(0)
	v_mul_f32_e32 v14, v21, v14
	s_waitcnt lgkmcnt(0)
	v_fmac_f32_e32 v3, v14, v15
	v_add_co_u32_e32 v14, vcc, s26, v16
	v_addc_co_u32_e32 v15, vcc, v17, v20, vcc
	global_load_dword v21, v[16:17], off
	v_add_co_u32_e32 v16, vcc, s26, v18
	global_load_dword v18, v[18:19], off
	v_addc_co_u32_e32 v17, vcc, v19, v20, vcc
	v_or_b32_e32 v19, 4, v8
	ds_bpermute_b32 v19, v19, v13
	s_waitcnt vmcnt(0)
	v_mul_f32_e32 v18, v21, v18
	s_waitcnt lgkmcnt(0)
	v_fmac_f32_e32 v3, v18, v19
	v_add_co_u32_e32 v18, vcc, s26, v14
	v_addc_co_u32_e32 v19, vcc, v15, v20, vcc
	global_load_dword v21, v[14:15], off
	v_add_co_u32_e32 v14, vcc, s26, v16
	global_load_dword v16, v[16:17], off
	v_addc_co_u32_e32 v15, vcc, v17, v20, vcc
	v_or_b32_e32 v17, 8, v8
	ds_bpermute_b32 v17, v17, v13
	;; [unrolled: 12-line block ×3, first 2 shown]
	s_waitcnt vmcnt(0)
	v_mul_f32_e32 v14, v21, v14
	s_waitcnt lgkmcnt(0)
	v_fmac_f32_e32 v3, v14, v15
	v_add_co_u32_e32 v14, vcc, s26, v16
	v_addc_co_u32_e32 v15, vcc, v17, v20, vcc
	global_load_dword v21, v[16:17], off
	v_add_co_u32_e32 v16, vcc, s26, v18
	global_load_dword v18, v[18:19], off
	v_addc_co_u32_e32 v17, vcc, v19, v20, vcc
	global_load_dword v22, v[16:17], off
	v_or_b32_e32 v19, 16, v8
	ds_bpermute_b32 v19, v19, v13
	s_waitcnt vmcnt(1)
	v_mul_f32_e32 v18, v21, v18
	s_waitcnt lgkmcnt(0)
	v_fmac_f32_e32 v3, v18, v19
	v_add_co_u32_e32 v18, vcc, s26, v14
	v_addc_co_u32_e32 v19, vcc, v15, v20, vcc
	global_load_dword v21, v[14:15], off
	v_add_co_u32_e32 v14, vcc, s26, v16
	v_addc_co_u32_e32 v15, vcc, v17, v20, vcc
	v_add_co_u32_e32 v16, vcc, s26, v18
	v_addc_co_u32_e32 v17, vcc, v19, v20, vcc
	global_load_dword v23, v[18:19], off
	v_add_co_u32_e32 v18, vcc, s26, v14
	v_addc_co_u32_e32 v19, vcc, v15, v20, vcc
	global_load_dword v14, v[14:15], off
	s_nop 0
	global_load_dword v15, v[16:17], off
	global_load_dword v20, v[18:19], off
	ds_bpermute_b32 v16, v9, v13
	ds_bpermute_b32 v18, v11, v13
	;; [unrolled: 1-line block ×3, first 2 shown]
	s_waitcnt vmcnt(4)
	v_mul_f32_e32 v17, v21, v22
	s_waitcnt lgkmcnt(2)
	v_fmac_f32_e32 v3, v17, v16
	s_waitcnt vmcnt(2)
	v_mul_f32_e32 v14, v23, v14
	s_waitcnt lgkmcnt(1)
	v_fmac_f32_e32 v3, v14, v18
	;; [unrolled: 4-line block ×3, first 2 shown]
	v_mov_b32_e32 v14, s9
	v_mov_b32_e32 v13, s8
	v_cmp_lt_i64_e32 vcc, s[18:19], v[13:14]
	v_mov_b32_e32 v13, s23
	v_addc_co_u32_e64 v7, s[2:3], v7, v13, s[2:3]
	v_mov_b32_e32 v13, s25
	v_add_co_u32_e64 v2, s[2:3], s24, v2
	v_addc_co_u32_e64 v10, s[2:3], v10, v13, s[2:3]
	v_add_co_u32_e64 v4, s[2:3], s20, v4
	v_addc_co_u32_e64 v5, s[2:3], 0, v5, s[2:3]
	s_cbranch_vccz .LBB154_7
.LBB154_4:                              ; =>This Inner Loop Header: Depth=1
	v_mov_b32_e32 v13, 0
	s_and_saveexec_b64 s[2:3], s[0:1]
	s_cbranch_execz .LBB154_3
; %bb.5:                                ;   in Loop: Header=BB154_4 Depth=1
	v_cmp_gt_i64_e32 vcc, s[8:9], v[4:5]
	v_mov_b32_e32 v13, 0
	s_and_saveexec_b64 s[28:29], vcc
	s_cbranch_execz .LBB154_2
; %bb.6:                                ;   in Loop: Header=BB154_4 Depth=1
	global_load_dword v13, v[6:7], off
	s_branch .LBB154_2
.LBB154_7:
	s_cmp_eq_u64 s[16:17], 0
	s_cbranch_scc1 .LBB154_9
; %bb.8:
	s_load_dword s0, s[4:5], 0x4c
	v_mov_b32_e32 v2, 0
	v_mov_b32_e32 v4, s7
	s_mov_b32 s7, 0
	v_mov_b32_e32 v6, s17
	s_waitcnt lgkmcnt(0)
	s_lshr_b32 s0, s0, 16
	v_mad_u64_u32 v[1:2], s[0:1], s0, v4, v[1:2]
	v_lshlrev_b32_e32 v0, 2, v0
	v_mul_lo_u32 v4, v2, s10
	v_mul_lo_u32 v5, v1, s11
	v_mad_u64_u32 v[1:2], s[0:1], v1, s10, 0
	s_lshl_b64 s[0:1], s[6:7], 7
	v_add3_u32 v2, v2, v5, v4
	v_lshlrev_b64 v[1:2], 2, v[1:2]
	v_mov_b32_e32 v4, s1
	v_add_co_u32_e32 v1, vcc, s16, v1
	v_addc_co_u32_e32 v2, vcc, v6, v2, vcc
	v_add_co_u32_e32 v1, vcc, s0, v1
	v_addc_co_u32_e32 v2, vcc, v2, v4, vcc
	v_add_co_u32_e32 v0, vcc, v1, v0
	v_addc_co_u32_e32 v1, vcc, 0, v2, vcc
	global_store_dword v[0:1], v3, off
.LBB154_9:
	s_endpgm
	.section	.rodata,"a",@progbits
	.p2align	6, 0x0
	.amdhsa_kernel _ZN2at6native12_GLOBAL__N_135GammaBetaBackwardCUDAKernelTemplateIffLj32ELj1ELj8ELb1ELb1ELb1EEEvllPKT_S5_PKT0_S8_PS3_S9_
		.amdhsa_group_segment_fixed_size 0
		.amdhsa_private_segment_fixed_size 0
		.amdhsa_kernarg_size 320
		.amdhsa_user_sgpr_count 6
		.amdhsa_user_sgpr_private_segment_buffer 1
		.amdhsa_user_sgpr_dispatch_ptr 0
		.amdhsa_user_sgpr_queue_ptr 0
		.amdhsa_user_sgpr_kernarg_segment_ptr 1
		.amdhsa_user_sgpr_dispatch_id 0
		.amdhsa_user_sgpr_flat_scratch_init 0
		.amdhsa_user_sgpr_private_segment_size 0
		.amdhsa_uses_dynamic_stack 0
		.amdhsa_system_sgpr_private_segment_wavefront_offset 0
		.amdhsa_system_sgpr_workgroup_id_x 1
		.amdhsa_system_sgpr_workgroup_id_y 1
		.amdhsa_system_sgpr_workgroup_id_z 0
		.amdhsa_system_sgpr_workgroup_info 0
		.amdhsa_system_vgpr_workitem_id 1
		.amdhsa_next_free_vgpr 24
		.amdhsa_next_free_sgpr 30
		.amdhsa_reserve_vcc 1
		.amdhsa_reserve_flat_scratch 0
		.amdhsa_float_round_mode_32 0
		.amdhsa_float_round_mode_16_64 0
		.amdhsa_float_denorm_mode_32 3
		.amdhsa_float_denorm_mode_16_64 3
		.amdhsa_dx10_clamp 1
		.amdhsa_ieee_mode 1
		.amdhsa_fp16_overflow 0
		.amdhsa_exception_fp_ieee_invalid_op 0
		.amdhsa_exception_fp_denorm_src 0
		.amdhsa_exception_fp_ieee_div_zero 0
		.amdhsa_exception_fp_ieee_overflow 0
		.amdhsa_exception_fp_ieee_underflow 0
		.amdhsa_exception_fp_ieee_inexact 0
		.amdhsa_exception_int_div_zero 0
	.end_amdhsa_kernel
	.section	.text._ZN2at6native12_GLOBAL__N_135GammaBetaBackwardCUDAKernelTemplateIffLj32ELj1ELj8ELb1ELb1ELb1EEEvllPKT_S5_PKT0_S8_PS3_S9_,"axG",@progbits,_ZN2at6native12_GLOBAL__N_135GammaBetaBackwardCUDAKernelTemplateIffLj32ELj1ELj8ELb1ELb1ELb1EEEvllPKT_S5_PKT0_S8_PS3_S9_,comdat
.Lfunc_end154:
	.size	_ZN2at6native12_GLOBAL__N_135GammaBetaBackwardCUDAKernelTemplateIffLj32ELj1ELj8ELb1ELb1ELb1EEEvllPKT_S5_PKT0_S8_PS3_S9_, .Lfunc_end154-_ZN2at6native12_GLOBAL__N_135GammaBetaBackwardCUDAKernelTemplateIffLj32ELj1ELj8ELb1ELb1ELb1EEEvllPKT_S5_PKT0_S8_PS3_S9_
                                        ; -- End function
	.set _ZN2at6native12_GLOBAL__N_135GammaBetaBackwardCUDAKernelTemplateIffLj32ELj1ELj8ELb1ELb1ELb1EEEvllPKT_S5_PKT0_S8_PS3_S9_.num_vgpr, 24
	.set _ZN2at6native12_GLOBAL__N_135GammaBetaBackwardCUDAKernelTemplateIffLj32ELj1ELj8ELb1ELb1ELb1EEEvllPKT_S5_PKT0_S8_PS3_S9_.num_agpr, 0
	.set _ZN2at6native12_GLOBAL__N_135GammaBetaBackwardCUDAKernelTemplateIffLj32ELj1ELj8ELb1ELb1ELb1EEEvllPKT_S5_PKT0_S8_PS3_S9_.numbered_sgpr, 30
	.set _ZN2at6native12_GLOBAL__N_135GammaBetaBackwardCUDAKernelTemplateIffLj32ELj1ELj8ELb1ELb1ELb1EEEvllPKT_S5_PKT0_S8_PS3_S9_.num_named_barrier, 0
	.set _ZN2at6native12_GLOBAL__N_135GammaBetaBackwardCUDAKernelTemplateIffLj32ELj1ELj8ELb1ELb1ELb1EEEvllPKT_S5_PKT0_S8_PS3_S9_.private_seg_size, 0
	.set _ZN2at6native12_GLOBAL__N_135GammaBetaBackwardCUDAKernelTemplateIffLj32ELj1ELj8ELb1ELb1ELb1EEEvllPKT_S5_PKT0_S8_PS3_S9_.uses_vcc, 1
	.set _ZN2at6native12_GLOBAL__N_135GammaBetaBackwardCUDAKernelTemplateIffLj32ELj1ELj8ELb1ELb1ELb1EEEvllPKT_S5_PKT0_S8_PS3_S9_.uses_flat_scratch, 0
	.set _ZN2at6native12_GLOBAL__N_135GammaBetaBackwardCUDAKernelTemplateIffLj32ELj1ELj8ELb1ELb1ELb1EEEvllPKT_S5_PKT0_S8_PS3_S9_.has_dyn_sized_stack, 0
	.set _ZN2at6native12_GLOBAL__N_135GammaBetaBackwardCUDAKernelTemplateIffLj32ELj1ELj8ELb1ELb1ELb1EEEvllPKT_S5_PKT0_S8_PS3_S9_.has_recursion, 0
	.set _ZN2at6native12_GLOBAL__N_135GammaBetaBackwardCUDAKernelTemplateIffLj32ELj1ELj8ELb1ELb1ELb1EEEvllPKT_S5_PKT0_S8_PS3_S9_.has_indirect_call, 0
	.section	.AMDGPU.csdata,"",@progbits
; Kernel info:
; codeLenInByte = 1052
; TotalNumSgprs: 34
; NumVgprs: 24
; ScratchSize: 0
; MemoryBound: 0
; FloatMode: 240
; IeeeMode: 1
; LDSByteSize: 0 bytes/workgroup (compile time only)
; SGPRBlocks: 4
; VGPRBlocks: 5
; NumSGPRsForWavesPerEU: 34
; NumVGPRsForWavesPerEU: 24
; Occupancy: 10
; WaveLimiterHint : 0
; COMPUTE_PGM_RSRC2:SCRATCH_EN: 0
; COMPUTE_PGM_RSRC2:USER_SGPR: 6
; COMPUTE_PGM_RSRC2:TRAP_HANDLER: 0
; COMPUTE_PGM_RSRC2:TGID_X_EN: 1
; COMPUTE_PGM_RSRC2:TGID_Y_EN: 1
; COMPUTE_PGM_RSRC2:TGID_Z_EN: 0
; COMPUTE_PGM_RSRC2:TIDIG_COMP_CNT: 1
	.section	.text._ZN2at6native12_GLOBAL__N_135GammaBetaBackwardCUDAKernelTemplateIffLj32ELj1ELj8ELb1ELb0ELb1EEEvllPKT_S5_PKT0_S8_PS3_S9_,"axG",@progbits,_ZN2at6native12_GLOBAL__N_135GammaBetaBackwardCUDAKernelTemplateIffLj32ELj1ELj8ELb1ELb0ELb1EEEvllPKT_S5_PKT0_S8_PS3_S9_,comdat
	.globl	_ZN2at6native12_GLOBAL__N_135GammaBetaBackwardCUDAKernelTemplateIffLj32ELj1ELj8ELb1ELb0ELb1EEEvllPKT_S5_PKT0_S8_PS3_S9_ ; -- Begin function _ZN2at6native12_GLOBAL__N_135GammaBetaBackwardCUDAKernelTemplateIffLj32ELj1ELj8ELb1ELb0ELb1EEEvllPKT_S5_PKT0_S8_PS3_S9_
	.p2align	8
	.type	_ZN2at6native12_GLOBAL__N_135GammaBetaBackwardCUDAKernelTemplateIffLj32ELj1ELj8ELb1ELb0ELb1EEEvllPKT_S5_PKT0_S8_PS3_S9_,@function
_ZN2at6native12_GLOBAL__N_135GammaBetaBackwardCUDAKernelTemplateIffLj32ELj1ELj8ELb1ELb0ELb1EEEvllPKT_S5_PKT0_S8_PS3_S9_: ; @_ZN2at6native12_GLOBAL__N_135GammaBetaBackwardCUDAKernelTemplateIffLj32ELj1ELj8ELb1ELb0ELb1EEEvllPKT_S5_PKT0_S8_PS3_S9_
; %bb.0:
	s_mov_b32 s8, s7
	s_load_dwordx8 s[12:19], s[4:5], 0x0
	s_load_dwordx2 s[20:21], s[4:5], 0x28
	s_lshl_b32 s22, s8, 3
	s_lshl_b32 s7, s6, 5
	s_mov_b32 s23, 0
	v_mov_b32_e32 v2, s22
	s_or_b32 s0, s7, 31
	v_mov_b32_e32 v3, s23
	v_mov_b32_e32 v48, s0
	;; [unrolled: 1-line block ×3, first 2 shown]
	s_waitcnt lgkmcnt(0)
	v_cmp_gt_i64_e64 s[0:1], s[12:13], v[2:3]
	v_cmp_le_i64_e32 vcc, s[14:15], v[48:49]
	v_cndmask_b32_e64 v2, 0, 1, s[0:1]
	v_cmp_ne_u32_e64 s[0:1], 1, v2
	s_cbranch_vccz .LBB155_49
; %bb.1:
	s_and_b64 vcc, exec, s[0:1]
	s_cbranch_vccnz .LBB155_50
; %bb.2:
	v_lshlrev_b32_e32 v23, 3, v1
	v_add_co_u32_e32 v9, vcc, s22, v23
	v_addc_co_u32_e64 v10, s[2:3], 0, 0, vcc
	v_mul_lo_u32 v7, s15, v9
	v_mul_lo_u32 v8, s14, v10
	v_mad_u64_u32 v[5:6], s[2:3], s14, v9, 0
	v_mov_b32_e32 v2, 0
	s_load_dword s9, s[4:5], 0x44
	v_add_u32_e32 v3, s7, v0
	v_mov_b32_e32 v4, v2
	v_add3_u32 v6, v6, v8, v7
	v_cmp_gt_i64_e64 s[2:3], s[14:15], v[3:4]
	v_lshlrev_b64 v[19:20], 2, v[3:4]
	v_lshlrev_b64 v[3:4], 2, v[5:6]
	s_add_u32 s24, s4, 64
	v_mov_b32_e32 v7, s17
	v_add_co_u32_e32 v25, vcc, s16, v3
	s_addc_u32 s25, s5, 0
	s_waitcnt lgkmcnt(0)
	s_lshl_b32 s9, s9, 3
	v_addc_co_u32_e32 v26, vcc, v7, v4, vcc
	s_mul_i32 s10, s15, s9
	s_mul_hi_u32 s11, s14, s9
	v_add_co_u32_e32 v7, vcc, 7, v9
	s_add_i32 s11, s11, s10
	s_mul_i32 s10, s14, s9
	v_addc_co_u32_e32 v8, vcc, 0, v10, vcc
	s_lshl_b64 s[26:27], s[10:11], 2
	v_mul_lo_u32 v12, s15, v7
	v_mul_lo_u32 v13, s14, v8
	v_mad_u64_u32 v[7:8], s[10:11], s14, v7, 0
	v_mov_b32_e32 v11, s19
	v_add_co_u32_e32 v27, vcc, s18, v3
	v_add3_u32 v8, v8, v13, v12
	v_addc_co_u32_e32 v28, vcc, v11, v4, vcc
	v_lshlrev_b64 v[3:4], 2, v[7:8]
	v_mov_b32_e32 v7, s17
	v_add_co_u32_e32 v29, vcc, s16, v3
	v_addc_co_u32_e32 v30, vcc, v7, v4, vcc
	v_add_co_u32_e32 v7, vcc, 6, v9
	v_addc_co_u32_e32 v8, vcc, 0, v10, vcc
	v_mul_lo_u32 v12, s15, v7
	v_mul_lo_u32 v13, s14, v8
	v_mad_u64_u32 v[7:8], s[10:11], s14, v7, 0
	v_add_co_u32_e32 v31, vcc, s18, v3
	v_add3_u32 v8, v8, v13, v12
	v_addc_co_u32_e32 v32, vcc, v11, v4, vcc
	v_lshlrev_b64 v[3:4], 2, v[7:8]
	v_mov_b32_e32 v7, s17
	v_add_co_u32_e32 v33, vcc, s16, v3
	v_addc_co_u32_e32 v34, vcc, v7, v4, vcc
	v_add_co_u32_e32 v7, vcc, 5, v9
	v_addc_co_u32_e32 v8, vcc, 0, v10, vcc
	v_mul_lo_u32 v12, s15, v7
	v_mul_lo_u32 v13, s14, v8
	v_mad_u64_u32 v[7:8], s[10:11], s14, v7, 0
	;; [unrolled: 12-line block ×5, first 2 shown]
	v_add_co_u32_e32 v47, vcc, s18, v3
	v_add3_u32 v8, v8, v10, v9
	v_addc_co_u32_e32 v48, vcc, v11, v4, vcc
	v_lshlrev_b64 v[3:4], 2, v[7:8]
	v_mov_b32_e32 v7, s17
	v_add_co_u32_e32 v50, vcc, s16, v3
	v_addc_co_u32_e32 v51, vcc, v7, v4, vcc
	v_mov_b32_e32 v7, s19
	v_add_co_u32_e32 v52, vcc, s18, v3
	v_addc_co_u32_e32 v53, vcc, v7, v4, vcc
	;; [unrolled: 3-line block ×3, first 2 shown]
	v_lshlrev_b64 v[3:4], 2, v[3:4]
	v_mov_b32_e32 v5, s17
	v_add_co_u32_e32 v54, vcc, s16, v3
	v_addc_co_u32_e32 v55, vcc, v5, v4, vcc
	v_add_co_u32_e32 v56, vcc, s18, v3
	v_mbcnt_lo_u32_b32 v3, -1, 0
	v_mbcnt_hi_u32_b32 v3, -1, v3
	v_mov_b32_e32 v5, s19
	v_lshlrev_b32_e32 v3, 2, v3
	v_mov_b32_e32 v24, v2
	s_mov_b64 s[28:29], 7
	v_addc_co_u32_e32 v57, vcc, v5, v4, vcc
	v_and_b32_e32 v58, 0x100, v3
	s_mov_b64 s[30:31], s[22:23]
	v_mov_b32_e32 v59, 0
.LBB155_3:                              ; =>This Inner Loop Header: Depth=1
	s_add_u32 s10, s22, s28
	v_mov_b32_e32 v3, s12
	s_addc_u32 s11, 0, s29
	v_mov_b32_e32 v4, s13
	v_cmp_ge_i64_e32 vcc, s[10:11], v[3:4]
	v_add_co_u32_e64 v21, s[10:11], s22, v23
	v_addc_co_u32_e64 v22, s[10:11], 0, v24, s[10:11]
	s_mov_b64 s[10:11], -1
	s_and_b64 vcc, exec, vcc
                                        ; implicit-def: $vgpr3_vgpr4_vgpr5_vgpr6_vgpr7_vgpr8_vgpr9_vgpr10
                                        ; implicit-def: $vgpr49
                                        ; implicit-def: $vgpr11_vgpr12_vgpr13_vgpr14_vgpr15_vgpr16_vgpr17_vgpr18
                                        ; implicit-def: $vgpr3
	s_cbranch_vccz .LBB155_25
; %bb.4:                                ;   in Loop: Header=BB155_3 Depth=1
	s_load_dword s10, s[24:25], 0xc
	v_mov_b32_e32 v60, 0
	s_waitcnt lgkmcnt(0)
	s_and_b32 s10, s10, 0xffff
	v_mad_u32_u24 v3, v1, s10, v0
	v_and_b32_e32 v3, 63, v3
	v_cmp_gt_u32_e32 vcc, 8, v3
	s_and_saveexec_b64 s[10:11], vcc
	s_cbranch_execz .LBB155_8
; %bb.5:                                ;   in Loop: Header=BB155_3 Depth=1
	v_add_co_u32_e32 v3, vcc, v21, v3
	v_addc_co_u32_e32 v4, vcc, 0, v22, vcc
	v_cmp_gt_i64_e32 vcc, s[12:13], v[3:4]
	v_mov_b32_e32 v60, 0
	s_and_saveexec_b64 s[34:35], vcc
	s_cbranch_execz .LBB155_7
; %bb.6:                                ;   in Loop: Header=BB155_3 Depth=1
	v_lshlrev_b64 v[3:4], 2, v[3:4]
	v_mov_b32_e32 v5, s21
	v_add_co_u32_e32 v3, vcc, s20, v3
	v_addc_co_u32_e32 v4, vcc, v5, v4, vcc
	global_load_dword v60, v[3:4], off
.LBB155_7:                              ;   in Loop: Header=BB155_3 Depth=1
	s_or_b64 exec, exec, s[34:35]
.LBB155_8:                              ;   in Loop: Header=BB155_3 Depth=1
	s_or_b64 exec, exec, s[10:11]
	v_mov_b32_e32 v9, v2
	v_cmp_gt_i64_e32 vcc, s[12:13], v[21:22]
	v_mov_b32_e32 v3, v2
	v_mov_b32_e32 v4, v2
	;; [unrolled: 1-line block ×15, first 2 shown]
	s_and_b64 s[34:35], s[2:3], vcc
	v_mov_b32_e32 v9, v8
	v_mov_b32_e32 v8, v7
	;; [unrolled: 1-line block ×7, first 2 shown]
	s_and_saveexec_b64 s[10:11], s[34:35]
	s_cbranch_execz .LBB155_10
; %bb.9:                                ;   in Loop: Header=BB155_3 Depth=1
	v_add_co_u32_e32 v3, vcc, v25, v19
	v_addc_co_u32_e32 v4, vcc, v26, v20, vcc
	global_load_dword v3, v[3:4], off
	v_add_co_u32_e32 v4, vcc, v27, v19
	v_addc_co_u32_e32 v5, vcc, v28, v20, vcc
	global_load_dword v11, v[4:5], off
	v_mov_b32_e32 v4, v2
	v_mov_b32_e32 v5, v2
	;; [unrolled: 1-line block ×14, first 2 shown]
.LBB155_10:                             ;   in Loop: Header=BB155_3 Depth=1
	s_or_b64 exec, exec, s[10:11]
	v_add_co_u32_e32 v61, vcc, 1, v21
	v_addc_co_u32_e32 v62, vcc, 0, v22, vcc
	v_cmp_gt_i64_e32 vcc, s[12:13], v[61:62]
	s_and_b64 s[34:35], s[2:3], vcc
	s_and_saveexec_b64 s[10:11], s[34:35]
	s_cbranch_execz .LBB155_12
; %bb.11:                               ;   in Loop: Header=BB155_3 Depth=1
	v_add_co_u32_e32 v61, vcc, v54, v19
	v_addc_co_u32_e32 v62, vcc, v55, v20, vcc
	global_load_dword v4, v[61:62], off
	v_add_co_u32_e32 v61, vcc, v56, v19
	v_addc_co_u32_e32 v62, vcc, v57, v20, vcc
	global_load_dword v12, v[61:62], off
.LBB155_12:                             ;   in Loop: Header=BB155_3 Depth=1
	s_or_b64 exec, exec, s[10:11]
	v_add_co_u32_e32 v61, vcc, 2, v21
	v_addc_co_u32_e32 v62, vcc, 0, v22, vcc
	v_cmp_gt_i64_e32 vcc, s[12:13], v[61:62]
	s_and_b64 s[34:35], s[2:3], vcc
	s_and_saveexec_b64 s[10:11], s[34:35]
	s_cbranch_execz .LBB155_14
; %bb.13:                               ;   in Loop: Header=BB155_3 Depth=1
	v_add_co_u32_e32 v61, vcc, v50, v19
	v_addc_co_u32_e32 v62, vcc, v51, v20, vcc
	global_load_dword v5, v[61:62], off
	v_add_co_u32_e32 v61, vcc, v52, v19
	v_addc_co_u32_e32 v62, vcc, v53, v20, vcc
	global_load_dword v13, v[61:62], off
.LBB155_14:                             ;   in Loop: Header=BB155_3 Depth=1
	;; [unrolled: 15-line block ×7, first 2 shown]
	s_or_b64 exec, exec, s[10:11]
	s_waitcnt vmcnt(0)
	ds_bpermute_b32 v49, v58, v60
	ds_bpermute_b32 v61, v58, v60 offset:4
	v_mul_f32_e32 v3, v11, v3
	ds_bpermute_b32 v11, v58, v60 offset:8
	v_mul_f32_e32 v4, v12, v4
	s_waitcnt lgkmcnt(2)
	v_fma_f32 v49, v3, v49, v59
	s_waitcnt lgkmcnt(1)
	v_fmac_f32_e32 v49, v4, v61
	ds_bpermute_b32 v3, v58, v60 offset:12
	v_mul_f32_e32 v4, v13, v5
	s_waitcnt lgkmcnt(1)
	v_fmac_f32_e32 v49, v4, v11
	ds_bpermute_b32 v4, v58, v60 offset:16
	v_mul_f32_e32 v5, v14, v6
	s_waitcnt lgkmcnt(1)
	v_fmac_f32_e32 v49, v5, v3
	v_mul_f32_e32 v3, v15, v7
	ds_bpermute_b32 v5, v58, v60 offset:20
	s_waitcnt lgkmcnt(1)
	v_fmac_f32_e32 v49, v3, v4
	ds_bpermute_b32 v4, v58, v60 offset:24
	ds_bpermute_b32 v3, v58, v60 offset:28
	v_mul_f32_e32 v6, v16, v8
	s_waitcnt lgkmcnt(2)
	v_fmac_f32_e32 v49, v6, v5
	v_mul_f32_e32 v5, v17, v9
	s_waitcnt lgkmcnt(1)
	v_fmac_f32_e32 v49, v5, v4
	s_mov_b64 s[10:11], 0
.LBB155_25:                             ;   in Loop: Header=BB155_3 Depth=1
	s_and_b64 vcc, exec, s[10:11]
	s_cbranch_vccz .LBB155_40
; %bb.26:                               ;   in Loop: Header=BB155_3 Depth=1
	s_load_dword s10, s[24:25], 0x0
	v_mov_b32_e32 v49, 0
	s_waitcnt lgkmcnt(0)
	s_cmp_lt_u32 s6, s10
	s_cselect_b32 s10, 12, 18
	s_add_u32 s10, s24, s10
	s_addc_u32 s11, s25, 0
	global_load_ushort v3, v2, s[10:11]
	s_waitcnt vmcnt(0)
	v_mad_u32_u24 v3, v1, v3, v0
	v_and_b32_e32 v3, 63, v3
	v_cmp_gt_u32_e32 vcc, 8, v3
	s_and_saveexec_b64 s[10:11], vcc
	s_cbranch_execz .LBB155_30
; %bb.27:                               ;   in Loop: Header=BB155_3 Depth=1
	v_add_co_u32_e32 v3, vcc, v21, v3
	v_addc_co_u32_e32 v4, vcc, 0, v22, vcc
	v_cmp_gt_i64_e32 vcc, s[12:13], v[3:4]
	v_mov_b32_e32 v49, 0
	s_and_saveexec_b64 s[34:35], vcc
	s_cbranch_execz .LBB155_29
; %bb.28:                               ;   in Loop: Header=BB155_3 Depth=1
	v_lshlrev_b64 v[3:4], 2, v[3:4]
	v_mov_b32_e32 v5, s21
	v_add_co_u32_e32 v3, vcc, s20, v3
	v_addc_co_u32_e32 v4, vcc, v5, v4, vcc
	global_load_dword v49, v[3:4], off
.LBB155_29:                             ;   in Loop: Header=BB155_3 Depth=1
	s_or_b64 exec, exec, s[34:35]
.LBB155_30:                             ;   in Loop: Header=BB155_3 Depth=1
	s_or_b64 exec, exec, s[10:11]
	v_mov_b32_e32 v9, v2
	v_mov_b32_e32 v3, v2
	v_mov_b32_e32 v4, v2
	v_mov_b32_e32 v5, v2
	v_mov_b32_e32 v6, v2
	v_mov_b32_e32 v7, v2
	v_mov_b32_e32 v8, v2
	v_mov_b32_e32 v18, v9
	v_mov_b32_e32 v17, v8
	v_mov_b32_e32 v16, v7
	v_mov_b32_e32 v15, v6
	v_mov_b32_e32 v14, v5
	v_mov_b32_e32 v13, v4
	v_mov_b32_e32 v12, v3
	v_mov_b32_e32 v11, v2
	v_mov_b32_e32 v10, v9
	v_mov_b32_e32 v9, v8
	v_mov_b32_e32 v8, v7
	v_mov_b32_e32 v7, v6
	v_mov_b32_e32 v6, v5
	v_mov_b32_e32 v5, v4
	v_mov_b32_e32 v4, v3
	v_mov_b32_e32 v3, v2
	s_and_saveexec_b64 s[10:11], s[2:3]
	s_cbranch_execnz .LBB155_42
; %bb.31:                               ;   in Loop: Header=BB155_3 Depth=1
	s_or_b64 exec, exec, s[10:11]
	s_and_saveexec_b64 s[10:11], s[2:3]
	s_cbranch_execnz .LBB155_43
.LBB155_32:                             ;   in Loop: Header=BB155_3 Depth=1
	s_or_b64 exec, exec, s[10:11]
	s_and_saveexec_b64 s[10:11], s[2:3]
	s_cbranch_execnz .LBB155_44
.LBB155_33:                             ;   in Loop: Header=BB155_3 Depth=1
	s_or_b64 exec, exec, s[10:11]
	s_and_saveexec_b64 s[10:11], s[2:3]
	s_cbranch_execnz .LBB155_45
.LBB155_34:                             ;   in Loop: Header=BB155_3 Depth=1
	s_or_b64 exec, exec, s[10:11]
	s_and_saveexec_b64 s[10:11], s[2:3]
	s_cbranch_execnz .LBB155_46
.LBB155_35:                             ;   in Loop: Header=BB155_3 Depth=1
	s_or_b64 exec, exec, s[10:11]
	s_and_saveexec_b64 s[10:11], s[2:3]
	s_cbranch_execnz .LBB155_47
.LBB155_36:                             ;   in Loop: Header=BB155_3 Depth=1
	s_or_b64 exec, exec, s[10:11]
	s_and_saveexec_b64 s[10:11], s[2:3]
	s_cbranch_execnz .LBB155_48
.LBB155_37:                             ;   in Loop: Header=BB155_3 Depth=1
	s_or_b64 exec, exec, s[10:11]
	s_and_saveexec_b64 s[10:11], s[2:3]
	s_cbranch_execz .LBB155_39
.LBB155_38:                             ;   in Loop: Header=BB155_3 Depth=1
	v_add_co_u32_e32 v21, vcc, v29, v19
	v_addc_co_u32_e32 v22, vcc, v30, v20, vcc
	global_load_dword v10, v[21:22], off
	v_add_co_u32_e32 v21, vcc, v31, v19
	v_addc_co_u32_e32 v22, vcc, v32, v20, vcc
	global_load_dword v18, v[21:22], off
.LBB155_39:                             ;   in Loop: Header=BB155_3 Depth=1
	s_or_b64 exec, exec, s[10:11]
	s_waitcnt vmcnt(0)
	ds_bpermute_b32 v21, v58, v49
	ds_bpermute_b32 v22, v58, v49 offset:4
	v_mul_f32_e32 v3, v11, v3
	ds_bpermute_b32 v11, v58, v49 offset:8
	v_mul_f32_e32 v4, v12, v4
	s_waitcnt lgkmcnt(2)
	v_fmac_f32_e32 v59, v3, v21
	s_waitcnt lgkmcnt(1)
	v_fmac_f32_e32 v59, v4, v22
	ds_bpermute_b32 v3, v58, v49 offset:12
	v_mul_f32_e32 v4, v13, v5
	s_waitcnt lgkmcnt(1)
	v_fmac_f32_e32 v59, v4, v11
	ds_bpermute_b32 v4, v58, v49 offset:16
	v_mul_f32_e32 v5, v14, v6
	s_waitcnt lgkmcnt(1)
	v_fmac_f32_e32 v59, v5, v3
	v_mul_f32_e32 v3, v15, v7
	ds_bpermute_b32 v5, v58, v49 offset:20
	s_waitcnt lgkmcnt(1)
	v_fmac_f32_e32 v59, v3, v4
	ds_bpermute_b32 v4, v58, v49 offset:24
	ds_bpermute_b32 v3, v58, v49 offset:28
	v_mul_f32_e32 v6, v16, v8
	s_waitcnt lgkmcnt(2)
	v_fmac_f32_e32 v59, v6, v5
	v_mul_f32_e32 v5, v17, v9
	s_waitcnt lgkmcnt(1)
	v_fmac_f32_e32 v59, v5, v4
	v_mov_b32_e32 v49, v59
.LBB155_40:                             ;   in Loop: Header=BB155_3 Depth=1
	v_mul_f32_e32 v4, v10, v18
	s_waitcnt lgkmcnt(0)
	v_fmac_f32_e32 v49, v4, v3
	v_mov_b32_e32 v3, s27
	v_add_co_u32_e32 v25, vcc, s26, v25
	v_addc_co_u32_e32 v26, vcc, v26, v3, vcc
	v_add_co_u32_e32 v27, vcc, s26, v27
	v_addc_co_u32_e32 v28, vcc, v28, v3, vcc
	v_add_co_u32_e32 v29, vcc, s26, v29
	v_addc_co_u32_e32 v30, vcc, v30, v3, vcc
	v_add_co_u32_e32 v31, vcc, s26, v31
	v_addc_co_u32_e32 v32, vcc, v32, v3, vcc
	v_add_co_u32_e32 v33, vcc, s26, v33
	v_addc_co_u32_e32 v34, vcc, v34, v3, vcc
	v_add_co_u32_e32 v35, vcc, s26, v35
	v_addc_co_u32_e32 v36, vcc, v36, v3, vcc
	v_add_co_u32_e32 v37, vcc, s26, v37
	v_addc_co_u32_e32 v38, vcc, v38, v3, vcc
	v_add_co_u32_e32 v39, vcc, s26, v39
	v_addc_co_u32_e32 v40, vcc, v40, v3, vcc
	v_add_co_u32_e32 v41, vcc, s26, v41
	v_addc_co_u32_e32 v42, vcc, v42, v3, vcc
	v_add_co_u32_e32 v43, vcc, s26, v43
	v_addc_co_u32_e32 v44, vcc, v44, v3, vcc
	v_add_co_u32_e32 v45, vcc, s26, v45
	v_addc_co_u32_e32 v46, vcc, v46, v3, vcc
	v_add_co_u32_e32 v47, vcc, s26, v47
	v_addc_co_u32_e32 v48, vcc, v48, v3, vcc
	v_add_co_u32_e32 v50, vcc, s26, v50
	v_addc_co_u32_e32 v51, vcc, v51, v3, vcc
	v_add_co_u32_e32 v52, vcc, s26, v52
	v_addc_co_u32_e32 v53, vcc, v53, v3, vcc
	v_add_co_u32_e32 v54, vcc, s26, v54
	v_addc_co_u32_e32 v55, vcc, v55, v3, vcc
	v_add_co_u32_e32 v56, vcc, s26, v56
	v_addc_co_u32_e32 v57, vcc, v57, v3, vcc
	s_add_u32 s30, s30, s9
	v_add_co_u32_e32 v23, vcc, s9, v23
	v_mov_b32_e32 v3, s12
	s_addc_u32 s31, s31, 0
	v_addc_co_u32_e32 v24, vcc, 0, v24, vcc
	v_mov_b32_e32 v4, s13
	v_cmp_lt_i64_e32 vcc, s[30:31], v[3:4]
	s_add_u32 s28, s28, s9
	s_addc_u32 s29, 0, s29
	s_cbranch_vccz .LBB155_50
; %bb.41:                               ;   in Loop: Header=BB155_3 Depth=1
	v_mov_b32_e32 v59, v49
	s_branch .LBB155_3
.LBB155_42:                             ;   in Loop: Header=BB155_3 Depth=1
	v_add_co_u32_e32 v3, vcc, v25, v19
	v_addc_co_u32_e32 v4, vcc, v26, v20, vcc
	global_load_dword v3, v[3:4], off
	v_add_co_u32_e32 v4, vcc, v27, v19
	v_addc_co_u32_e32 v5, vcc, v28, v20, vcc
	global_load_dword v11, v[4:5], off
	v_mov_b32_e32 v4, v2
	v_mov_b32_e32 v5, v2
	v_mov_b32_e32 v6, v2
	v_mov_b32_e32 v7, v2
	v_mov_b32_e32 v8, v2
	v_mov_b32_e32 v9, v2
	v_mov_b32_e32 v10, v2
	v_mov_b32_e32 v12, v2
	v_mov_b32_e32 v13, v2
	v_mov_b32_e32 v14, v2
	v_mov_b32_e32 v15, v2
	v_mov_b32_e32 v16, v2
	v_mov_b32_e32 v17, v2
	v_mov_b32_e32 v18, v2
	s_or_b64 exec, exec, s[10:11]
	s_and_saveexec_b64 s[10:11], s[2:3]
	s_cbranch_execz .LBB155_32
.LBB155_43:                             ;   in Loop: Header=BB155_3 Depth=1
	v_add_co_u32_e32 v21, vcc, v54, v19
	v_addc_co_u32_e32 v22, vcc, v55, v20, vcc
	global_load_dword v4, v[21:22], off
	v_add_co_u32_e32 v21, vcc, v56, v19
	v_addc_co_u32_e32 v22, vcc, v57, v20, vcc
	global_load_dword v12, v[21:22], off
	s_or_b64 exec, exec, s[10:11]
	s_and_saveexec_b64 s[10:11], s[2:3]
	s_cbranch_execz .LBB155_33
.LBB155_44:                             ;   in Loop: Header=BB155_3 Depth=1
	v_add_co_u32_e32 v21, vcc, v50, v19
	v_addc_co_u32_e32 v22, vcc, v51, v20, vcc
	global_load_dword v5, v[21:22], off
	v_add_co_u32_e32 v21, vcc, v52, v19
	v_addc_co_u32_e32 v22, vcc, v53, v20, vcc
	global_load_dword v13, v[21:22], off
	s_or_b64 exec, exec, s[10:11]
	s_and_saveexec_b64 s[10:11], s[2:3]
	s_cbranch_execz .LBB155_34
.LBB155_45:                             ;   in Loop: Header=BB155_3 Depth=1
	v_add_co_u32_e32 v21, vcc, v45, v19
	v_addc_co_u32_e32 v22, vcc, v46, v20, vcc
	global_load_dword v6, v[21:22], off
	v_add_co_u32_e32 v21, vcc, v47, v19
	v_addc_co_u32_e32 v22, vcc, v48, v20, vcc
	global_load_dword v14, v[21:22], off
	s_or_b64 exec, exec, s[10:11]
	s_and_saveexec_b64 s[10:11], s[2:3]
	s_cbranch_execz .LBB155_35
.LBB155_46:                             ;   in Loop: Header=BB155_3 Depth=1
	v_add_co_u32_e32 v21, vcc, v41, v19
	v_addc_co_u32_e32 v22, vcc, v42, v20, vcc
	global_load_dword v7, v[21:22], off
	v_add_co_u32_e32 v21, vcc, v43, v19
	v_addc_co_u32_e32 v22, vcc, v44, v20, vcc
	global_load_dword v15, v[21:22], off
	s_or_b64 exec, exec, s[10:11]
	s_and_saveexec_b64 s[10:11], s[2:3]
	s_cbranch_execz .LBB155_36
.LBB155_47:                             ;   in Loop: Header=BB155_3 Depth=1
	v_add_co_u32_e32 v21, vcc, v37, v19
	v_addc_co_u32_e32 v22, vcc, v38, v20, vcc
	global_load_dword v8, v[21:22], off
	v_add_co_u32_e32 v21, vcc, v39, v19
	v_addc_co_u32_e32 v22, vcc, v40, v20, vcc
	global_load_dword v16, v[21:22], off
	s_or_b64 exec, exec, s[10:11]
	s_and_saveexec_b64 s[10:11], s[2:3]
	s_cbranch_execz .LBB155_37
.LBB155_48:                             ;   in Loop: Header=BB155_3 Depth=1
	v_add_co_u32_e32 v21, vcc, v33, v19
	v_addc_co_u32_e32 v22, vcc, v34, v20, vcc
	global_load_dword v9, v[21:22], off
	v_add_co_u32_e32 v21, vcc, v35, v19
	v_addc_co_u32_e32 v22, vcc, v36, v20, vcc
	global_load_dword v17, v[21:22], off
	s_or_b64 exec, exec, s[10:11]
	s_and_saveexec_b64 s[10:11], s[2:3]
	s_cbranch_execnz .LBB155_38
	s_branch .LBB155_39
.LBB155_49:
                                        ; implicit-def: $vgpr49
	s_load_dwordx2 s[2:3], s[4:5], 0x30
	s_branch .LBB155_51
.LBB155_50:
	s_load_dwordx2 s[2:3], s[4:5], 0x30
	s_cbranch_execnz .LBB155_83
.LBB155_51:
	s_and_b64 vcc, exec, s[0:1]
	v_mov_b32_e32 v49, 0
	s_cbranch_vccnz .LBB155_83
; %bb.52:
	v_lshlrev_b32_e32 v52, 3, v1
	v_add_co_u32_e32 v8, vcc, s22, v52
	v_addc_co_u32_e64 v9, s[0:1], 0, 0, vcc
	v_mul_lo_u32 v4, s15, v8
	v_mul_lo_u32 v5, s14, v9
	v_mad_u64_u32 v[2:3], s[0:1], s14, v8, 0
	v_mov_b32_e32 v6, s17
	s_add_u32 s10, s4, 64
	v_add3_u32 v3, v3, v5, v4
	v_lshlrev_b64 v[4:5], 2, v[2:3]
	s_addc_u32 s11, s5, 0
	v_add_co_u32_e32 v53, vcc, s16, v4
	v_addc_co_u32_e32 v54, vcc, v6, v5, vcc
	v_mov_b32_e32 v6, s19
	v_add_co_u32_e32 v55, vcc, s18, v4
	v_addc_co_u32_e32 v56, vcc, v6, v5, vcc
	v_lshlrev_b32_e32 v4, 5, v1
	s_lshl_b64 s[0:1], s[22:23], 2
	v_mov_b32_e32 v5, s1
	v_add_co_u32_e32 v10, vcc, s0, v4
	v_addc_co_u32_e32 v11, vcc, 0, v5, vcc
	v_add_co_u32_e32 v12, vcc, 4, v10
	v_addc_co_u32_e32 v6, vcc, 0, v11, vcc
	v_mov_b32_e32 v4, s16
	v_mul_lo_u32 v14, s14, v6
	v_mov_b32_e32 v6, s18
	v_mov_b32_e32 v5, s17
	;; [unrolled: 1-line block ×3, first 2 shown]
	v_mad_u64_u32 v[19:20], s[0:1], s14, v12, v[4:5]
	v_mul_lo_u32 v15, s15, v12
	v_mad_u64_u32 v[21:22], s[0:1], s14, v12, v[6:7]
	v_add_co_u32_e32 v12, vcc, 8, v10
	v_addc_co_u32_e32 v16, vcc, 0, v11, vcc
	v_mov_b32_e32 v13, s15
	v_add_co_u32_e32 v2, vcc, s14, v2
	v_addc_co_u32_e32 v3, vcc, v3, v13, vcc
	v_mul_lo_u32 v17, s15, v12
	v_mad_u64_u32 v[23:24], s[0:1], s14, v12, v[4:5]
	v_mad_u64_u32 v[25:26], s[0:1], s14, v12, v[6:7]
	v_add_co_u32_e32 v12, vcc, 12, v10
	v_addc_co_u32_e32 v13, vcc, 0, v11, vcc
	v_add3_u32 v20, v15, v20, v14
	v_add3_u32 v22, v15, v22, v14
	v_mul_lo_u32 v13, s14, v13
	v_mul_lo_u32 v14, s15, v12
	v_mad_u64_u32 v[27:28], s[0:1], s14, v12, v[4:5]
	v_mad_u64_u32 v[29:30], s[0:1], s14, v12, v[6:7]
	v_add_co_u32_e32 v12, vcc, 16, v10
	v_mul_lo_u32 v16, s14, v16
	v_addc_co_u32_e32 v15, vcc, 0, v11, vcc
	v_mul_lo_u32 v18, s15, v12
	v_mad_u64_u32 v[31:32], s[0:1], s14, v12, v[4:5]
	v_mad_u64_u32 v[33:34], s[0:1], s14, v12, v[6:7]
	v_add_co_u32_e32 v12, vcc, 20, v10
	v_add3_u32 v28, v14, v28, v13
	v_add3_u32 v30, v14, v30, v13
	v_addc_co_u32_e32 v13, vcc, 0, v11, vcc
	v_mul_lo_u32 v14, s15, v12
	v_mad_u64_u32 v[35:36], s[0:1], s14, v12, v[4:5]
	v_mad_u64_u32 v[37:38], s[0:1], s14, v12, v[6:7]
	v_add_co_u32_e32 v12, vcc, 24, v10
	v_add3_u32 v24, v17, v24, v16
	v_add3_u32 v26, v17, v26, v16
	v_addc_co_u32_e32 v16, vcc, 0, v11, vcc
	v_add_co_u32_e32 v10, vcc, 28, v10
	v_addc_co_u32_e32 v11, vcc, 0, v11, vcc
	v_mad_u64_u32 v[39:40], s[0:1], s14, v12, v[4:5]
	v_mad_u64_u32 v[43:44], s[0:1], s14, v10, v[4:5]
	v_add_co_u32_e32 v4, vcc, 7, v8
	v_addc_co_u32_e32 v5, vcc, 0, v9, vcc
	v_mad_u64_u32 v[41:42], s[0:1], s14, v12, v[6:7]
	v_mad_u64_u32 v[45:46], s[0:1], s14, v10, v[6:7]
	v_mul_lo_u32 v6, s15, v10
	v_mul_lo_u32 v7, s14, v5
	v_mul_lo_u32 v10, s15, v4
	v_mad_u64_u32 v[4:5], s[0:1], s14, v4, 0
	v_mul_lo_u32 v11, s14, v11
	v_mul_lo_u32 v17, s15, v12
	v_add3_u32 v5, v5, v7, v10
	v_lshlrev_b64 v[4:5], 2, v[4:5]
	v_add3_u32 v44, v6, v44, v11
	v_add3_u32 v46, v6, v46, v11
	v_mov_b32_e32 v6, s17
	v_add_co_u32_e32 v57, vcc, s16, v4
	v_addc_co_u32_e32 v58, vcc, v6, v5, vcc
	v_add_co_u32_e32 v6, vcc, 6, v8
	v_addc_co_u32_e32 v7, vcc, 0, v9, vcc
	v_mul_lo_u32 v11, s14, v7
	v_mul_lo_u32 v12, s15, v6
	v_mad_u64_u32 v[6:7], s[0:1], s14, v6, 0
	v_mov_b32_e32 v10, s19
	v_add_co_u32_e32 v59, vcc, s18, v4
	v_add3_u32 v7, v7, v11, v12
	v_addc_co_u32_e32 v60, vcc, v10, v5, vcc
	v_lshlrev_b64 v[4:5], 2, v[6:7]
	v_mov_b32_e32 v6, s17
	v_add_co_u32_e32 v61, vcc, s16, v4
	v_addc_co_u32_e32 v62, vcc, v6, v5, vcc
	v_add_co_u32_e32 v6, vcc, 5, v8
	v_addc_co_u32_e32 v7, vcc, 0, v9, vcc
	v_mul_lo_u32 v11, s14, v7
	v_mul_lo_u32 v12, s15, v6
	v_mad_u64_u32 v[6:7], s[0:1], s14, v6, 0
	v_add_co_u32_e32 v63, vcc, s18, v4
	v_add3_u32 v7, v7, v11, v12
	v_addc_co_u32_e32 v64, vcc, v10, v5, vcc
	v_lshlrev_b64 v[4:5], 2, v[6:7]
	v_mov_b32_e32 v6, s17
	v_add_co_u32_e32 v65, vcc, s16, v4
	v_addc_co_u32_e32 v66, vcc, v6, v5, vcc
	v_add_co_u32_e32 v6, vcc, 4, v8
	v_addc_co_u32_e32 v7, vcc, 0, v9, vcc
	v_mul_lo_u32 v11, s14, v7
	v_mul_lo_u32 v12, s15, v6
	v_mad_u64_u32 v[6:7], s[0:1], s14, v6, 0
	;; [unrolled: 12-line block ×4, first 2 shown]
	v_add_co_u32_e32 v75, vcc, s18, v4
	v_add3_u32 v7, v7, v8, v9
	v_addc_co_u32_e32 v76, vcc, v10, v5, vcc
	v_lshlrev_b64 v[4:5], 2, v[6:7]
	v_mov_b32_e32 v6, s17
	v_add_co_u32_e32 v77, vcc, s16, v4
	v_addc_co_u32_e32 v78, vcc, v6, v5, vcc
	v_mov_b32_e32 v6, s19
	v_add_co_u32_e32 v79, vcc, s18, v4
	v_lshlrev_b64 v[2:3], 2, v[2:3]
	v_addc_co_u32_e32 v80, vcc, v6, v5, vcc
	s_load_dword s0, s[4:5], 0x44
	v_mov_b32_e32 v4, s17
	v_add_co_u32_e32 v81, vcc, s16, v2
	v_addc_co_u32_e32 v82, vcc, v4, v3, vcc
	v_mov_b32_e32 v4, s19
	v_add_co_u32_e32 v83, vcc, s18, v2
	v_mov_b32_e32 v2, 0
	v_mul_lo_u32 v15, s14, v15
	v_mul_lo_u32 v13, s14, v13
	;; [unrolled: 1-line block ×3, first 2 shown]
	v_addc_co_u32_e32 v84, vcc, v4, v3, vcc
	v_add_u32_e32 v3, s7, v0
	v_mov_b32_e32 v4, v2
	s_waitcnt lgkmcnt(0)
	s_lshl_b32 s7, s0, 3
	v_lshlrev_b64 v[47:48], 2, v[3:4]
	v_mbcnt_lo_u32_b32 v3, -1, 0
	s_mul_i32 s0, s15, s7
	s_mul_hi_u32 s1, s14, s7
	v_mbcnt_hi_u32_b32 v3, -1, v3
	s_add_i32 s1, s1, s0
	s_mul_i32 s0, s14, s7
	v_lshlrev_b32_e32 v3, 2, v3
	v_add3_u32 v32, v18, v32, v15
	v_add3_u32 v34, v18, v34, v15
	;; [unrolled: 1-line block ×6, first 2 shown]
	s_lshl_b64 s[16:17], s[0:1], 2
	s_mov_b64 s[18:19], 7
	v_and_b32_e32 v85, 0x100, v3
	s_mov_b64 s[24:25], s[22:23]
	v_mov_b32_e32 v86, v2
	v_mov_b32_e32 v87, 0
.LBB155_53:                             ; =>This Inner Loop Header: Depth=1
	s_add_u32 s0, s22, s18
	v_mov_b32_e32 v3, s12
	s_addc_u32 s1, 0, s19
	v_mov_b32_e32 v4, s13
	v_cmp_ge_i64_e32 vcc, s[0:1], v[3:4]
	v_add_co_u32_e64 v50, s[0:1], s22, v52
	v_addc_co_u32_e64 v51, s[0:1], 0, v86, s[0:1]
	s_mov_b64 s[0:1], -1
                                        ; implicit-def: $vgpr49
	s_cbranch_vccz .LBB155_75
; %bb.54:                               ;   in Loop: Header=BB155_53 Depth=1
	s_load_dword s0, s[10:11], 0xc
	v_mov_b32_e32 v88, 0
	s_waitcnt lgkmcnt(0)
	s_and_b32 s0, s0, 0xffff
	v_mad_u32_u24 v3, v1, s0, v0
	v_and_b32_e32 v3, 63, v3
	v_cmp_gt_u32_e32 vcc, 8, v3
	s_and_saveexec_b64 s[0:1], vcc
	s_cbranch_execz .LBB155_58
; %bb.55:                               ;   in Loop: Header=BB155_53 Depth=1
	v_add_co_u32_e32 v3, vcc, v50, v3
	v_addc_co_u32_e32 v4, vcc, 0, v51, vcc
	v_cmp_gt_i64_e32 vcc, s[12:13], v[3:4]
	v_mov_b32_e32 v88, 0
	s_and_saveexec_b64 s[26:27], vcc
	s_cbranch_execz .LBB155_57
; %bb.56:                               ;   in Loop: Header=BB155_53 Depth=1
	v_lshlrev_b64 v[3:4], 2, v[3:4]
	v_mov_b32_e32 v5, s21
	v_add_co_u32_e32 v3, vcc, s20, v3
	v_addc_co_u32_e32 v4, vcc, v5, v4, vcc
	global_load_dword v88, v[3:4], off
.LBB155_57:                             ;   in Loop: Header=BB155_53 Depth=1
	s_or_b64 exec, exec, s[26:27]
.LBB155_58:                             ;   in Loop: Header=BB155_53 Depth=1
	s_or_b64 exec, exec, s[0:1]
	v_mov_b32_e32 v9, v2
	v_mov_b32_e32 v3, v2
	;; [unrolled: 1-line block ×8, first 2 shown]
	v_cmp_gt_i64_e32 vcc, s[12:13], v[50:51]
	v_mov_b32_e32 v17, v8
	v_mov_b32_e32 v16, v7
	;; [unrolled: 1-line block ×15, first 2 shown]
	s_and_saveexec_b64 s[0:1], vcc
	s_cbranch_execz .LBB155_60
; %bb.59:                               ;   in Loop: Header=BB155_53 Depth=1
	v_add_co_u32_e32 v3, vcc, v53, v47
	v_addc_co_u32_e32 v4, vcc, v54, v48, vcc
	global_load_dword v3, v[3:4], off
	v_add_co_u32_e32 v4, vcc, v55, v47
	v_addc_co_u32_e32 v5, vcc, v56, v48, vcc
	global_load_dword v11, v[4:5], off
	v_mov_b32_e32 v4, v2
	v_mov_b32_e32 v5, v2
	;; [unrolled: 1-line block ×14, first 2 shown]
.LBB155_60:                             ;   in Loop: Header=BB155_53 Depth=1
	s_or_b64 exec, exec, s[0:1]
	v_add_co_u32_e32 v89, vcc, 1, v50
	v_addc_co_u32_e32 v90, vcc, 0, v51, vcc
	v_cmp_gt_i64_e32 vcc, s[12:13], v[89:90]
	s_and_saveexec_b64 s[0:1], vcc
	s_cbranch_execz .LBB155_62
; %bb.61:                               ;   in Loop: Header=BB155_53 Depth=1
	v_add_co_u32_e32 v89, vcc, v81, v47
	v_addc_co_u32_e32 v90, vcc, v82, v48, vcc
	global_load_dword v4, v[89:90], off
	v_add_co_u32_e32 v89, vcc, v83, v47
	v_addc_co_u32_e32 v90, vcc, v84, v48, vcc
	global_load_dword v12, v[89:90], off
.LBB155_62:                             ;   in Loop: Header=BB155_53 Depth=1
	s_or_b64 exec, exec, s[0:1]
	v_add_co_u32_e32 v89, vcc, 2, v50
	v_addc_co_u32_e32 v90, vcc, 0, v51, vcc
	v_cmp_gt_i64_e32 vcc, s[12:13], v[89:90]
	s_and_saveexec_b64 s[0:1], vcc
	s_cbranch_execz .LBB155_64
; %bb.63:                               ;   in Loop: Header=BB155_53 Depth=1
	v_add_co_u32_e32 v89, vcc, v77, v47
	v_addc_co_u32_e32 v90, vcc, v78, v48, vcc
	global_load_dword v5, v[89:90], off
	v_add_co_u32_e32 v89, vcc, v79, v47
	v_addc_co_u32_e32 v90, vcc, v80, v48, vcc
	global_load_dword v13, v[89:90], off
.LBB155_64:                             ;   in Loop: Header=BB155_53 Depth=1
	;; [unrolled: 14-line block ×7, first 2 shown]
	s_or_b64 exec, exec, s[0:1]
	s_waitcnt vmcnt(0)
	ds_bpermute_b32 v49, v85, v88
	ds_bpermute_b32 v89, v85, v88 offset:4
	v_mul_f32_e32 v3, v11, v3
	ds_bpermute_b32 v11, v85, v88 offset:8
	v_mul_f32_e32 v4, v12, v4
	s_waitcnt lgkmcnt(2)
	v_fma_f32 v49, v3, v49, v87
	s_waitcnt lgkmcnt(1)
	v_fmac_f32_e32 v49, v4, v89
	ds_bpermute_b32 v3, v85, v88 offset:12
	v_mul_f32_e32 v4, v13, v5
	s_waitcnt lgkmcnt(1)
	v_fmac_f32_e32 v49, v4, v11
	ds_bpermute_b32 v4, v85, v88 offset:16
	v_mul_f32_e32 v5, v14, v6
	s_waitcnt lgkmcnt(1)
	v_fmac_f32_e32 v49, v5, v3
	v_mul_f32_e32 v3, v15, v7
	ds_bpermute_b32 v5, v85, v88 offset:20
	s_waitcnt lgkmcnt(1)
	v_fmac_f32_e32 v49, v3, v4
	ds_bpermute_b32 v3, v85, v88 offset:24
	ds_bpermute_b32 v6, v85, v88 offset:28
	v_mul_f32_e32 v4, v16, v8
	s_waitcnt lgkmcnt(2)
	v_fmac_f32_e32 v49, v4, v5
	v_mul_f32_e32 v4, v17, v9
	s_waitcnt lgkmcnt(1)
	v_fmac_f32_e32 v49, v4, v3
	;; [unrolled: 3-line block ×3, first 2 shown]
	s_mov_b64 s[0:1], 0
.LBB155_75:                             ;   in Loop: Header=BB155_53 Depth=1
	s_and_b64 vcc, exec, s[0:1]
	s_cbranch_vccz .LBB155_81
; %bb.76:                               ;   in Loop: Header=BB155_53 Depth=1
	s_load_dword s0, s[10:11], 0x0
	v_mov_b32_e32 v5, 0
	s_waitcnt lgkmcnt(0)
	s_cmp_lt_u32 s6, s0
	s_cselect_b32 s0, 12, 18
	s_add_u32 s0, s10, s0
	s_addc_u32 s1, s11, 0
	global_load_ushort v3, v2, s[0:1]
	s_waitcnt vmcnt(0)
	v_mad_u32_u24 v3, v1, v3, v0
	v_and_b32_e32 v3, 63, v3
	v_cmp_gt_u32_e32 vcc, 8, v3
	s_and_saveexec_b64 s[0:1], vcc
	s_cbranch_execz .LBB155_80
; %bb.77:                               ;   in Loop: Header=BB155_53 Depth=1
	v_add_co_u32_e32 v3, vcc, v50, v3
	v_addc_co_u32_e32 v4, vcc, 0, v51, vcc
	v_cmp_gt_i64_e32 vcc, s[12:13], v[3:4]
	v_mov_b32_e32 v5, 0
	s_and_saveexec_b64 s[26:27], vcc
	s_cbranch_execz .LBB155_79
; %bb.78:                               ;   in Loop: Header=BB155_53 Depth=1
	v_lshlrev_b64 v[3:4], 2, v[3:4]
	v_mov_b32_e32 v5, s21
	v_add_co_u32_e32 v3, vcc, s20, v3
	v_addc_co_u32_e32 v4, vcc, v5, v4, vcc
	global_load_dword v5, v[3:4], off
.LBB155_79:                             ;   in Loop: Header=BB155_53 Depth=1
	s_or_b64 exec, exec, s[26:27]
.LBB155_80:                             ;   in Loop: Header=BB155_53 Depth=1
	s_or_b64 exec, exec, s[0:1]
	v_add_co_u32_e32 v3, vcc, v53, v47
	v_addc_co_u32_e32 v4, vcc, v54, v48, vcc
	global_load_dword v6, v[3:4], off
	v_add_co_u32_e32 v3, vcc, v55, v47
	v_addc_co_u32_e32 v4, vcc, v56, v48, vcc
	global_load_dword v7, v[3:4], off
	v_add_co_u32_e32 v3, vcc, v19, v47
	v_addc_co_u32_e32 v4, vcc, v20, v48, vcc
	global_load_dword v8, v[3:4], off
	v_add_co_u32_e32 v3, vcc, v21, v47
	v_addc_co_u32_e32 v4, vcc, v22, v48, vcc
	global_load_dword v9, v[3:4], off
	v_add_co_u32_e32 v3, vcc, v23, v47
	v_addc_co_u32_e32 v4, vcc, v24, v48, vcc
	global_load_dword v10, v[3:4], off
	v_add_co_u32_e32 v3, vcc, v25, v47
	v_addc_co_u32_e32 v4, vcc, v26, v48, vcc
	global_load_dword v11, v[3:4], off
	v_add_co_u32_e32 v3, vcc, v27, v47
	v_addc_co_u32_e32 v4, vcc, v28, v48, vcc
	global_load_dword v12, v[3:4], off
	v_add_co_u32_e32 v3, vcc, v29, v47
	v_addc_co_u32_e32 v4, vcc, v30, v48, vcc
	global_load_dword v13, v[3:4], off
	v_add_co_u32_e32 v3, vcc, v31, v47
	v_addc_co_u32_e32 v4, vcc, v32, v48, vcc
	global_load_dword v14, v[3:4], off
	v_add_co_u32_e32 v3, vcc, v33, v47
	v_addc_co_u32_e32 v4, vcc, v34, v48, vcc
	global_load_dword v15, v[3:4], off
	v_add_co_u32_e32 v3, vcc, v35, v47
	v_addc_co_u32_e32 v4, vcc, v36, v48, vcc
	global_load_dword v16, v[3:4], off
	v_add_co_u32_e32 v3, vcc, v37, v47
	v_addc_co_u32_e32 v4, vcc, v38, v48, vcc
	global_load_dword v17, v[3:4], off
	v_add_co_u32_e32 v3, vcc, v39, v47
	v_addc_co_u32_e32 v4, vcc, v40, v48, vcc
	global_load_dword v18, v[3:4], off
	v_add_co_u32_e32 v3, vcc, v41, v47
	v_addc_co_u32_e32 v4, vcc, v42, v48, vcc
	global_load_dword v49, v[3:4], off
	v_add_co_u32_e32 v3, vcc, v43, v47
	v_addc_co_u32_e32 v4, vcc, v44, v48, vcc
	global_load_dword v50, v[3:4], off
	v_add_co_u32_e32 v3, vcc, v45, v47
	v_addc_co_u32_e32 v4, vcc, v46, v48, vcc
	global_load_dword v3, v[3:4], off
	s_waitcnt vmcnt(16)
	ds_bpermute_b32 v4, v85, v5
	ds_bpermute_b32 v51, v85, v5 offset:4
	s_waitcnt vmcnt(14)
	v_mul_f32_e32 v6, v6, v7
	s_waitcnt lgkmcnt(1)
	v_fmac_f32_e32 v87, v6, v4
	ds_bpermute_b32 v4, v85, v5 offset:8
	s_waitcnt vmcnt(12)
	v_mul_f32_e32 v6, v8, v9
	s_waitcnt lgkmcnt(1)
	v_fmac_f32_e32 v87, v6, v51
	;; [unrolled: 5-line block ×5, first 2 shown]
	ds_bpermute_b32 v4, v85, v5 offset:24
	ds_bpermute_b32 v5, v85, v5 offset:28
	s_waitcnt vmcnt(4)
	v_mul_f32_e32 v6, v16, v17
	s_waitcnt lgkmcnt(2)
	v_fmac_f32_e32 v87, v6, v7
	s_waitcnt vmcnt(2)
	v_mul_f32_e32 v6, v18, v49
	s_waitcnt lgkmcnt(1)
	v_fmac_f32_e32 v87, v6, v4
	;; [unrolled: 4-line block ×3, first 2 shown]
	v_mov_b32_e32 v49, v87
.LBB155_81:                             ;   in Loop: Header=BB155_53 Depth=1
	v_mov_b32_e32 v3, s17
	v_add_co_u32_e32 v53, vcc, s16, v53
	v_addc_co_u32_e32 v54, vcc, v54, v3, vcc
	v_add_co_u32_e32 v55, vcc, s16, v55
	v_addc_co_u32_e32 v56, vcc, v56, v3, vcc
	;; [unrolled: 2-line block ×30, first 2 shown]
	v_add_co_u32_e32 v83, vcc, s16, v83
	s_add_u32 s24, s24, s7
	v_addc_co_u32_e32 v84, vcc, v84, v3, vcc
	v_mov_b32_e32 v3, s12
	s_addc_u32 s25, s25, 0
	v_mov_b32_e32 v4, s13
	v_cmp_ge_i64_e32 vcc, s[24:25], v[3:4]
	s_add_u32 s18, s18, s7
	s_addc_u32 s19, 0, s19
	s_cbranch_vccnz .LBB155_83
; %bb.82:                               ;   in Loop: Header=BB155_53 Depth=1
	v_mov_b32_e32 v87, v49
	s_branch .LBB155_53
.LBB155_83:
	s_mov_b32 s7, 0
	s_lshl_b64 s[0:1], s[6:7], 5
	v_or_b32_e32 v3, s0, v0
	v_mov_b32_e32 v4, s1
	v_cmp_gt_i64_e32 vcc, s[14:15], v[3:4]
	s_waitcnt lgkmcnt(0)
	s_cmp_lg_u64 s[2:3], 0
	s_cselect_b64 s[0:1], -1, 0
	s_and_b64 s[0:1], vcc, s[0:1]
	s_and_saveexec_b64 s[6:7], s[0:1]
	s_cbranch_execz .LBB155_85
; %bb.84:
	s_load_dword s0, s[4:5], 0x4c
	v_mov_b32_e32 v2, 0
	v_mov_b32_e32 v0, s8
	v_mov_b32_e32 v7, s3
	s_waitcnt lgkmcnt(0)
	s_lshr_b32 s0, s0, 16
	v_mad_u64_u32 v[0:1], s[0:1], s0, v0, v[1:2]
	v_lshlrev_b64 v[2:3], 2, v[3:4]
	v_mul_lo_u32 v5, v1, s14
	v_mul_lo_u32 v6, v0, s15
	v_mad_u64_u32 v[0:1], s[0:1], v0, s14, 0
	v_add3_u32 v1, v1, v6, v5
	v_lshlrev_b64 v[0:1], 2, v[0:1]
	v_add_co_u32_e32 v0, vcc, s2, v0
	v_addc_co_u32_e32 v1, vcc, v7, v1, vcc
	v_add_co_u32_e32 v0, vcc, v0, v2
	v_addc_co_u32_e32 v1, vcc, v1, v3, vcc
	global_store_dword v[0:1], v49, off
.LBB155_85:
	s_endpgm
	.section	.rodata,"a",@progbits
	.p2align	6, 0x0
	.amdhsa_kernel _ZN2at6native12_GLOBAL__N_135GammaBetaBackwardCUDAKernelTemplateIffLj32ELj1ELj8ELb1ELb0ELb1EEEvllPKT_S5_PKT0_S8_PS3_S9_
		.amdhsa_group_segment_fixed_size 0
		.amdhsa_private_segment_fixed_size 0
		.amdhsa_kernarg_size 320
		.amdhsa_user_sgpr_count 6
		.amdhsa_user_sgpr_private_segment_buffer 1
		.amdhsa_user_sgpr_dispatch_ptr 0
		.amdhsa_user_sgpr_queue_ptr 0
		.amdhsa_user_sgpr_kernarg_segment_ptr 1
		.amdhsa_user_sgpr_dispatch_id 0
		.amdhsa_user_sgpr_flat_scratch_init 0
		.amdhsa_user_sgpr_private_segment_size 0
		.amdhsa_uses_dynamic_stack 0
		.amdhsa_system_sgpr_private_segment_wavefront_offset 0
		.amdhsa_system_sgpr_workgroup_id_x 1
		.amdhsa_system_sgpr_workgroup_id_y 1
		.amdhsa_system_sgpr_workgroup_id_z 0
		.amdhsa_system_sgpr_workgroup_info 0
		.amdhsa_system_vgpr_workitem_id 1
		.amdhsa_next_free_vgpr 91
		.amdhsa_next_free_sgpr 36
		.amdhsa_reserve_vcc 1
		.amdhsa_reserve_flat_scratch 0
		.amdhsa_float_round_mode_32 0
		.amdhsa_float_round_mode_16_64 0
		.amdhsa_float_denorm_mode_32 3
		.amdhsa_float_denorm_mode_16_64 3
		.amdhsa_dx10_clamp 1
		.amdhsa_ieee_mode 1
		.amdhsa_fp16_overflow 0
		.amdhsa_exception_fp_ieee_invalid_op 0
		.amdhsa_exception_fp_denorm_src 0
		.amdhsa_exception_fp_ieee_div_zero 0
		.amdhsa_exception_fp_ieee_overflow 0
		.amdhsa_exception_fp_ieee_underflow 0
		.amdhsa_exception_fp_ieee_inexact 0
		.amdhsa_exception_int_div_zero 0
	.end_amdhsa_kernel
	.section	.text._ZN2at6native12_GLOBAL__N_135GammaBetaBackwardCUDAKernelTemplateIffLj32ELj1ELj8ELb1ELb0ELb1EEEvllPKT_S5_PKT0_S8_PS3_S9_,"axG",@progbits,_ZN2at6native12_GLOBAL__N_135GammaBetaBackwardCUDAKernelTemplateIffLj32ELj1ELj8ELb1ELb0ELb1EEEvllPKT_S5_PKT0_S8_PS3_S9_,comdat
.Lfunc_end155:
	.size	_ZN2at6native12_GLOBAL__N_135GammaBetaBackwardCUDAKernelTemplateIffLj32ELj1ELj8ELb1ELb0ELb1EEEvllPKT_S5_PKT0_S8_PS3_S9_, .Lfunc_end155-_ZN2at6native12_GLOBAL__N_135GammaBetaBackwardCUDAKernelTemplateIffLj32ELj1ELj8ELb1ELb0ELb1EEEvllPKT_S5_PKT0_S8_PS3_S9_
                                        ; -- End function
	.set _ZN2at6native12_GLOBAL__N_135GammaBetaBackwardCUDAKernelTemplateIffLj32ELj1ELj8ELb1ELb0ELb1EEEvllPKT_S5_PKT0_S8_PS3_S9_.num_vgpr, 91
	.set _ZN2at6native12_GLOBAL__N_135GammaBetaBackwardCUDAKernelTemplateIffLj32ELj1ELj8ELb1ELb0ELb1EEEvllPKT_S5_PKT0_S8_PS3_S9_.num_agpr, 0
	.set _ZN2at6native12_GLOBAL__N_135GammaBetaBackwardCUDAKernelTemplateIffLj32ELj1ELj8ELb1ELb0ELb1EEEvllPKT_S5_PKT0_S8_PS3_S9_.numbered_sgpr, 36
	.set _ZN2at6native12_GLOBAL__N_135GammaBetaBackwardCUDAKernelTemplateIffLj32ELj1ELj8ELb1ELb0ELb1EEEvllPKT_S5_PKT0_S8_PS3_S9_.num_named_barrier, 0
	.set _ZN2at6native12_GLOBAL__N_135GammaBetaBackwardCUDAKernelTemplateIffLj32ELj1ELj8ELb1ELb0ELb1EEEvllPKT_S5_PKT0_S8_PS3_S9_.private_seg_size, 0
	.set _ZN2at6native12_GLOBAL__N_135GammaBetaBackwardCUDAKernelTemplateIffLj32ELj1ELj8ELb1ELb0ELb1EEEvllPKT_S5_PKT0_S8_PS3_S9_.uses_vcc, 1
	.set _ZN2at6native12_GLOBAL__N_135GammaBetaBackwardCUDAKernelTemplateIffLj32ELj1ELj8ELb1ELb0ELb1EEEvllPKT_S5_PKT0_S8_PS3_S9_.uses_flat_scratch, 0
	.set _ZN2at6native12_GLOBAL__N_135GammaBetaBackwardCUDAKernelTemplateIffLj32ELj1ELj8ELb1ELb0ELb1EEEvllPKT_S5_PKT0_S8_PS3_S9_.has_dyn_sized_stack, 0
	.set _ZN2at6native12_GLOBAL__N_135GammaBetaBackwardCUDAKernelTemplateIffLj32ELj1ELj8ELb1ELb0ELb1EEEvllPKT_S5_PKT0_S8_PS3_S9_.has_recursion, 0
	.set _ZN2at6native12_GLOBAL__N_135GammaBetaBackwardCUDAKernelTemplateIffLj32ELj1ELj8ELb1ELb0ELb1EEEvllPKT_S5_PKT0_S8_PS3_S9_.has_indirect_call, 0
	.section	.AMDGPU.csdata,"",@progbits
; Kernel info:
; codeLenInByte = 5820
; TotalNumSgprs: 40
; NumVgprs: 91
; ScratchSize: 0
; MemoryBound: 0
; FloatMode: 240
; IeeeMode: 1
; LDSByteSize: 0 bytes/workgroup (compile time only)
; SGPRBlocks: 4
; VGPRBlocks: 22
; NumSGPRsForWavesPerEU: 40
; NumVGPRsForWavesPerEU: 91
; Occupancy: 2
; WaveLimiterHint : 0
; COMPUTE_PGM_RSRC2:SCRATCH_EN: 0
; COMPUTE_PGM_RSRC2:USER_SGPR: 6
; COMPUTE_PGM_RSRC2:TRAP_HANDLER: 0
; COMPUTE_PGM_RSRC2:TGID_X_EN: 1
; COMPUTE_PGM_RSRC2:TGID_Y_EN: 1
; COMPUTE_PGM_RSRC2:TGID_Z_EN: 0
; COMPUTE_PGM_RSRC2:TIDIG_COMP_CNT: 1
	.section	.text._ZN2at6native12_GLOBAL__N_135GammaBetaBackwardCUDAKernelTemplateIffLj32ELj8ELj64ELb0ELb1ELb1EEEvllPKT_S5_PKT0_S8_PS3_S9_,"axG",@progbits,_ZN2at6native12_GLOBAL__N_135GammaBetaBackwardCUDAKernelTemplateIffLj32ELj8ELj64ELb0ELb1ELb1EEEvllPKT_S5_PKT0_S8_PS3_S9_,comdat
	.globl	_ZN2at6native12_GLOBAL__N_135GammaBetaBackwardCUDAKernelTemplateIffLj32ELj8ELj64ELb0ELb1ELb1EEEvllPKT_S5_PKT0_S8_PS3_S9_ ; -- Begin function _ZN2at6native12_GLOBAL__N_135GammaBetaBackwardCUDAKernelTemplateIffLj32ELj8ELj64ELb0ELb1ELb1EEEvllPKT_S5_PKT0_S8_PS3_S9_
	.p2align	8
	.type	_ZN2at6native12_GLOBAL__N_135GammaBetaBackwardCUDAKernelTemplateIffLj32ELj8ELj64ELb0ELb1ELb1EEEvllPKT_S5_PKT0_S8_PS3_S9_,@function
_ZN2at6native12_GLOBAL__N_135GammaBetaBackwardCUDAKernelTemplateIffLj32ELj8ELj64ELb0ELb1ELb1EEEvllPKT_S5_PKT0_S8_PS3_S9_: ; @_ZN2at6native12_GLOBAL__N_135GammaBetaBackwardCUDAKernelTemplateIffLj32ELj8ELj64ELb0ELb1ELb1EEEvllPKT_S5_PKT0_S8_PS3_S9_
; %bb.0:
	s_load_dwordx4 s[8:11], s[4:5], 0x0
	s_lshl_b32 s18, s7, 6
	s_mov_b32 s19, 0
	v_mov_b32_e32 v2, s18
	v_mov_b32_e32 v3, s19
	s_waitcnt lgkmcnt(0)
	v_cmp_gt_i64_e32 vcc, s[8:9], v[2:3]
	s_cbranch_vccnz .LBB156_2
; %bb.1:
	s_mov_b64 s[0:1], 0
	s_branch .LBB156_3
.LBB156_2:
	s_mov_b64 s[0:1], -1
.LBB156_3:
	s_load_dwordx2 s[16:17], s[4:5], 0x30
	v_mov_b32_e32 v3, 0
	s_andn2_b64 vcc, exec, s[0:1]
	v_mbcnt_lo_u32_b32 v8, -1, 0
	s_cbranch_vccnz .LBB156_10
; %bb.4:
	s_load_dword s0, s[4:5], 0x4c
	s_load_dword s7, s[4:5], 0x44
	s_load_dwordx4 s[12:15], s[4:5], 0x10
	s_load_dwordx2 s[2:3], s[4:5], 0x28
	v_lshlrev_b32_e32 v4, 3, v1
	s_waitcnt lgkmcnt(0)
	s_and_b32 s0, s0, 0xffff
	v_mad_u32_u24 v2, v1, s0, v0
	v_and_b32_e32 v5, 63, v2
	v_add_co_u32_e32 v10, vcc, s18, v4
	v_addc_co_u32_e64 v11, s[20:21], 0, 0, vcc
	v_add_co_u32_e32 v4, vcc, v10, v5
	v_cmp_gt_u32_e64 s[0:1], 8, v5
	v_mbcnt_hi_u32_b32 v6, -1, v8
	v_addc_co_u32_e32 v5, vcc, 0, v11, vcc
	v_mul_lo_u32 v14, s11, v10
	v_mul_lo_u32 v15, s10, v11
	v_mad_u64_u32 v[11:12], s[20:21], s10, v10, 0
	v_lshlrev_b32_e32 v6, 2, v6
	v_and_b32_e32 v9, 0x100, v6
	v_lshlrev_b64 v[6:7], 2, v[4:5]
	v_mov_b32_e32 v3, 0
	v_lshl_add_u32 v2, s6, 5, v0
	v_mov_b32_e32 v13, s3
	v_add_co_u32_e32 v6, vcc, s2, v6
	v_add3_u32 v12, v12, v15, v14
	v_addc_co_u32_e32 v7, vcc, v13, v7, vcc
	v_lshlrev_b64 v[11:12], 2, v[11:12]
	v_lshlrev_b64 v[13:14], 2, v[2:3]
	s_lshl_b32 s4, s7, 6
	s_mul_i32 s2, s11, s4
	s_mul_hi_u32 s3, s10, s4
	s_mov_b32 s5, 0
	v_add_co_u32_e32 v2, vcc, v11, v13
	s_add_i32 s3, s3, s2
	s_mul_i32 s2, s10, s4
	v_or_b32_e32 v10, 20, v9
	v_addc_co_u32_e32 v11, vcc, v12, v14, vcc
	v_or_b32_e32 v12, 24, v9
	v_or_b32_e32 v13, 28, v9
	s_lshl_b64 s[20:21], s[4:5], 2
	s_lshl_b64 s[22:23], s[2:3], 2
	;; [unrolled: 1-line block ×3, first 2 shown]
	s_branch .LBB156_7
.LBB156_5:                              ;   in Loop: Header=BB156_7 Depth=1
	s_or_b64 exec, exec, s[24:25]
.LBB156_6:                              ;   in Loop: Header=BB156_7 Depth=1
	s_or_b64 exec, exec, s[2:3]
	v_mov_b32_e32 v16, s13
	v_add_co_u32_e32 v15, vcc, s12, v2
	v_addc_co_u32_e32 v16, vcc, v16, v11, vcc
	v_mov_b32_e32 v21, s11
	v_add_co_u32_e32 v17, vcc, s10, v15
	v_addc_co_u32_e32 v18, vcc, v16, v21, vcc
	global_load_dword v22, v[15:16], off
	v_mov_b32_e32 v16, s15
	v_add_co_u32_e32 v15, vcc, s14, v2
	v_addc_co_u32_e32 v16, vcc, v16, v11, vcc
	v_add_co_u32_e32 v19, vcc, s10, v15
	global_load_dword v15, v[15:16], off
	v_addc_co_u32_e32 v20, vcc, v16, v21, vcc
	s_waitcnt vmcnt(2)
	ds_bpermute_b32 v16, v9, v14
	s_add_u32 s18, s18, s4
	s_addc_u32 s19, s19, 0
	v_add_co_u32_e64 v6, s[2:3], s20, v6
	s_waitcnt vmcnt(0)
	v_mul_f32_e32 v15, v22, v15
	s_waitcnt lgkmcnt(0)
	v_fmac_f32_e32 v3, v15, v16
	v_add_co_u32_e32 v15, vcc, s10, v17
	v_addc_co_u32_e32 v16, vcc, v18, v21, vcc
	global_load_dword v22, v[17:18], off
	v_add_co_u32_e32 v17, vcc, s10, v19
	global_load_dword v19, v[19:20], off
	v_addc_co_u32_e32 v18, vcc, v20, v21, vcc
	v_or_b32_e32 v20, 4, v9
	ds_bpermute_b32 v20, v20, v14
	s_waitcnt vmcnt(0)
	v_mul_f32_e32 v19, v22, v19
	s_waitcnt lgkmcnt(0)
	v_fmac_f32_e32 v3, v19, v20
	v_add_co_u32_e32 v19, vcc, s10, v15
	v_addc_co_u32_e32 v20, vcc, v16, v21, vcc
	global_load_dword v22, v[15:16], off
	v_add_co_u32_e32 v15, vcc, s10, v17
	global_load_dword v17, v[17:18], off
	v_addc_co_u32_e32 v16, vcc, v18, v21, vcc
	v_or_b32_e32 v18, 8, v9
	ds_bpermute_b32 v18, v18, v14
	;; [unrolled: 12-line block ×4, first 2 shown]
	s_waitcnt vmcnt(0)
	v_mul_f32_e32 v19, v22, v19
	s_waitcnt lgkmcnt(0)
	v_fmac_f32_e32 v3, v19, v20
	v_add_co_u32_e32 v19, vcc, s10, v15
	v_addc_co_u32_e32 v20, vcc, v16, v21, vcc
	global_load_dword v22, v[15:16], off
	v_add_co_u32_e32 v15, vcc, s10, v17
	global_load_dword v17, v[17:18], off
	v_addc_co_u32_e32 v16, vcc, v18, v21, vcc
	ds_bpermute_b32 v18, v10, v14
	s_waitcnt vmcnt(0)
	v_mul_f32_e32 v17, v22, v17
	s_waitcnt lgkmcnt(0)
	v_fmac_f32_e32 v3, v17, v18
	v_add_co_u32_e32 v17, vcc, s10, v19
	v_addc_co_u32_e32 v18, vcc, v20, v21, vcc
	global_load_dword v22, v[19:20], off
	v_add_co_u32_e32 v19, vcc, s10, v15
	global_load_dword v15, v[15:16], off
	v_addc_co_u32_e32 v20, vcc, v16, v21, vcc
	ds_bpermute_b32 v16, v12, v14
	ds_bpermute_b32 v14, v13, v14
	s_waitcnt vmcnt(0)
	v_mul_f32_e32 v15, v22, v15
	s_waitcnt lgkmcnt(1)
	v_fmac_f32_e32 v3, v15, v16
	global_load_dword v15, v[17:18], off
	global_load_dword v16, v[19:20], off
	s_waitcnt vmcnt(0)
	v_mul_f32_e32 v15, v15, v16
	s_waitcnt lgkmcnt(0)
	v_fmac_f32_e32 v3, v15, v14
	v_mov_b32_e32 v15, s9
	v_mov_b32_e32 v14, s8
	v_cmp_lt_i64_e32 vcc, s[18:19], v[14:15]
	v_mov_b32_e32 v14, s21
	v_addc_co_u32_e64 v7, s[2:3], v7, v14, s[2:3]
	v_add_co_u32_e64 v2, s[2:3], s22, v2
	v_mov_b32_e32 v14, s23
	v_addc_co_u32_e64 v11, s[2:3], v11, v14, s[2:3]
	v_add_co_u32_e64 v4, s[2:3], s4, v4
	v_addc_co_u32_e64 v5, s[2:3], 0, v5, s[2:3]
	s_cbranch_vccz .LBB156_10
.LBB156_7:                              ; =>This Inner Loop Header: Depth=1
	v_mov_b32_e32 v14, 0
	s_and_saveexec_b64 s[2:3], s[0:1]
	s_cbranch_execz .LBB156_6
; %bb.8:                                ;   in Loop: Header=BB156_7 Depth=1
	v_cmp_gt_i64_e32 vcc, s[8:9], v[4:5]
	v_mov_b32_e32 v14, 0
	s_and_saveexec_b64 s[24:25], vcc
	s_cbranch_execz .LBB156_5
; %bb.9:                                ;   in Loop: Header=BB156_7 Depth=1
	global_load_dword v14, v[6:7], off
	s_branch .LBB156_5
.LBB156_10:
	v_mad_u32_u24 v2, v1, 33, v0
	v_lshl_add_u32 v4, v2, 2, 0
	ds_write_b32 v4, v3
	v_mov_b32_e32 v3, 0
	ds_write_b32 v4, v3 offset:1056
	v_sub_u32_e32 v3, v2, v1
	s_movk_i32 s0, 0x800
	v_cmp_gt_u32_e32 vcc, s0, v3
	s_waitcnt lgkmcnt(0)
	s_barrier
	s_and_saveexec_b64 s[0:1], vcc
	s_cbranch_execz .LBB156_50
; %bb.11:
	v_lshrrev_b32_e32 v1, 6, v3
	v_and_b32_e32 v2, 63, v3
	v_cmp_gt_u32_e32 vcc, 8, v2
	v_mul_u32_u24_e32 v2, 33, v2
	v_lshlrev_b32_e32 v1, 2, v1
                                        ; implicit-def: $vgpr5
	s_and_saveexec_b64 s[0:1], vcc
; %bb.12:
	v_lshlrev_b32_e32 v4, 2, v2
	v_add3_u32 v4, 0, v1, v4
	ds_read_b32 v5, v4
; %bb.13:
	s_or_b64 exec, exec, s[0:1]
	v_mbcnt_hi_u32_b32 v6, -1, v8
	v_and_b32_e32 v4, 64, v6
	v_add_u32_e32 v7, 64, v4
	v_xor_b32_e32 v4, 4, v6
	v_cmp_lt_i32_e64 s[0:1], v4, v7
	v_cndmask_b32_e64 v4, v6, v4, s[0:1]
	v_lshlrev_b32_e32 v4, 2, v4
	s_waitcnt lgkmcnt(0)
	ds_bpermute_b32 v8, v4, v5
	v_xor_b32_e32 v9, 2, v6
	v_cmp_lt_i32_e64 s[0:1], v9, v7
	s_cmp_lg_u64 s[16:17], 0
	s_mov_b32 s7, 0
	s_waitcnt lgkmcnt(0)
	v_add_f32_e32 v8, v5, v8
	v_cndmask_b32_e64 v5, v6, v9, s[0:1]
	v_lshlrev_b32_e32 v5, 2, v5
	ds_bpermute_b32 v9, v5, v8
	v_cmp_eq_u32_e64 s[0:1], 0, v0
	v_xor_b32_e32 v0, 1, v6
	v_cmp_lt_i32_e64 s[2:3], v0, v7
	v_cndmask_b32_e64 v0, v6, v0, s[2:3]
	s_waitcnt lgkmcnt(0)
	v_add_f32_e32 v8, v8, v9
	v_lshlrev_b32_e32 v0, 2, v0
	ds_bpermute_b32 v6, v0, v8
	s_cselect_b64 s[4:5], -1, 0
	s_and_b64 s[4:5], s[0:1], s[4:5]
	s_lshl_b64 s[0:1], s[6:7], 7
	s_add_u32 s2, s16, s0
	s_addc_u32 s3, s17, s1
	s_waitcnt lgkmcnt(0)
	v_add_f32_e32 v6, v8, v6
	s_and_saveexec_b64 s[0:1], s[4:5]
	s_cbranch_execz .LBB156_15
; %bb.14:
	global_store_dword v1, v6, s[2:3]
.LBB156_15:
	s_or_b64 exec, exec, s[0:1]
	s_movk_i32 s0, 0x700
	v_cmp_gt_u32_e64 s[0:1], s0, v3
	s_and_b64 exec, exec, s[0:1]
	s_cbranch_execz .LBB156_50
; %bb.16:
	s_and_saveexec_b64 s[0:1], vcc
; %bb.17:
	v_lshlrev_b32_e32 v6, 2, v2
	v_add3_u32 v6, 0, v1, v6
	ds_read_b32 v6, v6 offset:16
; %bb.18:
	s_or_b64 exec, exec, s[0:1]
	s_waitcnt lgkmcnt(0)
	ds_bpermute_b32 v7, v4, v6
	s_waitcnt lgkmcnt(0)
	v_add_f32_e32 v6, v6, v7
	ds_bpermute_b32 v7, v5, v6
	s_waitcnt lgkmcnt(0)
	v_add_f32_e32 v6, v6, v7
	ds_bpermute_b32 v7, v0, v6
	s_waitcnt lgkmcnt(0)
	v_add_f32_e32 v6, v6, v7
	s_and_saveexec_b64 s[0:1], s[4:5]
	s_cbranch_execz .LBB156_20
; %bb.19:
	global_store_dword v1, v6, s[2:3] offset:16
.LBB156_20:
	s_or_b64 exec, exec, s[0:1]
	s_movk_i32 s0, 0x600
	v_cmp_gt_u32_e64 s[0:1], s0, v3
	s_and_b64 exec, exec, s[0:1]
	s_cbranch_execz .LBB156_50
; %bb.21:
	s_and_saveexec_b64 s[0:1], vcc
; %bb.22:
	v_lshlrev_b32_e32 v6, 2, v2
	v_add3_u32 v6, 0, v1, v6
	ds_read_b32 v6, v6 offset:32
; %bb.23:
	s_or_b64 exec, exec, s[0:1]
	s_waitcnt lgkmcnt(0)
	ds_bpermute_b32 v7, v4, v6
	s_waitcnt lgkmcnt(0)
	v_add_f32_e32 v6, v6, v7
	ds_bpermute_b32 v7, v5, v6
	s_waitcnt lgkmcnt(0)
	v_add_f32_e32 v6, v6, v7
	ds_bpermute_b32 v7, v0, v6
	s_waitcnt lgkmcnt(0)
	v_add_f32_e32 v6, v6, v7
	s_and_saveexec_b64 s[0:1], s[4:5]
	s_cbranch_execz .LBB156_25
; %bb.24:
	global_store_dword v1, v6, s[2:3] offset:32
.LBB156_25:
	;; [unrolled: 28-line block ×6, first 2 shown]
	s_or_b64 exec, exec, s[0:1]
	s_movk_i32 s0, 0x100
	v_cmp_gt_u32_e64 s[0:1], s0, v3
	s_and_b64 exec, exec, s[0:1]
	s_cbranch_execz .LBB156_50
; %bb.46:
	s_and_saveexec_b64 s[0:1], vcc
; %bb.47:
	v_lshlrev_b32_e32 v2, 2, v2
	v_add3_u32 v2, 0, v1, v2
	ds_read_b32 v6, v2 offset:112
; %bb.48:
	s_or_b64 exec, exec, s[0:1]
	s_waitcnt lgkmcnt(0)
	ds_bpermute_b32 v2, v4, v6
	s_waitcnt lgkmcnt(0)
	v_add_f32_e32 v2, v6, v2
	ds_bpermute_b32 v3, v5, v2
	s_waitcnt lgkmcnt(0)
	v_add_f32_e32 v2, v2, v3
	ds_bpermute_b32 v0, v0, v2
	s_and_saveexec_b64 s[0:1], s[4:5]
	s_xor_b64 s[0:1], exec, s[0:1]
	s_cbranch_execz .LBB156_50
; %bb.49:
	s_waitcnt lgkmcnt(0)
	v_add_f32_e32 v0, v2, v0
	global_store_dword v1, v0, s[2:3] offset:112
.LBB156_50:
	s_endpgm
	.section	.rodata,"a",@progbits
	.p2align	6, 0x0
	.amdhsa_kernel _ZN2at6native12_GLOBAL__N_135GammaBetaBackwardCUDAKernelTemplateIffLj32ELj8ELj64ELb0ELb1ELb1EEEvllPKT_S5_PKT0_S8_PS3_S9_
		.amdhsa_group_segment_fixed_size 0
		.amdhsa_private_segment_fixed_size 0
		.amdhsa_kernarg_size 320
		.amdhsa_user_sgpr_count 6
		.amdhsa_user_sgpr_private_segment_buffer 1
		.amdhsa_user_sgpr_dispatch_ptr 0
		.amdhsa_user_sgpr_queue_ptr 0
		.amdhsa_user_sgpr_kernarg_segment_ptr 1
		.amdhsa_user_sgpr_dispatch_id 0
		.amdhsa_user_sgpr_flat_scratch_init 0
		.amdhsa_user_sgpr_private_segment_size 0
		.amdhsa_uses_dynamic_stack 0
		.amdhsa_system_sgpr_private_segment_wavefront_offset 0
		.amdhsa_system_sgpr_workgroup_id_x 1
		.amdhsa_system_sgpr_workgroup_id_y 1
		.amdhsa_system_sgpr_workgroup_id_z 0
		.amdhsa_system_sgpr_workgroup_info 0
		.amdhsa_system_vgpr_workitem_id 1
		.amdhsa_next_free_vgpr 23
		.amdhsa_next_free_sgpr 26
		.amdhsa_reserve_vcc 1
		.amdhsa_reserve_flat_scratch 0
		.amdhsa_float_round_mode_32 0
		.amdhsa_float_round_mode_16_64 0
		.amdhsa_float_denorm_mode_32 3
		.amdhsa_float_denorm_mode_16_64 3
		.amdhsa_dx10_clamp 1
		.amdhsa_ieee_mode 1
		.amdhsa_fp16_overflow 0
		.amdhsa_exception_fp_ieee_invalid_op 0
		.amdhsa_exception_fp_denorm_src 0
		.amdhsa_exception_fp_ieee_div_zero 0
		.amdhsa_exception_fp_ieee_overflow 0
		.amdhsa_exception_fp_ieee_underflow 0
		.amdhsa_exception_fp_ieee_inexact 0
		.amdhsa_exception_int_div_zero 0
	.end_amdhsa_kernel
	.section	.text._ZN2at6native12_GLOBAL__N_135GammaBetaBackwardCUDAKernelTemplateIffLj32ELj8ELj64ELb0ELb1ELb1EEEvllPKT_S5_PKT0_S8_PS3_S9_,"axG",@progbits,_ZN2at6native12_GLOBAL__N_135GammaBetaBackwardCUDAKernelTemplateIffLj32ELj8ELj64ELb0ELb1ELb1EEEvllPKT_S5_PKT0_S8_PS3_S9_,comdat
.Lfunc_end156:
	.size	_ZN2at6native12_GLOBAL__N_135GammaBetaBackwardCUDAKernelTemplateIffLj32ELj8ELj64ELb0ELb1ELb1EEEvllPKT_S5_PKT0_S8_PS3_S9_, .Lfunc_end156-_ZN2at6native12_GLOBAL__N_135GammaBetaBackwardCUDAKernelTemplateIffLj32ELj8ELj64ELb0ELb1ELb1EEEvllPKT_S5_PKT0_S8_PS3_S9_
                                        ; -- End function
	.set _ZN2at6native12_GLOBAL__N_135GammaBetaBackwardCUDAKernelTemplateIffLj32ELj8ELj64ELb0ELb1ELb1EEEvllPKT_S5_PKT0_S8_PS3_S9_.num_vgpr, 23
	.set _ZN2at6native12_GLOBAL__N_135GammaBetaBackwardCUDAKernelTemplateIffLj32ELj8ELj64ELb0ELb1ELb1EEEvllPKT_S5_PKT0_S8_PS3_S9_.num_agpr, 0
	.set _ZN2at6native12_GLOBAL__N_135GammaBetaBackwardCUDAKernelTemplateIffLj32ELj8ELj64ELb0ELb1ELb1EEEvllPKT_S5_PKT0_S8_PS3_S9_.numbered_sgpr, 26
	.set _ZN2at6native12_GLOBAL__N_135GammaBetaBackwardCUDAKernelTemplateIffLj32ELj8ELj64ELb0ELb1ELb1EEEvllPKT_S5_PKT0_S8_PS3_S9_.num_named_barrier, 0
	.set _ZN2at6native12_GLOBAL__N_135GammaBetaBackwardCUDAKernelTemplateIffLj32ELj8ELj64ELb0ELb1ELb1EEEvllPKT_S5_PKT0_S8_PS3_S9_.private_seg_size, 0
	.set _ZN2at6native12_GLOBAL__N_135GammaBetaBackwardCUDAKernelTemplateIffLj32ELj8ELj64ELb0ELb1ELb1EEEvllPKT_S5_PKT0_S8_PS3_S9_.uses_vcc, 1
	.set _ZN2at6native12_GLOBAL__N_135GammaBetaBackwardCUDAKernelTemplateIffLj32ELj8ELj64ELb0ELb1ELb1EEEvllPKT_S5_PKT0_S8_PS3_S9_.uses_flat_scratch, 0
	.set _ZN2at6native12_GLOBAL__N_135GammaBetaBackwardCUDAKernelTemplateIffLj32ELj8ELj64ELb0ELb1ELb1EEEvllPKT_S5_PKT0_S8_PS3_S9_.has_dyn_sized_stack, 0
	.set _ZN2at6native12_GLOBAL__N_135GammaBetaBackwardCUDAKernelTemplateIffLj32ELj8ELj64ELb0ELb1ELb1EEEvllPKT_S5_PKT0_S8_PS3_S9_.has_recursion, 0
	.set _ZN2at6native12_GLOBAL__N_135GammaBetaBackwardCUDAKernelTemplateIffLj32ELj8ELj64ELb0ELb1ELb1EEEvllPKT_S5_PKT0_S8_PS3_S9_.has_indirect_call, 0
	.section	.AMDGPU.csdata,"",@progbits
; Kernel info:
; codeLenInByte = 2084
; TotalNumSgprs: 30
; NumVgprs: 23
; ScratchSize: 0
; MemoryBound: 0
; FloatMode: 240
; IeeeMode: 1
; LDSByteSize: 0 bytes/workgroup (compile time only)
; SGPRBlocks: 3
; VGPRBlocks: 5
; NumSGPRsForWavesPerEU: 30
; NumVGPRsForWavesPerEU: 23
; Occupancy: 10
; WaveLimiterHint : 0
; COMPUTE_PGM_RSRC2:SCRATCH_EN: 0
; COMPUTE_PGM_RSRC2:USER_SGPR: 6
; COMPUTE_PGM_RSRC2:TRAP_HANDLER: 0
; COMPUTE_PGM_RSRC2:TGID_X_EN: 1
; COMPUTE_PGM_RSRC2:TGID_Y_EN: 1
; COMPUTE_PGM_RSRC2:TGID_Z_EN: 0
; COMPUTE_PGM_RSRC2:TIDIG_COMP_CNT: 1
	.section	.text._ZN2at6native12_GLOBAL__N_135GammaBetaBackwardCUDAKernelTemplateIffLj32ELj8ELj64ELb0ELb0ELb1EEEvllPKT_S5_PKT0_S8_PS3_S9_,"axG",@progbits,_ZN2at6native12_GLOBAL__N_135GammaBetaBackwardCUDAKernelTemplateIffLj32ELj8ELj64ELb0ELb0ELb1EEEvllPKT_S5_PKT0_S8_PS3_S9_,comdat
	.globl	_ZN2at6native12_GLOBAL__N_135GammaBetaBackwardCUDAKernelTemplateIffLj32ELj8ELj64ELb0ELb0ELb1EEEvllPKT_S5_PKT0_S8_PS3_S9_ ; -- Begin function _ZN2at6native12_GLOBAL__N_135GammaBetaBackwardCUDAKernelTemplateIffLj32ELj8ELj64ELb0ELb0ELb1EEEvllPKT_S5_PKT0_S8_PS3_S9_
	.p2align	8
	.type	_ZN2at6native12_GLOBAL__N_135GammaBetaBackwardCUDAKernelTemplateIffLj32ELj8ELj64ELb0ELb0ELb1EEEvllPKT_S5_PKT0_S8_PS3_S9_,@function
_ZN2at6native12_GLOBAL__N_135GammaBetaBackwardCUDAKernelTemplateIffLj32ELj8ELj64ELb0ELb0ELb1EEEvllPKT_S5_PKT0_S8_PS3_S9_: ; @_ZN2at6native12_GLOBAL__N_135GammaBetaBackwardCUDAKernelTemplateIffLj32ELj8ELj64ELb0ELb0ELb1EEEvllPKT_S5_PKT0_S8_PS3_S9_
; %bb.0:
	s_load_dwordx8 s[12:19], s[4:5], 0x0
	s_load_dwordx2 s[10:11], s[4:5], 0x28
	s_lshl_b32 s20, s7, 6
	s_lshl_b32 s33, s6, 5
	s_mov_b32 s21, 0
	v_mov_b32_e32 v2, s20
	s_or_b32 s0, s33, 31
	v_mov_b32_e32 v3, s21
	v_mov_b32_e32 v48, s0
	;; [unrolled: 1-line block ×3, first 2 shown]
	s_waitcnt lgkmcnt(0)
	v_cmp_gt_i64_e64 s[0:1], s[12:13], v[2:3]
	v_cmp_le_i64_e32 vcc, s[14:15], v[48:49]
	v_cndmask_b32_e64 v2, 0, 1, s[0:1]
	v_cmp_ne_u32_e64 s[0:1], 1, v2
	s_cbranch_vccz .LBB157_49
; %bb.1:
	s_and_b64 vcc, exec, s[0:1]
	s_cbranch_vccnz .LBB157_50
; %bb.2:
	v_lshlrev_b32_e32 v21, 3, v1
	v_add_co_u32_e32 v9, vcc, s20, v21
	v_addc_co_u32_e64 v10, s[2:3], 0, 0, vcc
	v_mul_lo_u32 v7, s15, v9
	v_mul_lo_u32 v8, s14, v10
	v_mad_u64_u32 v[5:6], s[2:3], s14, v9, 0
	v_mov_b32_e32 v2, 0
	s_load_dword s7, s[4:5], 0x44
	v_add_u32_e32 v3, s33, v0
	v_mov_b32_e32 v4, v2
	v_add3_u32 v6, v6, v8, v7
	v_cmp_gt_i64_e64 s[2:3], s[14:15], v[3:4]
	v_lshlrev_b64 v[19:20], 2, v[3:4]
	v_lshlrev_b64 v[3:4], 2, v[5:6]
	s_add_u32 s22, s4, 64
	v_mov_b32_e32 v7, s17
	v_add_co_u32_e32 v22, vcc, s16, v3
	s_addc_u32 s23, s5, 0
	s_waitcnt lgkmcnt(0)
	s_lshl_b32 s7, s7, 6
	v_addc_co_u32_e32 v23, vcc, v7, v4, vcc
	s_mul_i32 s8, s15, s7
	s_mul_hi_u32 s9, s14, s7
	v_add_co_u32_e32 v7, vcc, 7, v9
	s_add_i32 s9, s9, s8
	s_mul_i32 s8, s14, s7
	v_addc_co_u32_e32 v8, vcc, 0, v10, vcc
	s_lshl_b64 s[24:25], s[8:9], 2
	v_mul_lo_u32 v12, s15, v7
	v_mul_lo_u32 v13, s14, v8
	v_mad_u64_u32 v[7:8], s[8:9], s14, v7, 0
	v_mov_b32_e32 v11, s19
	v_add_co_u32_e32 v24, vcc, s18, v3
	v_add3_u32 v8, v8, v13, v12
	v_addc_co_u32_e32 v25, vcc, v11, v4, vcc
	v_lshlrev_b64 v[3:4], 2, v[7:8]
	v_mov_b32_e32 v7, s17
	v_add_co_u32_e32 v26, vcc, s16, v3
	v_addc_co_u32_e32 v27, vcc, v7, v4, vcc
	v_add_co_u32_e32 v7, vcc, 6, v9
	v_addc_co_u32_e32 v8, vcc, 0, v10, vcc
	v_mul_lo_u32 v12, s15, v7
	v_mul_lo_u32 v13, s14, v8
	v_mad_u64_u32 v[7:8], s[8:9], s14, v7, 0
	v_add_co_u32_e32 v28, vcc, s18, v3
	v_add3_u32 v8, v8, v13, v12
	v_addc_co_u32_e32 v29, vcc, v11, v4, vcc
	v_lshlrev_b64 v[3:4], 2, v[7:8]
	v_mov_b32_e32 v7, s17
	v_add_co_u32_e32 v30, vcc, s16, v3
	v_addc_co_u32_e32 v31, vcc, v7, v4, vcc
	v_add_co_u32_e32 v7, vcc, 5, v9
	v_addc_co_u32_e32 v8, vcc, 0, v10, vcc
	v_mul_lo_u32 v12, s15, v7
	v_mul_lo_u32 v13, s14, v8
	v_mad_u64_u32 v[7:8], s[8:9], s14, v7, 0
	;; [unrolled: 12-line block ×5, first 2 shown]
	v_add_co_u32_e32 v44, vcc, s18, v3
	v_add3_u32 v8, v8, v10, v9
	v_addc_co_u32_e32 v45, vcc, v11, v4, vcc
	v_lshlrev_b64 v[3:4], 2, v[7:8]
	v_mov_b32_e32 v7, s17
	v_add_co_u32_e32 v46, vcc, s16, v3
	v_addc_co_u32_e32 v47, vcc, v7, v4, vcc
	v_mov_b32_e32 v7, s19
	v_add_co_u32_e32 v48, vcc, s18, v3
	v_addc_co_u32_e32 v50, vcc, v7, v4, vcc
	v_mov_b32_e32 v4, s15
	v_add_co_u32_e32 v3, vcc, s14, v5
	v_addc_co_u32_e32 v4, vcc, v6, v4, vcc
	v_lshlrev_b64 v[3:4], 2, v[3:4]
	v_mov_b32_e32 v5, s17
	v_add_co_u32_e32 v51, vcc, s16, v3
	v_addc_co_u32_e32 v52, vcc, v5, v4, vcc
	v_add_co_u32_e32 v53, vcc, s18, v3
	v_mbcnt_lo_u32_b32 v3, -1, 0
	v_mbcnt_hi_u32_b32 v3, -1, v3
	v_mov_b32_e32 v5, s19
	s_add_u32 s26, s20, 63
	v_lshlrev_b32_e32 v3, 2, v3
	v_addc_co_u32_e32 v54, vcc, v5, v4, vcc
	s_addc_u32 s27, 0, 0
	v_and_b32_e32 v55, 0x100, v3
	s_mov_b64 s[28:29], s[20:21]
	v_mov_b32_e32 v56, 0
.LBB157_3:                              ; =>This Inner Loop Header: Depth=1
	v_mov_b32_e32 v3, s12
	v_mov_b32_e32 v4, s13
	v_cmp_ge_i64_e32 vcc, s[26:27], v[3:4]
	v_mov_b32_e32 v3, s27
	v_add_co_u32_e64 v57, s[8:9], s26, v21
	v_addc_co_u32_e64 v58, s[8:9], 0, v3, s[8:9]
	s_mov_b64 s[8:9], -1
	s_and_b64 vcc, exec, vcc
                                        ; implicit-def: $vgpr3_vgpr4_vgpr5_vgpr6_vgpr7_vgpr8_vgpr9_vgpr10
                                        ; implicit-def: $vgpr49
                                        ; implicit-def: $vgpr11_vgpr12_vgpr13_vgpr14_vgpr15_vgpr16_vgpr17_vgpr18
                                        ; implicit-def: $vgpr3
	s_cbranch_vccz .LBB157_25
; %bb.4:                                ;   in Loop: Header=BB157_3 Depth=1
	s_load_dword s8, s[22:23], 0xc
	v_mov_b32_e32 v59, 0
	s_waitcnt lgkmcnt(0)
	s_and_b32 s8, s8, 0xffff
	v_mad_u32_u24 v3, v1, s8, v0
	v_and_b32_e32 v3, 63, v3
	v_cmp_gt_u32_e32 vcc, 8, v3
	s_and_saveexec_b64 s[8:9], vcc
	s_cbranch_execz .LBB157_8
; %bb.5:                                ;   in Loop: Header=BB157_3 Depth=1
	v_add_co_u32_e32 v3, vcc, v57, v3
	v_addc_co_u32_e32 v4, vcc, 0, v58, vcc
	v_add_co_u32_e32 v3, vcc, 0xffffffc1, v3
	v_addc_co_u32_e32 v4, vcc, -1, v4, vcc
	v_cmp_gt_i64_e32 vcc, s[12:13], v[3:4]
	v_mov_b32_e32 v59, 0
	s_and_saveexec_b64 s[30:31], vcc
	s_cbranch_execz .LBB157_7
; %bb.6:                                ;   in Loop: Header=BB157_3 Depth=1
	v_lshlrev_b64 v[3:4], 2, v[3:4]
	v_mov_b32_e32 v5, s11
	v_add_co_u32_e32 v3, vcc, s10, v3
	v_addc_co_u32_e32 v4, vcc, v5, v4, vcc
	global_load_dword v59, v[3:4], off
.LBB157_7:                              ;   in Loop: Header=BB157_3 Depth=1
	s_or_b64 exec, exec, s[30:31]
.LBB157_8:                              ;   in Loop: Header=BB157_3 Depth=1
	s_or_b64 exec, exec, s[8:9]
	v_add_co_u32_e32 v3, vcc, 0xffffffc1, v57
	v_addc_co_u32_e32 v4, vcc, -1, v58, vcc
	v_mov_b32_e32 v9, v2
	v_cmp_gt_i64_e32 vcc, s[12:13], v[3:4]
	v_mov_b32_e32 v3, v2
	v_mov_b32_e32 v4, v2
	;; [unrolled: 1-line block ×15, first 2 shown]
	s_and_b64 s[30:31], s[2:3], vcc
	v_mov_b32_e32 v9, v8
	v_mov_b32_e32 v8, v7
	;; [unrolled: 1-line block ×7, first 2 shown]
	s_and_saveexec_b64 s[8:9], s[30:31]
	s_cbranch_execz .LBB157_10
; %bb.9:                                ;   in Loop: Header=BB157_3 Depth=1
	v_add_co_u32_e32 v3, vcc, v22, v19
	v_addc_co_u32_e32 v4, vcc, v23, v20, vcc
	global_load_dword v3, v[3:4], off
	v_add_co_u32_e32 v4, vcc, v24, v19
	v_addc_co_u32_e32 v5, vcc, v25, v20, vcc
	global_load_dword v11, v[4:5], off
	v_mov_b32_e32 v4, v2
	v_mov_b32_e32 v5, v2
	;; [unrolled: 1-line block ×14, first 2 shown]
.LBB157_10:                             ;   in Loop: Header=BB157_3 Depth=1
	s_or_b64 exec, exec, s[8:9]
	v_add_co_u32_e32 v60, vcc, 0xffffffc2, v57
	v_addc_co_u32_e32 v61, vcc, -1, v58, vcc
	v_cmp_gt_i64_e32 vcc, s[12:13], v[60:61]
	s_and_b64 s[30:31], s[2:3], vcc
	s_and_saveexec_b64 s[8:9], s[30:31]
	s_cbranch_execz .LBB157_12
; %bb.11:                               ;   in Loop: Header=BB157_3 Depth=1
	v_add_co_u32_e32 v60, vcc, v51, v19
	v_addc_co_u32_e32 v61, vcc, v52, v20, vcc
	global_load_dword v4, v[60:61], off
	v_add_co_u32_e32 v60, vcc, v53, v19
	v_addc_co_u32_e32 v61, vcc, v54, v20, vcc
	global_load_dword v12, v[60:61], off
.LBB157_12:                             ;   in Loop: Header=BB157_3 Depth=1
	s_or_b64 exec, exec, s[8:9]
	v_add_co_u32_e32 v60, vcc, 0xffffffc3, v57
	v_addc_co_u32_e32 v61, vcc, -1, v58, vcc
	v_cmp_gt_i64_e32 vcc, s[12:13], v[60:61]
	s_and_b64 s[30:31], s[2:3], vcc
	s_and_saveexec_b64 s[8:9], s[30:31]
	s_cbranch_execz .LBB157_14
; %bb.13:                               ;   in Loop: Header=BB157_3 Depth=1
	v_add_co_u32_e32 v60, vcc, v46, v19
	v_addc_co_u32_e32 v61, vcc, v47, v20, vcc
	global_load_dword v5, v[60:61], off
	v_add_co_u32_e32 v60, vcc, v48, v19
	v_addc_co_u32_e32 v61, vcc, v50, v20, vcc
	global_load_dword v13, v[60:61], off
.LBB157_14:                             ;   in Loop: Header=BB157_3 Depth=1
	;; [unrolled: 15-line block ×7, first 2 shown]
	s_or_b64 exec, exec, s[8:9]
	s_waitcnt vmcnt(0)
	ds_bpermute_b32 v49, v55, v59
	ds_bpermute_b32 v60, v55, v59 offset:4
	v_mul_f32_e32 v3, v11, v3
	ds_bpermute_b32 v11, v55, v59 offset:8
	v_mul_f32_e32 v4, v12, v4
	s_waitcnt lgkmcnt(2)
	v_fma_f32 v49, v3, v49, v56
	s_waitcnt lgkmcnt(1)
	v_fmac_f32_e32 v49, v4, v60
	ds_bpermute_b32 v3, v55, v59 offset:12
	v_mul_f32_e32 v4, v13, v5
	s_waitcnt lgkmcnt(1)
	v_fmac_f32_e32 v49, v4, v11
	ds_bpermute_b32 v4, v55, v59 offset:16
	v_mul_f32_e32 v5, v14, v6
	s_waitcnt lgkmcnt(1)
	v_fmac_f32_e32 v49, v5, v3
	v_mul_f32_e32 v3, v15, v7
	ds_bpermute_b32 v5, v55, v59 offset:20
	s_waitcnt lgkmcnt(1)
	v_fmac_f32_e32 v49, v3, v4
	ds_bpermute_b32 v4, v55, v59 offset:24
	ds_bpermute_b32 v3, v55, v59 offset:28
	v_mul_f32_e32 v6, v16, v8
	s_waitcnt lgkmcnt(2)
	v_fmac_f32_e32 v49, v6, v5
	v_mul_f32_e32 v5, v17, v9
	s_waitcnt lgkmcnt(1)
	v_fmac_f32_e32 v49, v5, v4
	s_mov_b64 s[8:9], 0
.LBB157_25:                             ;   in Loop: Header=BB157_3 Depth=1
	s_and_b64 vcc, exec, s[8:9]
	s_cbranch_vccz .LBB157_40
; %bb.26:                               ;   in Loop: Header=BB157_3 Depth=1
	s_load_dword s8, s[22:23], 0x0
	v_mov_b32_e32 v49, 0
	s_waitcnt lgkmcnt(0)
	s_cmp_lt_u32 s6, s8
	s_cselect_b32 s8, 12, 18
	s_add_u32 s8, s22, s8
	s_addc_u32 s9, s23, 0
	global_load_ushort v3, v2, s[8:9]
	s_waitcnt vmcnt(0)
	v_mad_u32_u24 v3, v1, v3, v0
	v_and_b32_e32 v3, 63, v3
	v_cmp_gt_u32_e32 vcc, 8, v3
	s_and_saveexec_b64 s[8:9], vcc
	s_cbranch_execz .LBB157_30
; %bb.27:                               ;   in Loop: Header=BB157_3 Depth=1
	v_add_co_u32_e32 v3, vcc, v57, v3
	v_addc_co_u32_e32 v4, vcc, 0, v58, vcc
	v_add_co_u32_e32 v3, vcc, 0xffffffc1, v3
	v_addc_co_u32_e32 v4, vcc, -1, v4, vcc
	v_cmp_gt_i64_e32 vcc, s[12:13], v[3:4]
	v_mov_b32_e32 v49, 0
	s_and_saveexec_b64 s[30:31], vcc
	s_cbranch_execz .LBB157_29
; %bb.28:                               ;   in Loop: Header=BB157_3 Depth=1
	v_lshlrev_b64 v[3:4], 2, v[3:4]
	v_mov_b32_e32 v5, s11
	v_add_co_u32_e32 v3, vcc, s10, v3
	v_addc_co_u32_e32 v4, vcc, v5, v4, vcc
	global_load_dword v49, v[3:4], off
.LBB157_29:                             ;   in Loop: Header=BB157_3 Depth=1
	s_or_b64 exec, exec, s[30:31]
.LBB157_30:                             ;   in Loop: Header=BB157_3 Depth=1
	s_or_b64 exec, exec, s[8:9]
	v_mov_b32_e32 v9, v2
	v_mov_b32_e32 v3, v2
	;; [unrolled: 1-line block ×23, first 2 shown]
	s_and_saveexec_b64 s[8:9], s[2:3]
	s_cbranch_execnz .LBB157_42
; %bb.31:                               ;   in Loop: Header=BB157_3 Depth=1
	s_or_b64 exec, exec, s[8:9]
	s_and_saveexec_b64 s[8:9], s[2:3]
	s_cbranch_execnz .LBB157_43
.LBB157_32:                             ;   in Loop: Header=BB157_3 Depth=1
	s_or_b64 exec, exec, s[8:9]
	s_and_saveexec_b64 s[8:9], s[2:3]
	s_cbranch_execnz .LBB157_44
.LBB157_33:                             ;   in Loop: Header=BB157_3 Depth=1
	s_or_b64 exec, exec, s[8:9]
	s_and_saveexec_b64 s[8:9], s[2:3]
	s_cbranch_execnz .LBB157_45
.LBB157_34:                             ;   in Loop: Header=BB157_3 Depth=1
	s_or_b64 exec, exec, s[8:9]
	s_and_saveexec_b64 s[8:9], s[2:3]
	s_cbranch_execnz .LBB157_46
.LBB157_35:                             ;   in Loop: Header=BB157_3 Depth=1
	s_or_b64 exec, exec, s[8:9]
	s_and_saveexec_b64 s[8:9], s[2:3]
	s_cbranch_execnz .LBB157_47
.LBB157_36:                             ;   in Loop: Header=BB157_3 Depth=1
	s_or_b64 exec, exec, s[8:9]
	s_and_saveexec_b64 s[8:9], s[2:3]
	s_cbranch_execnz .LBB157_48
.LBB157_37:                             ;   in Loop: Header=BB157_3 Depth=1
	s_or_b64 exec, exec, s[8:9]
	s_and_saveexec_b64 s[8:9], s[2:3]
	s_cbranch_execz .LBB157_39
.LBB157_38:                             ;   in Loop: Header=BB157_3 Depth=1
	v_add_co_u32_e32 v57, vcc, v26, v19
	v_addc_co_u32_e32 v58, vcc, v27, v20, vcc
	global_load_dword v10, v[57:58], off
	v_add_co_u32_e32 v57, vcc, v28, v19
	v_addc_co_u32_e32 v58, vcc, v29, v20, vcc
	global_load_dword v18, v[57:58], off
.LBB157_39:                             ;   in Loop: Header=BB157_3 Depth=1
	s_or_b64 exec, exec, s[8:9]
	s_waitcnt vmcnt(0)
	ds_bpermute_b32 v57, v55, v49
	ds_bpermute_b32 v58, v55, v49 offset:4
	v_mul_f32_e32 v3, v11, v3
	ds_bpermute_b32 v11, v55, v49 offset:8
	v_mul_f32_e32 v4, v12, v4
	s_waitcnt lgkmcnt(2)
	v_fmac_f32_e32 v56, v3, v57
	s_waitcnt lgkmcnt(1)
	v_fmac_f32_e32 v56, v4, v58
	ds_bpermute_b32 v3, v55, v49 offset:12
	v_mul_f32_e32 v4, v13, v5
	s_waitcnt lgkmcnt(1)
	v_fmac_f32_e32 v56, v4, v11
	ds_bpermute_b32 v4, v55, v49 offset:16
	v_mul_f32_e32 v5, v14, v6
	s_waitcnt lgkmcnt(1)
	v_fmac_f32_e32 v56, v5, v3
	v_mul_f32_e32 v3, v15, v7
	ds_bpermute_b32 v5, v55, v49 offset:20
	s_waitcnt lgkmcnt(1)
	v_fmac_f32_e32 v56, v3, v4
	ds_bpermute_b32 v4, v55, v49 offset:24
	ds_bpermute_b32 v3, v55, v49 offset:28
	v_mul_f32_e32 v6, v16, v8
	s_waitcnt lgkmcnt(2)
	v_fmac_f32_e32 v56, v6, v5
	v_mul_f32_e32 v5, v17, v9
	s_waitcnt lgkmcnt(1)
	v_fmac_f32_e32 v56, v5, v4
	v_mov_b32_e32 v49, v56
.LBB157_40:                             ;   in Loop: Header=BB157_3 Depth=1
	v_mul_f32_e32 v4, v10, v18
	s_waitcnt lgkmcnt(0)
	v_fmac_f32_e32 v49, v4, v3
	v_mov_b32_e32 v3, s25
	v_add_co_u32_e32 v22, vcc, s24, v22
	v_addc_co_u32_e32 v23, vcc, v23, v3, vcc
	v_add_co_u32_e32 v24, vcc, s24, v24
	v_addc_co_u32_e32 v25, vcc, v25, v3, vcc
	;; [unrolled: 2-line block ×15, first 2 shown]
	v_add_co_u32_e32 v53, vcc, s24, v53
	s_add_u32 s28, s28, s7
	v_addc_co_u32_e32 v54, vcc, v54, v3, vcc
	v_mov_b32_e32 v3, s12
	s_addc_u32 s29, s29, 0
	v_mov_b32_e32 v4, s13
	v_cmp_lt_i64_e32 vcc, s[28:29], v[3:4]
	s_add_u32 s26, s26, s7
	s_addc_u32 s27, s27, 0
	s_cbranch_vccz .LBB157_50
; %bb.41:                               ;   in Loop: Header=BB157_3 Depth=1
	v_mov_b32_e32 v56, v49
	s_branch .LBB157_3
.LBB157_42:                             ;   in Loop: Header=BB157_3 Depth=1
	v_add_co_u32_e32 v3, vcc, v22, v19
	v_addc_co_u32_e32 v4, vcc, v23, v20, vcc
	global_load_dword v3, v[3:4], off
	v_add_co_u32_e32 v4, vcc, v24, v19
	v_addc_co_u32_e32 v5, vcc, v25, v20, vcc
	global_load_dword v11, v[4:5], off
	v_mov_b32_e32 v4, v2
	v_mov_b32_e32 v5, v2
	v_mov_b32_e32 v6, v2
	v_mov_b32_e32 v7, v2
	v_mov_b32_e32 v8, v2
	v_mov_b32_e32 v9, v2
	v_mov_b32_e32 v10, v2
	v_mov_b32_e32 v12, v2
	v_mov_b32_e32 v13, v2
	v_mov_b32_e32 v14, v2
	v_mov_b32_e32 v15, v2
	v_mov_b32_e32 v16, v2
	v_mov_b32_e32 v17, v2
	v_mov_b32_e32 v18, v2
	s_or_b64 exec, exec, s[8:9]
	s_and_saveexec_b64 s[8:9], s[2:3]
	s_cbranch_execz .LBB157_32
.LBB157_43:                             ;   in Loop: Header=BB157_3 Depth=1
	v_add_co_u32_e32 v57, vcc, v51, v19
	v_addc_co_u32_e32 v58, vcc, v52, v20, vcc
	global_load_dword v4, v[57:58], off
	v_add_co_u32_e32 v57, vcc, v53, v19
	v_addc_co_u32_e32 v58, vcc, v54, v20, vcc
	global_load_dword v12, v[57:58], off
	s_or_b64 exec, exec, s[8:9]
	s_and_saveexec_b64 s[8:9], s[2:3]
	s_cbranch_execz .LBB157_33
.LBB157_44:                             ;   in Loop: Header=BB157_3 Depth=1
	v_add_co_u32_e32 v57, vcc, v46, v19
	v_addc_co_u32_e32 v58, vcc, v47, v20, vcc
	global_load_dword v5, v[57:58], off
	v_add_co_u32_e32 v57, vcc, v48, v19
	v_addc_co_u32_e32 v58, vcc, v50, v20, vcc
	global_load_dword v13, v[57:58], off
	s_or_b64 exec, exec, s[8:9]
	s_and_saveexec_b64 s[8:9], s[2:3]
	s_cbranch_execz .LBB157_34
.LBB157_45:                             ;   in Loop: Header=BB157_3 Depth=1
	v_add_co_u32_e32 v57, vcc, v42, v19
	v_addc_co_u32_e32 v58, vcc, v43, v20, vcc
	global_load_dword v6, v[57:58], off
	v_add_co_u32_e32 v57, vcc, v44, v19
	v_addc_co_u32_e32 v58, vcc, v45, v20, vcc
	global_load_dword v14, v[57:58], off
	s_or_b64 exec, exec, s[8:9]
	s_and_saveexec_b64 s[8:9], s[2:3]
	s_cbranch_execz .LBB157_35
.LBB157_46:                             ;   in Loop: Header=BB157_3 Depth=1
	v_add_co_u32_e32 v57, vcc, v38, v19
	v_addc_co_u32_e32 v58, vcc, v39, v20, vcc
	global_load_dword v7, v[57:58], off
	v_add_co_u32_e32 v57, vcc, v40, v19
	v_addc_co_u32_e32 v58, vcc, v41, v20, vcc
	global_load_dword v15, v[57:58], off
	s_or_b64 exec, exec, s[8:9]
	s_and_saveexec_b64 s[8:9], s[2:3]
	s_cbranch_execz .LBB157_36
.LBB157_47:                             ;   in Loop: Header=BB157_3 Depth=1
	v_add_co_u32_e32 v57, vcc, v34, v19
	v_addc_co_u32_e32 v58, vcc, v35, v20, vcc
	global_load_dword v8, v[57:58], off
	v_add_co_u32_e32 v57, vcc, v36, v19
	v_addc_co_u32_e32 v58, vcc, v37, v20, vcc
	global_load_dword v16, v[57:58], off
	s_or_b64 exec, exec, s[8:9]
	s_and_saveexec_b64 s[8:9], s[2:3]
	s_cbranch_execz .LBB157_37
.LBB157_48:                             ;   in Loop: Header=BB157_3 Depth=1
	v_add_co_u32_e32 v57, vcc, v30, v19
	v_addc_co_u32_e32 v58, vcc, v31, v20, vcc
	global_load_dword v9, v[57:58], off
	v_add_co_u32_e32 v57, vcc, v32, v19
	v_addc_co_u32_e32 v58, vcc, v33, v20, vcc
	global_load_dword v17, v[57:58], off
	s_or_b64 exec, exec, s[8:9]
	s_and_saveexec_b64 s[8:9], s[2:3]
	s_cbranch_execnz .LBB157_38
	s_branch .LBB157_39
.LBB157_49:
                                        ; implicit-def: $vgpr49
	s_branch .LBB157_51
.LBB157_50:
	s_cbranch_execnz .LBB157_83
.LBB157_51:
	s_and_b64 vcc, exec, s[0:1]
	v_mov_b32_e32 v49, 0
	s_cbranch_vccnz .LBB157_83
; %bb.52:
	v_lshlrev_b32_e32 v50, 3, v1
	v_add_co_u32_e32 v8, vcc, s20, v50
	v_addc_co_u32_e64 v9, s[0:1], 0, 0, vcc
	s_load_dword s7, s[4:5], 0x44
	v_mul_lo_u32 v4, s15, v8
	v_mul_lo_u32 v5, s14, v9
	v_mad_u64_u32 v[2:3], s[0:1], s14, v8, 0
	s_add_u32 s2, s4, 64
	s_addc_u32 s3, s5, 0
	v_add3_u32 v3, v3, v5, v4
	s_waitcnt lgkmcnt(0)
	s_lshl_b32 s7, s7, 6
	v_lshlrev_b64 v[4:5], 2, v[2:3]
	s_mul_i32 s0, s15, s7
	s_mul_hi_u32 s1, s14, s7
	v_mov_b32_e32 v6, s17
	v_add_co_u32_e32 v51, vcc, s16, v4
	s_add_i32 s1, s1, s0
	s_mul_i32 s0, s14, s7
	v_addc_co_u32_e32 v52, vcc, v6, v5, vcc
	s_lshl_b64 s[8:9], s[0:1], 2
	v_mov_b32_e32 v6, s19
	v_add_co_u32_e32 v53, vcc, s18, v4
	s_add_u32 s22, s20, 63
	v_addc_co_u32_e32 v54, vcc, v6, v5, vcc
	s_addc_u32 s23, 0, 0
	v_lshlrev_b32_e32 v4, 5, v1
	s_lshl_b64 s[0:1], s[20:21], 2
	v_mov_b32_e32 v5, s1
	v_add_co_u32_e32 v10, vcc, s0, v4
	v_addc_co_u32_e32 v11, vcc, 0, v5, vcc
	v_add_co_u32_e32 v12, vcc, 4, v10
	v_addc_co_u32_e32 v6, vcc, 0, v11, vcc
	v_mov_b32_e32 v4, s16
	v_mul_lo_u32 v14, s14, v6
	v_mov_b32_e32 v6, s18
	v_mov_b32_e32 v5, s17
	;; [unrolled: 1-line block ×3, first 2 shown]
	v_mad_u64_u32 v[19:20], s[0:1], s14, v12, v[4:5]
	v_mul_lo_u32 v15, s15, v12
	v_mad_u64_u32 v[21:22], s[0:1], s14, v12, v[6:7]
	v_add_co_u32_e32 v12, vcc, 8, v10
	v_addc_co_u32_e32 v16, vcc, 0, v11, vcc
	v_mov_b32_e32 v13, s15
	v_add_co_u32_e32 v2, vcc, s14, v2
	v_addc_co_u32_e32 v3, vcc, v3, v13, vcc
	v_mul_lo_u32 v17, s15, v12
	v_mad_u64_u32 v[23:24], s[0:1], s14, v12, v[4:5]
	v_mad_u64_u32 v[25:26], s[0:1], s14, v12, v[6:7]
	v_add_co_u32_e32 v12, vcc, 12, v10
	v_addc_co_u32_e32 v13, vcc, 0, v11, vcc
	v_add3_u32 v20, v15, v20, v14
	v_add3_u32 v22, v15, v22, v14
	v_mul_lo_u32 v13, s14, v13
	v_mul_lo_u32 v14, s15, v12
	v_mad_u64_u32 v[27:28], s[0:1], s14, v12, v[4:5]
	v_mad_u64_u32 v[29:30], s[0:1], s14, v12, v[6:7]
	v_add_co_u32_e32 v12, vcc, 16, v10
	v_mul_lo_u32 v16, s14, v16
	v_addc_co_u32_e32 v15, vcc, 0, v11, vcc
	v_mul_lo_u32 v18, s15, v12
	v_mad_u64_u32 v[31:32], s[0:1], s14, v12, v[4:5]
	v_mad_u64_u32 v[33:34], s[0:1], s14, v12, v[6:7]
	v_add_co_u32_e32 v12, vcc, 20, v10
	v_add3_u32 v28, v14, v28, v13
	v_add3_u32 v30, v14, v30, v13
	v_addc_co_u32_e32 v13, vcc, 0, v11, vcc
	v_mul_lo_u32 v14, s15, v12
	v_mad_u64_u32 v[35:36], s[0:1], s14, v12, v[4:5]
	v_mad_u64_u32 v[37:38], s[0:1], s14, v12, v[6:7]
	v_add_co_u32_e32 v12, vcc, 24, v10
	v_add3_u32 v24, v17, v24, v16
	v_add3_u32 v26, v17, v26, v16
	v_addc_co_u32_e32 v16, vcc, 0, v11, vcc
	v_add_co_u32_e32 v10, vcc, 28, v10
	v_addc_co_u32_e32 v11, vcc, 0, v11, vcc
	v_mad_u64_u32 v[39:40], s[0:1], s14, v12, v[4:5]
	v_mad_u64_u32 v[43:44], s[0:1], s14, v10, v[4:5]
	v_add_co_u32_e32 v4, vcc, 7, v8
	v_addc_co_u32_e32 v5, vcc, 0, v9, vcc
	v_mad_u64_u32 v[41:42], s[0:1], s14, v12, v[6:7]
	v_mad_u64_u32 v[45:46], s[0:1], s14, v10, v[6:7]
	v_mul_lo_u32 v6, s15, v10
	v_mul_lo_u32 v7, s14, v5
	;; [unrolled: 1-line block ×3, first 2 shown]
	v_mad_u64_u32 v[4:5], s[0:1], s14, v4, 0
	v_mul_lo_u32 v11, s14, v11
	v_mul_lo_u32 v17, s15, v12
	v_add3_u32 v5, v5, v7, v10
	v_lshlrev_b64 v[4:5], 2, v[4:5]
	v_add3_u32 v44, v6, v44, v11
	v_add3_u32 v46, v6, v46, v11
	v_mov_b32_e32 v6, s17
	v_add_co_u32_e32 v55, vcc, s16, v4
	v_addc_co_u32_e32 v56, vcc, v6, v5, vcc
	v_add_co_u32_e32 v6, vcc, 6, v8
	v_addc_co_u32_e32 v7, vcc, 0, v9, vcc
	v_mul_lo_u32 v11, s14, v7
	v_mul_lo_u32 v12, s15, v6
	v_mad_u64_u32 v[6:7], s[0:1], s14, v6, 0
	v_mov_b32_e32 v10, s19
	v_add_co_u32_e32 v57, vcc, s18, v4
	v_add3_u32 v7, v7, v11, v12
	v_addc_co_u32_e32 v58, vcc, v10, v5, vcc
	v_lshlrev_b64 v[4:5], 2, v[6:7]
	v_mov_b32_e32 v6, s17
	v_add_co_u32_e32 v59, vcc, s16, v4
	v_addc_co_u32_e32 v60, vcc, v6, v5, vcc
	v_add_co_u32_e32 v6, vcc, 5, v8
	v_addc_co_u32_e32 v7, vcc, 0, v9, vcc
	v_mul_lo_u32 v11, s14, v7
	v_mul_lo_u32 v12, s15, v6
	v_mad_u64_u32 v[6:7], s[0:1], s14, v6, 0
	v_add_co_u32_e32 v61, vcc, s18, v4
	v_add3_u32 v7, v7, v11, v12
	v_addc_co_u32_e32 v62, vcc, v10, v5, vcc
	v_lshlrev_b64 v[4:5], 2, v[6:7]
	v_mov_b32_e32 v6, s17
	v_add_co_u32_e32 v63, vcc, s16, v4
	v_addc_co_u32_e32 v64, vcc, v6, v5, vcc
	v_add_co_u32_e32 v6, vcc, 4, v8
	v_addc_co_u32_e32 v7, vcc, 0, v9, vcc
	v_mul_lo_u32 v11, s14, v7
	v_mul_lo_u32 v12, s15, v6
	v_mad_u64_u32 v[6:7], s[0:1], s14, v6, 0
	v_add_co_u32_e32 v65, vcc, s18, v4
	v_add3_u32 v7, v7, v11, v12
	v_addc_co_u32_e32 v66, vcc, v10, v5, vcc
	v_lshlrev_b64 v[4:5], 2, v[6:7]
	v_mov_b32_e32 v6, s17
	v_add_co_u32_e32 v67, vcc, s16, v4
	v_addc_co_u32_e32 v68, vcc, v6, v5, vcc
	v_add_co_u32_e32 v6, vcc, 3, v8
	v_addc_co_u32_e32 v7, vcc, 0, v9, vcc
	v_mul_lo_u32 v11, s14, v7
	v_mul_lo_u32 v12, s15, v6
	v_mad_u64_u32 v[6:7], s[0:1], s14, v6, 0
	v_add_co_u32_e32 v69, vcc, s18, v4
	v_add3_u32 v7, v7, v11, v12
	v_addc_co_u32_e32 v70, vcc, v10, v5, vcc
	v_lshlrev_b64 v[4:5], 2, v[6:7]
	v_mov_b32_e32 v6, s17
	v_add_co_u32_e32 v71, vcc, s16, v4
	v_addc_co_u32_e32 v72, vcc, v6, v5, vcc
	v_add_co_u32_e32 v6, vcc, 2, v8
	v_addc_co_u32_e32 v7, vcc, 0, v9, vcc
	v_mul_lo_u32 v8, s14, v7
	v_mul_lo_u32 v9, s15, v6
	v_mad_u64_u32 v[6:7], s[0:1], s14, v6, 0
	v_add_co_u32_e32 v73, vcc, s18, v4
	v_add3_u32 v7, v7, v8, v9
	v_addc_co_u32_e32 v74, vcc, v10, v5, vcc
	v_lshlrev_b64 v[4:5], 2, v[6:7]
	v_mov_b32_e32 v6, s17
	v_add_co_u32_e32 v75, vcc, s16, v4
	v_addc_co_u32_e32 v76, vcc, v6, v5, vcc
	v_mov_b32_e32 v6, s19
	v_add_co_u32_e32 v77, vcc, s18, v4
	v_lshlrev_b64 v[2:3], 2, v[2:3]
	v_addc_co_u32_e32 v78, vcc, v6, v5, vcc
	v_mov_b32_e32 v4, s17
	v_add_co_u32_e32 v79, vcc, s16, v2
	v_addc_co_u32_e32 v80, vcc, v4, v3, vcc
	v_mov_b32_e32 v4, s19
	v_add_co_u32_e32 v81, vcc, s18, v2
	v_mov_b32_e32 v2, 0
	v_mul_lo_u32 v15, s14, v15
	v_mul_lo_u32 v13, s14, v13
	;; [unrolled: 1-line block ×3, first 2 shown]
	v_addc_co_u32_e32 v82, vcc, v4, v3, vcc
	v_add_u32_e32 v3, s33, v0
	v_mov_b32_e32 v4, v2
	v_lshlrev_b64 v[47:48], 2, v[3:4]
	v_mbcnt_lo_u32_b32 v3, -1, 0
	v_mbcnt_hi_u32_b32 v3, -1, v3
	v_lshlrev_b32_e32 v3, 2, v3
	v_add3_u32 v32, v18, v32, v15
	v_add3_u32 v34, v18, v34, v15
	;; [unrolled: 1-line block ×6, first 2 shown]
	v_and_b32_e32 v83, 0x100, v3
	v_mov_b32_e32 v84, 0
.LBB157_53:                             ; =>This Inner Loop Header: Depth=1
	v_mov_b32_e32 v3, s12
	v_mov_b32_e32 v4, s13
	v_cmp_ge_i64_e32 vcc, s[22:23], v[3:4]
	v_mov_b32_e32 v3, s23
	v_add_co_u32_e64 v85, s[0:1], s22, v50
	v_addc_co_u32_e64 v86, s[0:1], 0, v3, s[0:1]
	s_mov_b64 s[0:1], -1
                                        ; implicit-def: $vgpr49
	s_cbranch_vccz .LBB157_75
; %bb.54:                               ;   in Loop: Header=BB157_53 Depth=1
	s_load_dword s0, s[2:3], 0xc
	v_mov_b32_e32 v87, 0
	s_waitcnt lgkmcnt(0)
	s_and_b32 s0, s0, 0xffff
	v_mad_u32_u24 v3, v1, s0, v0
	v_and_b32_e32 v3, 63, v3
	v_cmp_gt_u32_e32 vcc, 8, v3
	s_and_saveexec_b64 s[0:1], vcc
	s_cbranch_execz .LBB157_58
; %bb.55:                               ;   in Loop: Header=BB157_53 Depth=1
	v_add_co_u32_e32 v3, vcc, v85, v3
	v_addc_co_u32_e32 v4, vcc, 0, v86, vcc
	v_add_co_u32_e32 v3, vcc, 0xffffffc1, v3
	v_addc_co_u32_e32 v4, vcc, -1, v4, vcc
	v_cmp_gt_i64_e32 vcc, s[12:13], v[3:4]
	v_mov_b32_e32 v87, 0
	s_and_saveexec_b64 s[16:17], vcc
	s_cbranch_execz .LBB157_57
; %bb.56:                               ;   in Loop: Header=BB157_53 Depth=1
	v_lshlrev_b64 v[3:4], 2, v[3:4]
	v_mov_b32_e32 v5, s11
	v_add_co_u32_e32 v3, vcc, s10, v3
	v_addc_co_u32_e32 v4, vcc, v5, v4, vcc
	global_load_dword v87, v[3:4], off
.LBB157_57:                             ;   in Loop: Header=BB157_53 Depth=1
	s_or_b64 exec, exec, s[16:17]
.LBB157_58:                             ;   in Loop: Header=BB157_53 Depth=1
	s_or_b64 exec, exec, s[0:1]
	v_add_co_u32_e32 v3, vcc, 0xffffffc1, v85
	v_addc_co_u32_e32 v4, vcc, -1, v86, vcc
	v_mov_b32_e32 v9, v2
	v_cmp_gt_i64_e32 vcc, s[12:13], v[3:4]
	v_mov_b32_e32 v3, v2
	v_mov_b32_e32 v4, v2
	v_mov_b32_e32 v5, v2
	v_mov_b32_e32 v6, v2
	v_mov_b32_e32 v7, v2
	v_mov_b32_e32 v8, v2
	v_mov_b32_e32 v18, v9
	v_mov_b32_e32 v17, v8
	v_mov_b32_e32 v16, v7
	v_mov_b32_e32 v15, v6
	v_mov_b32_e32 v14, v5
	v_mov_b32_e32 v13, v4
	v_mov_b32_e32 v12, v3
	v_mov_b32_e32 v11, v2
	v_mov_b32_e32 v10, v9
	v_mov_b32_e32 v9, v8
	v_mov_b32_e32 v8, v7
	v_mov_b32_e32 v7, v6
	v_mov_b32_e32 v6, v5
	v_mov_b32_e32 v5, v4
	v_mov_b32_e32 v4, v3
	v_mov_b32_e32 v3, v2
	s_and_saveexec_b64 s[0:1], vcc
	s_cbranch_execz .LBB157_60
; %bb.59:                               ;   in Loop: Header=BB157_53 Depth=1
	v_add_co_u32_e32 v3, vcc, v51, v47
	v_addc_co_u32_e32 v4, vcc, v52, v48, vcc
	global_load_dword v3, v[3:4], off
	v_add_co_u32_e32 v4, vcc, v53, v47
	v_addc_co_u32_e32 v5, vcc, v54, v48, vcc
	global_load_dword v11, v[4:5], off
	v_mov_b32_e32 v4, v2
	v_mov_b32_e32 v5, v2
	;; [unrolled: 1-line block ×14, first 2 shown]
.LBB157_60:                             ;   in Loop: Header=BB157_53 Depth=1
	s_or_b64 exec, exec, s[0:1]
	v_add_co_u32_e32 v88, vcc, 0xffffffc2, v85
	v_addc_co_u32_e32 v89, vcc, -1, v86, vcc
	v_cmp_gt_i64_e32 vcc, s[12:13], v[88:89]
	s_and_saveexec_b64 s[0:1], vcc
	s_cbranch_execz .LBB157_62
; %bb.61:                               ;   in Loop: Header=BB157_53 Depth=1
	v_add_co_u32_e32 v88, vcc, v79, v47
	v_addc_co_u32_e32 v89, vcc, v80, v48, vcc
	global_load_dword v4, v[88:89], off
	v_add_co_u32_e32 v88, vcc, v81, v47
	v_addc_co_u32_e32 v89, vcc, v82, v48, vcc
	global_load_dword v12, v[88:89], off
.LBB157_62:                             ;   in Loop: Header=BB157_53 Depth=1
	s_or_b64 exec, exec, s[0:1]
	v_add_co_u32_e32 v88, vcc, 0xffffffc3, v85
	v_addc_co_u32_e32 v89, vcc, -1, v86, vcc
	v_cmp_gt_i64_e32 vcc, s[12:13], v[88:89]
	s_and_saveexec_b64 s[0:1], vcc
	s_cbranch_execz .LBB157_64
; %bb.63:                               ;   in Loop: Header=BB157_53 Depth=1
	v_add_co_u32_e32 v88, vcc, v75, v47
	v_addc_co_u32_e32 v89, vcc, v76, v48, vcc
	global_load_dword v5, v[88:89], off
	v_add_co_u32_e32 v88, vcc, v77, v47
	v_addc_co_u32_e32 v89, vcc, v78, v48, vcc
	global_load_dword v13, v[88:89], off
.LBB157_64:                             ;   in Loop: Header=BB157_53 Depth=1
	;; [unrolled: 14-line block ×7, first 2 shown]
	s_or_b64 exec, exec, s[0:1]
	s_waitcnt vmcnt(0)
	ds_bpermute_b32 v49, v83, v87
	ds_bpermute_b32 v88, v83, v87 offset:4
	v_mul_f32_e32 v3, v11, v3
	ds_bpermute_b32 v11, v83, v87 offset:8
	v_mul_f32_e32 v4, v12, v4
	s_waitcnt lgkmcnt(2)
	v_fma_f32 v49, v3, v49, v84
	s_waitcnt lgkmcnt(1)
	v_fmac_f32_e32 v49, v4, v88
	ds_bpermute_b32 v3, v83, v87 offset:12
	v_mul_f32_e32 v4, v13, v5
	s_waitcnt lgkmcnt(1)
	v_fmac_f32_e32 v49, v4, v11
	ds_bpermute_b32 v4, v83, v87 offset:16
	v_mul_f32_e32 v5, v14, v6
	s_waitcnt lgkmcnt(1)
	v_fmac_f32_e32 v49, v5, v3
	v_mul_f32_e32 v3, v15, v7
	ds_bpermute_b32 v5, v83, v87 offset:20
	s_waitcnt lgkmcnt(1)
	v_fmac_f32_e32 v49, v3, v4
	ds_bpermute_b32 v3, v83, v87 offset:24
	ds_bpermute_b32 v6, v83, v87 offset:28
	v_mul_f32_e32 v4, v16, v8
	s_waitcnt lgkmcnt(2)
	v_fmac_f32_e32 v49, v4, v5
	v_mul_f32_e32 v4, v17, v9
	s_waitcnt lgkmcnt(1)
	v_fmac_f32_e32 v49, v4, v3
	;; [unrolled: 3-line block ×3, first 2 shown]
	s_mov_b64 s[0:1], 0
.LBB157_75:                             ;   in Loop: Header=BB157_53 Depth=1
	s_and_b64 vcc, exec, s[0:1]
	s_cbranch_vccz .LBB157_81
; %bb.76:                               ;   in Loop: Header=BB157_53 Depth=1
	s_load_dword s0, s[2:3], 0x0
	v_mov_b32_e32 v5, 0
	s_waitcnt lgkmcnt(0)
	s_cmp_lt_u32 s6, s0
	s_cselect_b32 s0, 12, 18
	s_add_u32 s0, s2, s0
	s_addc_u32 s1, s3, 0
	global_load_ushort v3, v2, s[0:1]
	s_waitcnt vmcnt(0)
	v_mad_u32_u24 v3, v1, v3, v0
	v_and_b32_e32 v3, 63, v3
	v_cmp_gt_u32_e32 vcc, 8, v3
	s_and_saveexec_b64 s[0:1], vcc
	s_cbranch_execz .LBB157_80
; %bb.77:                               ;   in Loop: Header=BB157_53 Depth=1
	v_add_co_u32_e32 v3, vcc, v85, v3
	v_addc_co_u32_e32 v4, vcc, 0, v86, vcc
	v_add_co_u32_e32 v3, vcc, 0xffffffc1, v3
	v_addc_co_u32_e32 v4, vcc, -1, v4, vcc
	v_cmp_gt_i64_e32 vcc, s[12:13], v[3:4]
	v_mov_b32_e32 v5, 0
	s_and_saveexec_b64 s[16:17], vcc
	s_cbranch_execz .LBB157_79
; %bb.78:                               ;   in Loop: Header=BB157_53 Depth=1
	v_lshlrev_b64 v[3:4], 2, v[3:4]
	v_mov_b32_e32 v5, s11
	v_add_co_u32_e32 v3, vcc, s10, v3
	v_addc_co_u32_e32 v4, vcc, v5, v4, vcc
	global_load_dword v5, v[3:4], off
.LBB157_79:                             ;   in Loop: Header=BB157_53 Depth=1
	s_or_b64 exec, exec, s[16:17]
.LBB157_80:                             ;   in Loop: Header=BB157_53 Depth=1
	s_or_b64 exec, exec, s[0:1]
	v_add_co_u32_e32 v3, vcc, v51, v47
	v_addc_co_u32_e32 v4, vcc, v52, v48, vcc
	global_load_dword v6, v[3:4], off
	v_add_co_u32_e32 v3, vcc, v53, v47
	v_addc_co_u32_e32 v4, vcc, v54, v48, vcc
	global_load_dword v7, v[3:4], off
	;; [unrolled: 3-line block ×16, first 2 shown]
	s_waitcnt vmcnt(16)
	ds_bpermute_b32 v4, v83, v5
	ds_bpermute_b32 v86, v83, v5 offset:4
	s_waitcnt vmcnt(14)
	v_mul_f32_e32 v6, v6, v7
	s_waitcnt lgkmcnt(1)
	v_fmac_f32_e32 v84, v6, v4
	ds_bpermute_b32 v4, v83, v5 offset:8
	s_waitcnt vmcnt(12)
	v_mul_f32_e32 v6, v8, v9
	s_waitcnt lgkmcnt(1)
	v_fmac_f32_e32 v84, v6, v86
	;; [unrolled: 5-line block ×5, first 2 shown]
	ds_bpermute_b32 v4, v83, v5 offset:24
	ds_bpermute_b32 v5, v83, v5 offset:28
	s_waitcnt vmcnt(4)
	v_mul_f32_e32 v6, v16, v17
	s_waitcnt lgkmcnt(2)
	v_fmac_f32_e32 v84, v6, v7
	s_waitcnt vmcnt(2)
	v_mul_f32_e32 v6, v18, v49
	s_waitcnt lgkmcnt(1)
	v_fmac_f32_e32 v84, v6, v4
	;; [unrolled: 4-line block ×3, first 2 shown]
	v_mov_b32_e32 v49, v84
.LBB157_81:                             ;   in Loop: Header=BB157_53 Depth=1
	v_mov_b32_e32 v5, s9
	v_add_co_u32_e32 v51, vcc, s8, v51
	v_addc_co_u32_e32 v52, vcc, v52, v5, vcc
	v_add_co_u32_e32 v53, vcc, s8, v53
	v_addc_co_u32_e32 v54, vcc, v54, v5, vcc
	v_add_co_u32_e32 v19, vcc, s8, v19
	v_addc_co_u32_e32 v20, vcc, v20, v5, vcc
	v_add_co_u32_e32 v23, vcc, s8, v23
	v_addc_co_u32_e32 v24, vcc, v24, v5, vcc
	v_add_co_u32_e32 v27, vcc, s8, v27
	v_addc_co_u32_e32 v28, vcc, v28, v5, vcc
	v_add_co_u32_e32 v31, vcc, s8, v31
	v_addc_co_u32_e32 v32, vcc, v32, v5, vcc
	v_add_co_u32_e32 v35, vcc, s8, v35
	v_addc_co_u32_e32 v36, vcc, v36, v5, vcc
	v_add_co_u32_e32 v39, vcc, s8, v39
	v_addc_co_u32_e32 v40, vcc, v40, v5, vcc
	v_add_co_u32_e32 v43, vcc, s8, v43
	v_addc_co_u32_e32 v44, vcc, v44, v5, vcc
	v_add_co_u32_e32 v21, vcc, s8, v21
	v_addc_co_u32_e32 v22, vcc, v22, v5, vcc
	v_add_co_u32_e32 v25, vcc, s8, v25
	v_addc_co_u32_e32 v26, vcc, v26, v5, vcc
	v_add_co_u32_e32 v29, vcc, s8, v29
	v_addc_co_u32_e32 v30, vcc, v30, v5, vcc
	v_add_co_u32_e32 v33, vcc, s8, v33
	v_addc_co_u32_e32 v34, vcc, v34, v5, vcc
	v_add_co_u32_e32 v37, vcc, s8, v37
	v_addc_co_u32_e32 v38, vcc, v38, v5, vcc
	v_add_co_u32_e32 v41, vcc, s8, v41
	v_addc_co_u32_e32 v42, vcc, v42, v5, vcc
	v_add_co_u32_e32 v45, vcc, s8, v45
	v_addc_co_u32_e32 v46, vcc, v46, v5, vcc
	v_add_co_u32_e32 v55, vcc, s8, v55
	v_addc_co_u32_e32 v56, vcc, v56, v5, vcc
	v_add_co_u32_e32 v57, vcc, s8, v57
	v_addc_co_u32_e32 v58, vcc, v58, v5, vcc
	v_add_co_u32_e32 v59, vcc, s8, v59
	v_addc_co_u32_e32 v60, vcc, v60, v5, vcc
	v_add_co_u32_e32 v61, vcc, s8, v61
	v_addc_co_u32_e32 v62, vcc, v62, v5, vcc
	v_add_co_u32_e32 v63, vcc, s8, v63
	v_addc_co_u32_e32 v64, vcc, v64, v5, vcc
	v_add_co_u32_e32 v65, vcc, s8, v65
	v_addc_co_u32_e32 v66, vcc, v66, v5, vcc
	v_add_co_u32_e32 v67, vcc, s8, v67
	v_addc_co_u32_e32 v68, vcc, v68, v5, vcc
	v_add_co_u32_e32 v69, vcc, s8, v69
	v_addc_co_u32_e32 v70, vcc, v70, v5, vcc
	v_add_co_u32_e32 v71, vcc, s8, v71
	v_addc_co_u32_e32 v72, vcc, v72, v5, vcc
	v_add_co_u32_e32 v73, vcc, s8, v73
	v_addc_co_u32_e32 v74, vcc, v74, v5, vcc
	v_add_co_u32_e32 v75, vcc, s8, v75
	v_addc_co_u32_e32 v76, vcc, v76, v5, vcc
	v_add_co_u32_e32 v77, vcc, s8, v77
	v_addc_co_u32_e32 v78, vcc, v78, v5, vcc
	s_add_u32 s20, s20, s7
	v_add_co_u32_e32 v79, vcc, s8, v79
	v_mov_b32_e32 v3, s12
	s_addc_u32 s21, s21, 0
	v_addc_co_u32_e32 v80, vcc, v80, v5, vcc
	v_mov_b32_e32 v4, s13
	v_cmp_ge_i64_e32 vcc, s[20:21], v[3:4]
	s_add_u32 s22, s22, s7
	v_add_co_u32_e64 v81, s[0:1], s8, v81
	s_addc_u32 s23, s23, 0
	v_addc_co_u32_e64 v82, s[0:1], v82, v5, s[0:1]
	s_cbranch_vccnz .LBB157_83
; %bb.82:                               ;   in Loop: Header=BB157_53 Depth=1
	v_mov_b32_e32 v84, v49
	s_branch .LBB157_53
.LBB157_83:
	v_mad_u32_u24 v2, v1, 33, v0
	v_lshl_add_u32 v3, v2, 2, 0
	v_mov_b32_e32 v4, 0
	ds_write_b32 v3, v4 offset:1056
	v_sub_u32_e32 v4, v2, v1
	s_movk_i32 s0, 0x800
	v_cmp_gt_u32_e32 vcc, s0, v4
	ds_write_b32 v3, v49
	s_waitcnt lgkmcnt(0)
	s_barrier
	s_and_saveexec_b64 s[0:1], vcc
	s_cbranch_execz .LBB157_123
; %bb.84:
	s_load_dwordx2 s[4:5], s[4:5], 0x30
	v_and_b32_e32 v1, 63, v4
	v_lshrrev_b32_e32 v2, 6, v4
	v_cmp_gt_u32_e32 vcc, 8, v1
	v_mul_u32_u24_e32 v3, 33, v1
                                        ; implicit-def: $vgpr1
	s_and_saveexec_b64 s[0:1], vcc
; %bb.85:
	v_lshlrev_b32_e32 v1, 2, v2
	v_lshlrev_b32_e32 v5, 2, v3
	v_add3_u32 v1, 0, v1, v5
	ds_read_b32 v1, v1
; %bb.86:
	s_or_b64 exec, exec, s[0:1]
	v_mbcnt_lo_u32_b32 v5, -1, 0
	v_mbcnt_hi_u32_b32 v7, -1, v5
	v_and_b32_e32 v5, 64, v7
	v_add_u32_e32 v8, 64, v5
	v_xor_b32_e32 v5, 4, v7
	v_cmp_lt_i32_e64 s[0:1], v5, v8
	v_cndmask_b32_e64 v5, v7, v5, s[0:1]
	v_lshlrev_b32_e32 v5, 2, v5
	s_waitcnt lgkmcnt(0)
	ds_bpermute_b32 v6, v5, v1
	v_xor_b32_e32 v9, 2, v7
	v_cmp_lt_i32_e64 s[0:1], v9, v8
	s_mov_b32 s7, 0
	s_lshl_b64 s[6:7], s[6:7], 5
	s_waitcnt lgkmcnt(0)
	v_add_f32_e32 v1, v1, v6
	v_cndmask_b32_e64 v6, v7, v9, s[0:1]
	v_lshlrev_b32_e32 v6, 2, v6
	ds_bpermute_b32 v9, v6, v1
	v_cmp_ne_u32_e64 s[0:1], 0, v0
	v_xor_b32_e32 v0, 1, v7
	v_cmp_lt_i32_e64 s[2:3], v0, v8
	v_cndmask_b32_e64 v0, v7, v0, s[2:3]
	s_waitcnt lgkmcnt(0)
	v_add_f32_e32 v9, v1, v9
	v_lshlrev_b32_e32 v7, 2, v0
	ds_bpermute_b32 v8, v7, v9
	v_or_b32_e32 v0, s6, v2
	v_mov_b32_e32 v1, s7
	v_cmp_le_i64_e64 s[2:3], s[14:15], v[0:1]
	s_cmp_eq_u64 s[4:5], 0
	s_cselect_b64 s[8:9], -1, 0
	s_or_b64 s[2:3], s[0:1], s[2:3]
	s_waitcnt lgkmcnt(0)
	v_add_f32_e32 v8, v9, v8
	s_nor_b64 s[2:3], s[8:9], s[2:3]
	s_and_saveexec_b64 s[10:11], s[2:3]
	s_cbranch_execz .LBB157_88
; %bb.87:
	v_lshlrev_b64 v[0:1], 2, v[0:1]
	v_mov_b32_e32 v9, s5
	v_add_co_u32_e64 v0, s[2:3], s4, v0
	v_addc_co_u32_e64 v1, s[2:3], v9, v1, s[2:3]
	global_store_dword v[0:1], v8, off
.LBB157_88:
	s_or_b64 exec, exec, s[10:11]
	s_movk_i32 s2, 0x700
	v_cmp_gt_u32_e64 s[2:3], s2, v4
	s_and_b64 exec, exec, s[2:3]
	s_cbranch_execz .LBB157_123
; %bb.89:
	s_and_saveexec_b64 s[2:3], vcc
; %bb.90:
	v_lshlrev_b32_e32 v0, 2, v2
	v_lshlrev_b32_e32 v1, 2, v3
	v_add3_u32 v0, 0, v0, v1
	ds_read_b32 v8, v0 offset:16
; %bb.91:
	s_or_b64 exec, exec, s[2:3]
	s_waitcnt lgkmcnt(0)
	ds_bpermute_b32 v0, v5, v8
	v_mov_b32_e32 v9, s7
	s_waitcnt lgkmcnt(0)
	v_add_f32_e32 v0, v8, v0
	ds_bpermute_b32 v1, v6, v0
	v_add_u32_e32 v8, 4, v2
	s_waitcnt lgkmcnt(0)
	v_add_f32_e32 v10, v0, v1
	ds_bpermute_b32 v11, v7, v10
	v_add_co_u32_e64 v0, s[2:3], s6, v8
	v_addc_co_u32_e64 v1, s[2:3], 0, v9, s[2:3]
	v_cmp_le_i64_e64 s[2:3], s[14:15], v[0:1]
	s_waitcnt lgkmcnt(0)
	v_add_f32_e32 v0, v10, v11
	s_or_b64 s[2:3], s[0:1], s[2:3]
	s_nor_b64 s[2:3], s[8:9], s[2:3]
	s_and_saveexec_b64 s[10:11], s[2:3]
	s_cbranch_execz .LBB157_93
; %bb.92:
	v_mov_b32_e32 v1, s7
	v_add_co_u32_e64 v8, s[2:3], s6, v2
	v_addc_co_u32_e64 v9, s[2:3], 0, v1, s[2:3]
	v_lshlrev_b64 v[8:9], 2, v[8:9]
	v_mov_b32_e32 v1, s5
	v_add_co_u32_e64 v8, s[2:3], s4, v8
	v_addc_co_u32_e64 v9, s[2:3], v1, v9, s[2:3]
	global_store_dword v[8:9], v0, off offset:16
.LBB157_93:
	s_or_b64 exec, exec, s[10:11]
	s_movk_i32 s2, 0x600
	v_cmp_gt_u32_e64 s[2:3], s2, v4
	s_and_b64 exec, exec, s[2:3]
	s_cbranch_execz .LBB157_123
; %bb.94:
	s_and_saveexec_b64 s[2:3], vcc
; %bb.95:
	v_lshlrev_b32_e32 v0, 2, v2
	v_lshlrev_b32_e32 v1, 2, v3
	v_add3_u32 v0, 0, v0, v1
	ds_read_b32 v0, v0 offset:32
; %bb.96:
	s_or_b64 exec, exec, s[2:3]
	s_waitcnt lgkmcnt(0)
	ds_bpermute_b32 v1, v5, v0
	v_add_u32_e32 v8, 8, v2
	v_mov_b32_e32 v9, s7
	s_waitcnt lgkmcnt(0)
	v_add_f32_e32 v0, v0, v1
	ds_bpermute_b32 v1, v6, v0
	s_waitcnt lgkmcnt(0)
	v_add_f32_e32 v10, v0, v1
	ds_bpermute_b32 v11, v7, v10
	v_add_co_u32_e64 v0, s[2:3], s6, v8
	v_addc_co_u32_e64 v1, s[2:3], 0, v9, s[2:3]
	v_cmp_le_i64_e64 s[2:3], s[14:15], v[0:1]
	s_waitcnt lgkmcnt(0)
	v_add_f32_e32 v0, v10, v11
	s_or_b64 s[2:3], s[0:1], s[2:3]
	s_nor_b64 s[2:3], s[8:9], s[2:3]
	s_and_saveexec_b64 s[10:11], s[2:3]
	s_cbranch_execz .LBB157_98
; %bb.97:
	v_mov_b32_e32 v1, s7
	v_add_co_u32_e64 v8, s[2:3], s6, v2
	v_addc_co_u32_e64 v9, s[2:3], 0, v1, s[2:3]
	v_lshlrev_b64 v[8:9], 2, v[8:9]
	v_mov_b32_e32 v1, s5
	v_add_co_u32_e64 v8, s[2:3], s4, v8
	v_addc_co_u32_e64 v9, s[2:3], v1, v9, s[2:3]
	global_store_dword v[8:9], v0, off offset:32
.LBB157_98:
	s_or_b64 exec, exec, s[10:11]
	s_movk_i32 s2, 0x500
	v_cmp_gt_u32_e64 s[2:3], s2, v4
	s_and_b64 exec, exec, s[2:3]
	s_cbranch_execz .LBB157_123
; %bb.99:
	s_and_saveexec_b64 s[2:3], vcc
; %bb.100:
	v_lshlrev_b32_e32 v0, 2, v2
	v_lshlrev_b32_e32 v1, 2, v3
	v_add3_u32 v0, 0, v0, v1
	ds_read_b32 v0, v0 offset:48
; %bb.101:
	s_or_b64 exec, exec, s[2:3]
	s_waitcnt lgkmcnt(0)
	ds_bpermute_b32 v1, v5, v0
	v_add_u32_e32 v8, 12, v2
	v_mov_b32_e32 v9, s7
	s_waitcnt lgkmcnt(0)
	v_add_f32_e32 v0, v0, v1
	ds_bpermute_b32 v1, v6, v0
	s_waitcnt lgkmcnt(0)
	v_add_f32_e32 v10, v0, v1
	ds_bpermute_b32 v11, v7, v10
	v_add_co_u32_e64 v0, s[2:3], s6, v8
	v_addc_co_u32_e64 v1, s[2:3], 0, v9, s[2:3]
	v_cmp_le_i64_e64 s[2:3], s[14:15], v[0:1]
	s_waitcnt lgkmcnt(0)
	v_add_f32_e32 v0, v10, v11
	s_or_b64 s[2:3], s[0:1], s[2:3]
	s_nor_b64 s[2:3], s[8:9], s[2:3]
	s_and_saveexec_b64 s[10:11], s[2:3]
	s_cbranch_execz .LBB157_103
; %bb.102:
	v_mov_b32_e32 v1, s7
	v_add_co_u32_e64 v8, s[2:3], s6, v2
	v_addc_co_u32_e64 v9, s[2:3], 0, v1, s[2:3]
	v_lshlrev_b64 v[8:9], 2, v[8:9]
	v_mov_b32_e32 v1, s5
	v_add_co_u32_e64 v8, s[2:3], s4, v8
	v_addc_co_u32_e64 v9, s[2:3], v1, v9, s[2:3]
	global_store_dword v[8:9], v0, off offset:48
.LBB157_103:
	s_or_b64 exec, exec, s[10:11]
	s_movk_i32 s2, 0x400
	v_cmp_gt_u32_e64 s[2:3], s2, v4
	s_and_b64 exec, exec, s[2:3]
	s_cbranch_execz .LBB157_123
; %bb.104:
	s_and_saveexec_b64 s[2:3], vcc
; %bb.105:
	v_lshlrev_b32_e32 v0, 2, v2
	v_lshlrev_b32_e32 v1, 2, v3
	v_add3_u32 v0, 0, v0, v1
	ds_read_b32 v0, v0 offset:64
; %bb.106:
	s_or_b64 exec, exec, s[2:3]
	s_waitcnt lgkmcnt(0)
	ds_bpermute_b32 v1, v5, v0
	v_add_u32_e32 v9, 16, v2
	s_waitcnt lgkmcnt(0)
	v_add_f32_e32 v0, v0, v1
	ds_bpermute_b32 v8, v6, v0
	v_mov_b32_e32 v1, s7
	s_waitcnt lgkmcnt(0)
	v_add_f32_e32 v8, v0, v8
	ds_bpermute_b32 v10, v7, v8
	v_or_b32_e32 v0, s6, v9
	v_cmp_le_i64_e64 s[2:3], s[14:15], v[0:1]
	s_or_b64 s[2:3], s[0:1], s[2:3]
	s_waitcnt lgkmcnt(0)
	v_add_f32_e32 v0, v8, v10
	s_nor_b64 s[2:3], s[8:9], s[2:3]
	s_and_saveexec_b64 s[10:11], s[2:3]
	s_cbranch_execz .LBB157_108
; %bb.107:
	v_mov_b32_e32 v1, s7
	v_add_co_u32_e64 v8, s[2:3], s6, v2
	v_addc_co_u32_e64 v9, s[2:3], 0, v1, s[2:3]
	v_lshlrev_b64 v[8:9], 2, v[8:9]
	v_mov_b32_e32 v1, s5
	v_add_co_u32_e64 v8, s[2:3], s4, v8
	v_addc_co_u32_e64 v9, s[2:3], v1, v9, s[2:3]
	global_store_dword v[8:9], v0, off offset:64
.LBB157_108:
	s_or_b64 exec, exec, s[10:11]
	s_movk_i32 s2, 0x300
	v_cmp_gt_u32_e64 s[2:3], s2, v4
	s_and_b64 exec, exec, s[2:3]
	s_cbranch_execz .LBB157_123
; %bb.109:
	s_and_saveexec_b64 s[2:3], vcc
; %bb.110:
	v_lshlrev_b32_e32 v0, 2, v2
	v_lshlrev_b32_e32 v1, 2, v3
	v_add3_u32 v0, 0, v0, v1
	ds_read_b32 v0, v0 offset:80
; %bb.111:
	s_or_b64 exec, exec, s[2:3]
	s_waitcnt lgkmcnt(0)
	ds_bpermute_b32 v1, v5, v0
	v_add_u32_e32 v8, 20, v2
	v_mov_b32_e32 v9, s7
	s_waitcnt lgkmcnt(0)
	v_add_f32_e32 v0, v0, v1
	ds_bpermute_b32 v1, v6, v0
	s_waitcnt lgkmcnt(0)
	v_add_f32_e32 v10, v0, v1
	ds_bpermute_b32 v11, v7, v10
	v_add_co_u32_e64 v0, s[2:3], s6, v8
	v_addc_co_u32_e64 v1, s[2:3], 0, v9, s[2:3]
	v_cmp_le_i64_e64 s[2:3], s[14:15], v[0:1]
	s_waitcnt lgkmcnt(0)
	v_add_f32_e32 v0, v10, v11
	s_or_b64 s[2:3], s[0:1], s[2:3]
	s_nor_b64 s[2:3], s[8:9], s[2:3]
	s_and_saveexec_b64 s[10:11], s[2:3]
	s_cbranch_execz .LBB157_113
; %bb.112:
	v_mov_b32_e32 v1, s7
	v_add_co_u32_e64 v8, s[2:3], s6, v2
	v_addc_co_u32_e64 v9, s[2:3], 0, v1, s[2:3]
	v_lshlrev_b64 v[8:9], 2, v[8:9]
	v_mov_b32_e32 v1, s5
	v_add_co_u32_e64 v8, s[2:3], s4, v8
	v_addc_co_u32_e64 v9, s[2:3], v1, v9, s[2:3]
	global_store_dword v[8:9], v0, off offset:80
.LBB157_113:
	s_or_b64 exec, exec, s[10:11]
	s_movk_i32 s2, 0x200
	v_cmp_gt_u32_e64 s[2:3], s2, v4
	s_and_b64 exec, exec, s[2:3]
	s_cbranch_execz .LBB157_123
; %bb.114:
	s_and_saveexec_b64 s[2:3], vcc
; %bb.115:
	v_lshlrev_b32_e32 v0, 2, v2
	v_lshlrev_b32_e32 v1, 2, v3
	v_add3_u32 v0, 0, v0, v1
	ds_read_b32 v0, v0 offset:96
; %bb.116:
	s_or_b64 exec, exec, s[2:3]
	s_waitcnt lgkmcnt(0)
	ds_bpermute_b32 v1, v5, v0
	v_add_u32_e32 v9, 24, v2
	s_waitcnt lgkmcnt(0)
	v_add_f32_e32 v0, v0, v1
	ds_bpermute_b32 v8, v6, v0
	v_mov_b32_e32 v1, s7
	s_waitcnt lgkmcnt(0)
	v_add_f32_e32 v8, v0, v8
	ds_bpermute_b32 v10, v7, v8
	v_or_b32_e32 v0, s6, v9
	v_cmp_le_i64_e64 s[2:3], s[14:15], v[0:1]
	s_or_b64 s[2:3], s[0:1], s[2:3]
	s_waitcnt lgkmcnt(0)
	v_add_f32_e32 v0, v8, v10
	s_nor_b64 s[2:3], s[8:9], s[2:3]
	s_and_saveexec_b64 s[10:11], s[2:3]
	s_cbranch_execz .LBB157_118
; %bb.117:
	v_mov_b32_e32 v1, s7
	v_add_co_u32_e64 v8, s[2:3], s6, v2
	v_addc_co_u32_e64 v9, s[2:3], 0, v1, s[2:3]
	v_lshlrev_b64 v[8:9], 2, v[8:9]
	v_mov_b32_e32 v1, s5
	v_add_co_u32_e64 v8, s[2:3], s4, v8
	v_addc_co_u32_e64 v9, s[2:3], v1, v9, s[2:3]
	global_store_dword v[8:9], v0, off offset:96
.LBB157_118:
	s_or_b64 exec, exec, s[10:11]
	s_movk_i32 s2, 0x100
	v_cmp_gt_u32_e64 s[2:3], s2, v4
	s_and_b64 exec, exec, s[2:3]
	s_cbranch_execz .LBB157_123
; %bb.119:
	s_and_saveexec_b64 s[2:3], vcc
; %bb.120:
	v_lshlrev_b32_e32 v0, 2, v2
	v_lshlrev_b32_e32 v1, 2, v3
	v_add3_u32 v0, 0, v0, v1
	ds_read_b32 v0, v0 offset:112
; %bb.121:
	s_or_b64 exec, exec, s[2:3]
	s_waitcnt lgkmcnt(0)
	ds_bpermute_b32 v1, v5, v0
	v_add_u32_e32 v3, 28, v2
	v_or_b32_e32 v3, s6, v3
	v_mov_b32_e32 v4, s7
	v_cmp_le_i64_e32 vcc, s[14:15], v[3:4]
	s_waitcnt lgkmcnt(0)
	v_add_f32_e32 v0, v0, v1
	ds_bpermute_b32 v1, v6, v0
	s_or_b64 s[0:1], s[0:1], vcc
	s_nor_b64 s[0:1], s[8:9], s[0:1]
	s_waitcnt lgkmcnt(0)
	v_add_f32_e32 v0, v0, v1
	ds_bpermute_b32 v1, v7, v0
	s_and_saveexec_b64 s[2:3], s[0:1]
	s_xor_b64 s[2:3], exec, s[2:3]
	s_cbranch_execz .LBB157_123
; %bb.122:
	s_waitcnt lgkmcnt(0)
	v_add_f32_e32 v3, v0, v1
	v_mov_b32_e32 v1, s7
	v_add_co_u32_e32 v0, vcc, s6, v2
	v_addc_co_u32_e32 v1, vcc, 0, v1, vcc
	v_lshlrev_b64 v[0:1], 2, v[0:1]
	v_mov_b32_e32 v2, s5
	v_add_co_u32_e32 v0, vcc, s4, v0
	v_addc_co_u32_e32 v1, vcc, v2, v1, vcc
	global_store_dword v[0:1], v3, off offset:112
.LBB157_123:
	s_endpgm
	.section	.rodata,"a",@progbits
	.p2align	6, 0x0
	.amdhsa_kernel _ZN2at6native12_GLOBAL__N_135GammaBetaBackwardCUDAKernelTemplateIffLj32ELj8ELj64ELb0ELb0ELb1EEEvllPKT_S5_PKT0_S8_PS3_S9_
		.amdhsa_group_segment_fixed_size 0
		.amdhsa_private_segment_fixed_size 0
		.amdhsa_kernarg_size 320
		.amdhsa_user_sgpr_count 6
		.amdhsa_user_sgpr_private_segment_buffer 1
		.amdhsa_user_sgpr_dispatch_ptr 0
		.amdhsa_user_sgpr_queue_ptr 0
		.amdhsa_user_sgpr_kernarg_segment_ptr 1
		.amdhsa_user_sgpr_dispatch_id 0
		.amdhsa_user_sgpr_flat_scratch_init 0
		.amdhsa_user_sgpr_private_segment_size 0
		.amdhsa_uses_dynamic_stack 0
		.amdhsa_system_sgpr_private_segment_wavefront_offset 0
		.amdhsa_system_sgpr_workgroup_id_x 1
		.amdhsa_system_sgpr_workgroup_id_y 1
		.amdhsa_system_sgpr_workgroup_id_z 0
		.amdhsa_system_sgpr_workgroup_info 0
		.amdhsa_system_vgpr_workitem_id 1
		.amdhsa_next_free_vgpr 90
		.amdhsa_next_free_sgpr 34
		.amdhsa_reserve_vcc 1
		.amdhsa_reserve_flat_scratch 0
		.amdhsa_float_round_mode_32 0
		.amdhsa_float_round_mode_16_64 0
		.amdhsa_float_denorm_mode_32 3
		.amdhsa_float_denorm_mode_16_64 3
		.amdhsa_dx10_clamp 1
		.amdhsa_ieee_mode 1
		.amdhsa_fp16_overflow 0
		.amdhsa_exception_fp_ieee_invalid_op 0
		.amdhsa_exception_fp_denorm_src 0
		.amdhsa_exception_fp_ieee_div_zero 0
		.amdhsa_exception_fp_ieee_overflow 0
		.amdhsa_exception_fp_ieee_underflow 0
		.amdhsa_exception_fp_ieee_inexact 0
		.amdhsa_exception_int_div_zero 0
	.end_amdhsa_kernel
	.section	.text._ZN2at6native12_GLOBAL__N_135GammaBetaBackwardCUDAKernelTemplateIffLj32ELj8ELj64ELb0ELb0ELb1EEEvllPKT_S5_PKT0_S8_PS3_S9_,"axG",@progbits,_ZN2at6native12_GLOBAL__N_135GammaBetaBackwardCUDAKernelTemplateIffLj32ELj8ELj64ELb0ELb0ELb1EEEvllPKT_S5_PKT0_S8_PS3_S9_,comdat
.Lfunc_end157:
	.size	_ZN2at6native12_GLOBAL__N_135GammaBetaBackwardCUDAKernelTemplateIffLj32ELj8ELj64ELb0ELb0ELb1EEEvllPKT_S5_PKT0_S8_PS3_S9_, .Lfunc_end157-_ZN2at6native12_GLOBAL__N_135GammaBetaBackwardCUDAKernelTemplateIffLj32ELj8ELj64ELb0ELb0ELb1EEEvllPKT_S5_PKT0_S8_PS3_S9_
                                        ; -- End function
	.set _ZN2at6native12_GLOBAL__N_135GammaBetaBackwardCUDAKernelTemplateIffLj32ELj8ELj64ELb0ELb0ELb1EEEvllPKT_S5_PKT0_S8_PS3_S9_.num_vgpr, 90
	.set _ZN2at6native12_GLOBAL__N_135GammaBetaBackwardCUDAKernelTemplateIffLj32ELj8ELj64ELb0ELb0ELb1EEEvllPKT_S5_PKT0_S8_PS3_S9_.num_agpr, 0
	.set _ZN2at6native12_GLOBAL__N_135GammaBetaBackwardCUDAKernelTemplateIffLj32ELj8ELj64ELb0ELb0ELb1EEEvllPKT_S5_PKT0_S8_PS3_S9_.numbered_sgpr, 34
	.set _ZN2at6native12_GLOBAL__N_135GammaBetaBackwardCUDAKernelTemplateIffLj32ELj8ELj64ELb0ELb0ELb1EEEvllPKT_S5_PKT0_S8_PS3_S9_.num_named_barrier, 0
	.set _ZN2at6native12_GLOBAL__N_135GammaBetaBackwardCUDAKernelTemplateIffLj32ELj8ELj64ELb0ELb0ELb1EEEvllPKT_S5_PKT0_S8_PS3_S9_.private_seg_size, 0
	.set _ZN2at6native12_GLOBAL__N_135GammaBetaBackwardCUDAKernelTemplateIffLj32ELj8ELj64ELb0ELb0ELb1EEEvllPKT_S5_PKT0_S8_PS3_S9_.uses_vcc, 1
	.set _ZN2at6native12_GLOBAL__N_135GammaBetaBackwardCUDAKernelTemplateIffLj32ELj8ELj64ELb0ELb0ELb1EEEvllPKT_S5_PKT0_S8_PS3_S9_.uses_flat_scratch, 0
	.set _ZN2at6native12_GLOBAL__N_135GammaBetaBackwardCUDAKernelTemplateIffLj32ELj8ELj64ELb0ELb0ELb1EEEvllPKT_S5_PKT0_S8_PS3_S9_.has_dyn_sized_stack, 0
	.set _ZN2at6native12_GLOBAL__N_135GammaBetaBackwardCUDAKernelTemplateIffLj32ELj8ELj64ELb0ELb0ELb1EEEvllPKT_S5_PKT0_S8_PS3_S9_.has_recursion, 0
	.set _ZN2at6native12_GLOBAL__N_135GammaBetaBackwardCUDAKernelTemplateIffLj32ELj8ELj64ELb0ELb0ELb1EEEvllPKT_S5_PKT0_S8_PS3_S9_.has_indirect_call, 0
	.section	.AMDGPU.csdata,"",@progbits
; Kernel info:
; codeLenInByte = 7548
; TotalNumSgprs: 38
; NumVgprs: 90
; ScratchSize: 0
; MemoryBound: 0
; FloatMode: 240
; IeeeMode: 1
; LDSByteSize: 0 bytes/workgroup (compile time only)
; SGPRBlocks: 4
; VGPRBlocks: 22
; NumSGPRsForWavesPerEU: 38
; NumVGPRsForWavesPerEU: 90
; Occupancy: 2
; WaveLimiterHint : 0
; COMPUTE_PGM_RSRC2:SCRATCH_EN: 0
; COMPUTE_PGM_RSRC2:USER_SGPR: 6
; COMPUTE_PGM_RSRC2:TRAP_HANDLER: 0
; COMPUTE_PGM_RSRC2:TGID_X_EN: 1
; COMPUTE_PGM_RSRC2:TGID_Y_EN: 1
; COMPUTE_PGM_RSRC2:TGID_Z_EN: 0
; COMPUTE_PGM_RSRC2:TIDIG_COMP_CNT: 1
	.section	.text._ZN2at6native12_GLOBAL__N_135GammaBetaBackwardCUDAKernelTemplateIffLj32ELj16ELj128ELb0ELb1ELb1EEEvllPKT_S5_PKT0_S8_PS3_S9_,"axG",@progbits,_ZN2at6native12_GLOBAL__N_135GammaBetaBackwardCUDAKernelTemplateIffLj32ELj16ELj128ELb0ELb1ELb1EEEvllPKT_S5_PKT0_S8_PS3_S9_,comdat
	.globl	_ZN2at6native12_GLOBAL__N_135GammaBetaBackwardCUDAKernelTemplateIffLj32ELj16ELj128ELb0ELb1ELb1EEEvllPKT_S5_PKT0_S8_PS3_S9_ ; -- Begin function _ZN2at6native12_GLOBAL__N_135GammaBetaBackwardCUDAKernelTemplateIffLj32ELj16ELj128ELb0ELb1ELb1EEEvllPKT_S5_PKT0_S8_PS3_S9_
	.p2align	8
	.type	_ZN2at6native12_GLOBAL__N_135GammaBetaBackwardCUDAKernelTemplateIffLj32ELj16ELj128ELb0ELb1ELb1EEEvllPKT_S5_PKT0_S8_PS3_S9_,@function
_ZN2at6native12_GLOBAL__N_135GammaBetaBackwardCUDAKernelTemplateIffLj32ELj16ELj128ELb0ELb1ELb1EEEvllPKT_S5_PKT0_S8_PS3_S9_: ; @_ZN2at6native12_GLOBAL__N_135GammaBetaBackwardCUDAKernelTemplateIffLj32ELj16ELj128ELb0ELb1ELb1EEEvllPKT_S5_PKT0_S8_PS3_S9_
; %bb.0:
	s_load_dwordx4 s[8:11], s[4:5], 0x0
	s_lshl_b32 s18, s7, 7
	s_mov_b32 s19, 0
	v_mov_b32_e32 v2, s18
	v_mov_b32_e32 v3, s19
	s_waitcnt lgkmcnt(0)
	v_cmp_gt_i64_e32 vcc, s[8:9], v[2:3]
	s_cbranch_vccnz .LBB158_2
; %bb.1:
	s_mov_b64 s[0:1], 0
	s_branch .LBB158_3
.LBB158_2:
	s_mov_b64 s[0:1], -1
.LBB158_3:
	s_load_dwordx2 s[16:17], s[4:5], 0x30
	v_mov_b32_e32 v3, 0
	s_andn2_b64 vcc, exec, s[0:1]
	v_mbcnt_lo_u32_b32 v8, -1, 0
	s_cbranch_vccnz .LBB158_10
; %bb.4:
	s_load_dword s0, s[4:5], 0x4c
	s_load_dword s7, s[4:5], 0x44
	s_load_dwordx4 s[12:15], s[4:5], 0x10
	s_load_dwordx2 s[2:3], s[4:5], 0x28
	v_lshlrev_b32_e32 v4, 3, v1
	s_waitcnt lgkmcnt(0)
	s_and_b32 s0, s0, 0xffff
	v_mad_u32_u24 v2, v1, s0, v0
	v_and_b32_e32 v5, 63, v2
	v_add_co_u32_e32 v10, vcc, s18, v4
	v_addc_co_u32_e64 v11, s[20:21], 0, 0, vcc
	v_add_co_u32_e32 v4, vcc, v10, v5
	v_cmp_gt_u32_e64 s[0:1], 8, v5
	v_mbcnt_hi_u32_b32 v6, -1, v8
	v_addc_co_u32_e32 v5, vcc, 0, v11, vcc
	v_mul_lo_u32 v14, s11, v10
	v_mul_lo_u32 v15, s10, v11
	v_mad_u64_u32 v[11:12], s[20:21], s10, v10, 0
	v_lshlrev_b32_e32 v6, 2, v6
	v_and_b32_e32 v9, 0x100, v6
	v_lshlrev_b64 v[6:7], 2, v[4:5]
	v_mov_b32_e32 v3, 0
	v_lshl_add_u32 v2, s6, 5, v0
	v_mov_b32_e32 v13, s3
	v_add_co_u32_e32 v6, vcc, s2, v6
	v_add3_u32 v12, v12, v15, v14
	v_addc_co_u32_e32 v7, vcc, v13, v7, vcc
	v_lshlrev_b64 v[11:12], 2, v[11:12]
	v_lshlrev_b64 v[13:14], 2, v[2:3]
	s_lshl_b32 s4, s7, 7
	s_mul_i32 s2, s11, s4
	s_mul_hi_u32 s3, s10, s4
	s_mov_b32 s5, 0
	v_add_co_u32_e32 v2, vcc, v11, v13
	s_add_i32 s3, s3, s2
	s_mul_i32 s2, s10, s4
	v_or_b32_e32 v10, 20, v9
	v_addc_co_u32_e32 v11, vcc, v12, v14, vcc
	v_or_b32_e32 v12, 24, v9
	v_or_b32_e32 v13, 28, v9
	s_lshl_b64 s[20:21], s[4:5], 2
	s_lshl_b64 s[22:23], s[2:3], 2
	;; [unrolled: 1-line block ×3, first 2 shown]
	s_branch .LBB158_7
.LBB158_5:                              ;   in Loop: Header=BB158_7 Depth=1
	s_or_b64 exec, exec, s[24:25]
.LBB158_6:                              ;   in Loop: Header=BB158_7 Depth=1
	s_or_b64 exec, exec, s[2:3]
	v_mov_b32_e32 v16, s13
	v_add_co_u32_e32 v15, vcc, s12, v2
	v_addc_co_u32_e32 v16, vcc, v16, v11, vcc
	v_mov_b32_e32 v21, s11
	v_add_co_u32_e32 v17, vcc, s10, v15
	v_addc_co_u32_e32 v18, vcc, v16, v21, vcc
	global_load_dword v22, v[15:16], off
	v_mov_b32_e32 v16, s15
	v_add_co_u32_e32 v15, vcc, s14, v2
	v_addc_co_u32_e32 v16, vcc, v16, v11, vcc
	v_add_co_u32_e32 v19, vcc, s10, v15
	global_load_dword v15, v[15:16], off
	v_addc_co_u32_e32 v20, vcc, v16, v21, vcc
	s_waitcnt vmcnt(2)
	ds_bpermute_b32 v16, v9, v14
	s_add_u32 s18, s18, s4
	s_addc_u32 s19, s19, 0
	v_add_co_u32_e64 v6, s[2:3], s20, v6
	s_waitcnt vmcnt(0)
	v_mul_f32_e32 v15, v22, v15
	s_waitcnt lgkmcnt(0)
	v_fmac_f32_e32 v3, v15, v16
	v_add_co_u32_e32 v15, vcc, s10, v17
	v_addc_co_u32_e32 v16, vcc, v18, v21, vcc
	global_load_dword v22, v[17:18], off
	v_add_co_u32_e32 v17, vcc, s10, v19
	global_load_dword v19, v[19:20], off
	v_addc_co_u32_e32 v18, vcc, v20, v21, vcc
	v_or_b32_e32 v20, 4, v9
	ds_bpermute_b32 v20, v20, v14
	s_waitcnt vmcnt(0)
	v_mul_f32_e32 v19, v22, v19
	s_waitcnt lgkmcnt(0)
	v_fmac_f32_e32 v3, v19, v20
	v_add_co_u32_e32 v19, vcc, s10, v15
	v_addc_co_u32_e32 v20, vcc, v16, v21, vcc
	global_load_dword v22, v[15:16], off
	v_add_co_u32_e32 v15, vcc, s10, v17
	global_load_dword v17, v[17:18], off
	v_addc_co_u32_e32 v16, vcc, v18, v21, vcc
	v_or_b32_e32 v18, 8, v9
	ds_bpermute_b32 v18, v18, v14
	;; [unrolled: 12-line block ×4, first 2 shown]
	s_waitcnt vmcnt(0)
	v_mul_f32_e32 v19, v22, v19
	s_waitcnt lgkmcnt(0)
	v_fmac_f32_e32 v3, v19, v20
	v_add_co_u32_e32 v19, vcc, s10, v15
	v_addc_co_u32_e32 v20, vcc, v16, v21, vcc
	global_load_dword v22, v[15:16], off
	v_add_co_u32_e32 v15, vcc, s10, v17
	global_load_dword v17, v[17:18], off
	v_addc_co_u32_e32 v16, vcc, v18, v21, vcc
	ds_bpermute_b32 v18, v10, v14
	s_waitcnt vmcnt(0)
	v_mul_f32_e32 v17, v22, v17
	s_waitcnt lgkmcnt(0)
	v_fmac_f32_e32 v3, v17, v18
	v_add_co_u32_e32 v17, vcc, s10, v19
	v_addc_co_u32_e32 v18, vcc, v20, v21, vcc
	global_load_dword v22, v[19:20], off
	v_add_co_u32_e32 v19, vcc, s10, v15
	global_load_dword v15, v[15:16], off
	v_addc_co_u32_e32 v20, vcc, v16, v21, vcc
	ds_bpermute_b32 v16, v12, v14
	ds_bpermute_b32 v14, v13, v14
	s_waitcnt vmcnt(0)
	v_mul_f32_e32 v15, v22, v15
	s_waitcnt lgkmcnt(1)
	v_fmac_f32_e32 v3, v15, v16
	global_load_dword v15, v[17:18], off
	global_load_dword v16, v[19:20], off
	s_waitcnt vmcnt(0)
	v_mul_f32_e32 v15, v15, v16
	s_waitcnt lgkmcnt(0)
	v_fmac_f32_e32 v3, v15, v14
	v_mov_b32_e32 v15, s9
	v_mov_b32_e32 v14, s8
	v_cmp_lt_i64_e32 vcc, s[18:19], v[14:15]
	v_mov_b32_e32 v14, s21
	v_addc_co_u32_e64 v7, s[2:3], v7, v14, s[2:3]
	v_add_co_u32_e64 v2, s[2:3], s22, v2
	v_mov_b32_e32 v14, s23
	v_addc_co_u32_e64 v11, s[2:3], v11, v14, s[2:3]
	v_add_co_u32_e64 v4, s[2:3], s4, v4
	v_addc_co_u32_e64 v5, s[2:3], 0, v5, s[2:3]
	s_cbranch_vccz .LBB158_10
.LBB158_7:                              ; =>This Inner Loop Header: Depth=1
	v_mov_b32_e32 v14, 0
	s_and_saveexec_b64 s[2:3], s[0:1]
	s_cbranch_execz .LBB158_6
; %bb.8:                                ;   in Loop: Header=BB158_7 Depth=1
	v_cmp_gt_i64_e32 vcc, s[8:9], v[4:5]
	v_mov_b32_e32 v14, 0
	s_and_saveexec_b64 s[24:25], vcc
	s_cbranch_execz .LBB158_5
; %bb.9:                                ;   in Loop: Header=BB158_7 Depth=1
	global_load_dword v14, v[6:7], off
	s_branch .LBB158_5
.LBB158_10:
	v_mad_u32_u24 v2, v1, 33, v0
	v_lshl_add_u32 v4, v2, 2, 0
	ds_write_b32 v4, v3
	v_mov_b32_e32 v3, 0
	ds_write_b32 v4, v3 offset:2112
	v_sub_u32_e32 v3, v2, v1
	s_movk_i32 s0, 0x800
	v_cmp_gt_u32_e32 vcc, s0, v3
	s_waitcnt lgkmcnt(0)
	s_barrier
	s_and_saveexec_b64 s[0:1], vcc
	s_cbranch_execz .LBB158_30
; %bb.11:
	v_lshrrev_b32_e32 v1, 6, v3
	v_and_b32_e32 v2, 63, v3
	v_cmp_gt_u32_e32 vcc, 16, v2
	v_mul_u32_u24_e32 v2, 33, v2
	v_lshlrev_b32_e32 v1, 2, v1
                                        ; implicit-def: $vgpr5
	s_and_saveexec_b64 s[0:1], vcc
; %bb.12:
	v_lshlrev_b32_e32 v4, 2, v2
	v_add3_u32 v4, 0, v1, v4
	ds_read_b32 v5, v4
; %bb.13:
	s_or_b64 exec, exec, s[0:1]
	v_mbcnt_hi_u32_b32 v7, -1, v8
	v_and_b32_e32 v4, 64, v7
	v_add_u32_e32 v8, 64, v4
	v_xor_b32_e32 v4, 8, v7
	v_cmp_lt_i32_e64 s[0:1], v4, v8
	v_cndmask_b32_e64 v4, v7, v4, s[0:1]
	v_lshlrev_b32_e32 v4, 2, v4
	s_waitcnt lgkmcnt(0)
	ds_bpermute_b32 v6, v4, v5
	v_xor_b32_e32 v9, 4, v7
	v_cmp_lt_i32_e64 s[0:1], v9, v8
	v_xor_b32_e32 v10, 2, v7
	s_cmp_lg_u64 s[16:17], 0
	s_waitcnt lgkmcnt(0)
	v_add_f32_e32 v6, v5, v6
	v_cndmask_b32_e64 v5, v7, v9, s[0:1]
	v_lshlrev_b32_e32 v5, 2, v5
	ds_bpermute_b32 v9, v5, v6
	v_cmp_lt_i32_e64 s[0:1], v10, v8
	s_mov_b32 s7, 0
	s_cselect_b64 s[4:5], -1, 0
	s_waitcnt lgkmcnt(0)
	v_add_f32_e32 v9, v6, v9
	v_cndmask_b32_e64 v6, v7, v10, s[0:1]
	v_lshlrev_b32_e32 v6, 2, v6
	ds_bpermute_b32 v10, v6, v9
	v_cmp_eq_u32_e64 s[0:1], 0, v0
	v_xor_b32_e32 v0, 1, v7
	v_cmp_lt_i32_e64 s[2:3], v0, v8
	v_cndmask_b32_e64 v0, v7, v0, s[2:3]
	s_waitcnt lgkmcnt(0)
	v_add_f32_e32 v9, v9, v10
	v_lshlrev_b32_e32 v0, 2, v0
	ds_bpermute_b32 v7, v0, v9
	s_and_b64 s[4:5], s[0:1], s[4:5]
	s_lshl_b64 s[0:1], s[6:7], 7
	s_add_u32 s2, s16, s0
	s_addc_u32 s3, s17, s1
	s_waitcnt lgkmcnt(0)
	v_add_f32_e32 v7, v9, v7
	s_and_saveexec_b64 s[0:1], s[4:5]
	s_cbranch_execz .LBB158_15
; %bb.14:
	global_store_dword v1, v7, s[2:3]
.LBB158_15:
	s_or_b64 exec, exec, s[0:1]
	s_movk_i32 s0, 0x600
	v_cmp_gt_u32_e64 s[0:1], s0, v3
	s_and_b64 exec, exec, s[0:1]
	s_cbranch_execz .LBB158_30
; %bb.16:
	s_and_saveexec_b64 s[0:1], vcc
; %bb.17:
	v_lshlrev_b32_e32 v7, 2, v2
	v_add3_u32 v7, 0, v1, v7
	ds_read_b32 v7, v7 offset:32
; %bb.18:
	s_or_b64 exec, exec, s[0:1]
	s_waitcnt lgkmcnt(0)
	ds_bpermute_b32 v8, v4, v7
	s_waitcnt lgkmcnt(0)
	v_add_f32_e32 v7, v7, v8
	ds_bpermute_b32 v8, v5, v7
	s_waitcnt lgkmcnt(0)
	v_add_f32_e32 v7, v7, v8
	;; [unrolled: 3-line block ×4, first 2 shown]
	s_and_saveexec_b64 s[0:1], s[4:5]
	s_cbranch_execz .LBB158_20
; %bb.19:
	global_store_dword v1, v7, s[2:3] offset:32
.LBB158_20:
	s_or_b64 exec, exec, s[0:1]
	s_movk_i32 s0, 0x400
	v_cmp_gt_u32_e64 s[0:1], s0, v3
	s_and_b64 exec, exec, s[0:1]
	s_cbranch_execz .LBB158_30
; %bb.21:
	s_and_saveexec_b64 s[0:1], vcc
; %bb.22:
	v_lshlrev_b32_e32 v7, 2, v2
	v_add3_u32 v7, 0, v1, v7
	ds_read_b32 v7, v7 offset:64
; %bb.23:
	s_or_b64 exec, exec, s[0:1]
	s_waitcnt lgkmcnt(0)
	ds_bpermute_b32 v8, v4, v7
	s_waitcnt lgkmcnt(0)
	v_add_f32_e32 v7, v7, v8
	ds_bpermute_b32 v8, v5, v7
	s_waitcnt lgkmcnt(0)
	v_add_f32_e32 v7, v7, v8
	;; [unrolled: 3-line block ×4, first 2 shown]
	s_and_saveexec_b64 s[0:1], s[4:5]
	s_cbranch_execz .LBB158_25
; %bb.24:
	global_store_dword v1, v7, s[2:3] offset:64
.LBB158_25:
	s_or_b64 exec, exec, s[0:1]
	s_movk_i32 s0, 0x200
	v_cmp_gt_u32_e64 s[0:1], s0, v3
	s_and_b64 exec, exec, s[0:1]
	s_cbranch_execz .LBB158_30
; %bb.26:
	s_and_saveexec_b64 s[0:1], vcc
; %bb.27:
	v_lshlrev_b32_e32 v2, 2, v2
	v_add3_u32 v2, 0, v1, v2
	ds_read_b32 v7, v2 offset:96
; %bb.28:
	s_or_b64 exec, exec, s[0:1]
	s_waitcnt lgkmcnt(0)
	ds_bpermute_b32 v2, v4, v7
	s_waitcnt lgkmcnt(0)
	v_add_f32_e32 v2, v7, v2
	ds_bpermute_b32 v3, v5, v2
	s_waitcnt lgkmcnt(0)
	v_add_f32_e32 v2, v2, v3
	;; [unrolled: 3-line block ×3, first 2 shown]
	ds_bpermute_b32 v0, v0, v2
	s_and_saveexec_b64 s[0:1], s[4:5]
	s_xor_b64 s[0:1], exec, s[0:1]
	s_cbranch_execz .LBB158_30
; %bb.29:
	s_waitcnt lgkmcnt(0)
	v_add_f32_e32 v0, v2, v0
	global_store_dword v1, v0, s[2:3] offset:96
.LBB158_30:
	s_endpgm
	.section	.rodata,"a",@progbits
	.p2align	6, 0x0
	.amdhsa_kernel _ZN2at6native12_GLOBAL__N_135GammaBetaBackwardCUDAKernelTemplateIffLj32ELj16ELj128ELb0ELb1ELb1EEEvllPKT_S5_PKT0_S8_PS3_S9_
		.amdhsa_group_segment_fixed_size 0
		.amdhsa_private_segment_fixed_size 0
		.amdhsa_kernarg_size 320
		.amdhsa_user_sgpr_count 6
		.amdhsa_user_sgpr_private_segment_buffer 1
		.amdhsa_user_sgpr_dispatch_ptr 0
		.amdhsa_user_sgpr_queue_ptr 0
		.amdhsa_user_sgpr_kernarg_segment_ptr 1
		.amdhsa_user_sgpr_dispatch_id 0
		.amdhsa_user_sgpr_flat_scratch_init 0
		.amdhsa_user_sgpr_private_segment_size 0
		.amdhsa_uses_dynamic_stack 0
		.amdhsa_system_sgpr_private_segment_wavefront_offset 0
		.amdhsa_system_sgpr_workgroup_id_x 1
		.amdhsa_system_sgpr_workgroup_id_y 1
		.amdhsa_system_sgpr_workgroup_id_z 0
		.amdhsa_system_sgpr_workgroup_info 0
		.amdhsa_system_vgpr_workitem_id 1
		.amdhsa_next_free_vgpr 23
		.amdhsa_next_free_sgpr 26
		.amdhsa_reserve_vcc 1
		.amdhsa_reserve_flat_scratch 0
		.amdhsa_float_round_mode_32 0
		.amdhsa_float_round_mode_16_64 0
		.amdhsa_float_denorm_mode_32 3
		.amdhsa_float_denorm_mode_16_64 3
		.amdhsa_dx10_clamp 1
		.amdhsa_ieee_mode 1
		.amdhsa_fp16_overflow 0
		.amdhsa_exception_fp_ieee_invalid_op 0
		.amdhsa_exception_fp_denorm_src 0
		.amdhsa_exception_fp_ieee_div_zero 0
		.amdhsa_exception_fp_ieee_overflow 0
		.amdhsa_exception_fp_ieee_underflow 0
		.amdhsa_exception_fp_ieee_inexact 0
		.amdhsa_exception_int_div_zero 0
	.end_amdhsa_kernel
	.section	.text._ZN2at6native12_GLOBAL__N_135GammaBetaBackwardCUDAKernelTemplateIffLj32ELj16ELj128ELb0ELb1ELb1EEEvllPKT_S5_PKT0_S8_PS3_S9_,"axG",@progbits,_ZN2at6native12_GLOBAL__N_135GammaBetaBackwardCUDAKernelTemplateIffLj32ELj16ELj128ELb0ELb1ELb1EEEvllPKT_S5_PKT0_S8_PS3_S9_,comdat
.Lfunc_end158:
	.size	_ZN2at6native12_GLOBAL__N_135GammaBetaBackwardCUDAKernelTemplateIffLj32ELj16ELj128ELb0ELb1ELb1EEEvllPKT_S5_PKT0_S8_PS3_S9_, .Lfunc_end158-_ZN2at6native12_GLOBAL__N_135GammaBetaBackwardCUDAKernelTemplateIffLj32ELj16ELj128ELb0ELb1ELb1EEEvllPKT_S5_PKT0_S8_PS3_S9_
                                        ; -- End function
	.set _ZN2at6native12_GLOBAL__N_135GammaBetaBackwardCUDAKernelTemplateIffLj32ELj16ELj128ELb0ELb1ELb1EEEvllPKT_S5_PKT0_S8_PS3_S9_.num_vgpr, 23
	.set _ZN2at6native12_GLOBAL__N_135GammaBetaBackwardCUDAKernelTemplateIffLj32ELj16ELj128ELb0ELb1ELb1EEEvllPKT_S5_PKT0_S8_PS3_S9_.num_agpr, 0
	.set _ZN2at6native12_GLOBAL__N_135GammaBetaBackwardCUDAKernelTemplateIffLj32ELj16ELj128ELb0ELb1ELb1EEEvllPKT_S5_PKT0_S8_PS3_S9_.numbered_sgpr, 26
	.set _ZN2at6native12_GLOBAL__N_135GammaBetaBackwardCUDAKernelTemplateIffLj32ELj16ELj128ELb0ELb1ELb1EEEvllPKT_S5_PKT0_S8_PS3_S9_.num_named_barrier, 0
	.set _ZN2at6native12_GLOBAL__N_135GammaBetaBackwardCUDAKernelTemplateIffLj32ELj16ELj128ELb0ELb1ELb1EEEvllPKT_S5_PKT0_S8_PS3_S9_.private_seg_size, 0
	.set _ZN2at6native12_GLOBAL__N_135GammaBetaBackwardCUDAKernelTemplateIffLj32ELj16ELj128ELb0ELb1ELb1EEEvllPKT_S5_PKT0_S8_PS3_S9_.uses_vcc, 1
	.set _ZN2at6native12_GLOBAL__N_135GammaBetaBackwardCUDAKernelTemplateIffLj32ELj16ELj128ELb0ELb1ELb1EEEvllPKT_S5_PKT0_S8_PS3_S9_.uses_flat_scratch, 0
	.set _ZN2at6native12_GLOBAL__N_135GammaBetaBackwardCUDAKernelTemplateIffLj32ELj16ELj128ELb0ELb1ELb1EEEvllPKT_S5_PKT0_S8_PS3_S9_.has_dyn_sized_stack, 0
	.set _ZN2at6native12_GLOBAL__N_135GammaBetaBackwardCUDAKernelTemplateIffLj32ELj16ELj128ELb0ELb1ELb1EEEvllPKT_S5_PKT0_S8_PS3_S9_.has_recursion, 0
	.set _ZN2at6native12_GLOBAL__N_135GammaBetaBackwardCUDAKernelTemplateIffLj32ELj16ELj128ELb0ELb1ELb1EEEvllPKT_S5_PKT0_S8_PS3_S9_.has_indirect_call, 0
	.section	.AMDGPU.csdata,"",@progbits
; Kernel info:
; codeLenInByte = 1692
; TotalNumSgprs: 30
; NumVgprs: 23
; ScratchSize: 0
; MemoryBound: 0
; FloatMode: 240
; IeeeMode: 1
; LDSByteSize: 0 bytes/workgroup (compile time only)
; SGPRBlocks: 3
; VGPRBlocks: 5
; NumSGPRsForWavesPerEU: 30
; NumVGPRsForWavesPerEU: 23
; Occupancy: 10
; WaveLimiterHint : 0
; COMPUTE_PGM_RSRC2:SCRATCH_EN: 0
; COMPUTE_PGM_RSRC2:USER_SGPR: 6
; COMPUTE_PGM_RSRC2:TRAP_HANDLER: 0
; COMPUTE_PGM_RSRC2:TGID_X_EN: 1
; COMPUTE_PGM_RSRC2:TGID_Y_EN: 1
; COMPUTE_PGM_RSRC2:TGID_Z_EN: 0
; COMPUTE_PGM_RSRC2:TIDIG_COMP_CNT: 1
	.section	.text._ZN2at6native12_GLOBAL__N_135GammaBetaBackwardCUDAKernelTemplateIffLj32ELj16ELj128ELb0ELb0ELb1EEEvllPKT_S5_PKT0_S8_PS3_S9_,"axG",@progbits,_ZN2at6native12_GLOBAL__N_135GammaBetaBackwardCUDAKernelTemplateIffLj32ELj16ELj128ELb0ELb0ELb1EEEvllPKT_S5_PKT0_S8_PS3_S9_,comdat
	.globl	_ZN2at6native12_GLOBAL__N_135GammaBetaBackwardCUDAKernelTemplateIffLj32ELj16ELj128ELb0ELb0ELb1EEEvllPKT_S5_PKT0_S8_PS3_S9_ ; -- Begin function _ZN2at6native12_GLOBAL__N_135GammaBetaBackwardCUDAKernelTemplateIffLj32ELj16ELj128ELb0ELb0ELb1EEEvllPKT_S5_PKT0_S8_PS3_S9_
	.p2align	8
	.type	_ZN2at6native12_GLOBAL__N_135GammaBetaBackwardCUDAKernelTemplateIffLj32ELj16ELj128ELb0ELb0ELb1EEEvllPKT_S5_PKT0_S8_PS3_S9_,@function
_ZN2at6native12_GLOBAL__N_135GammaBetaBackwardCUDAKernelTemplateIffLj32ELj16ELj128ELb0ELb0ELb1EEEvllPKT_S5_PKT0_S8_PS3_S9_: ; @_ZN2at6native12_GLOBAL__N_135GammaBetaBackwardCUDAKernelTemplateIffLj32ELj16ELj128ELb0ELb0ELb1EEEvllPKT_S5_PKT0_S8_PS3_S9_
; %bb.0:
	s_load_dwordx8 s[12:19], s[4:5], 0x0
	s_load_dwordx2 s[10:11], s[4:5], 0x28
	s_lshl_b32 s20, s7, 7
	s_lshl_b32 s33, s6, 5
	s_mov_b32 s21, 0
	v_mov_b32_e32 v2, s20
	s_or_b32 s0, s33, 31
	v_mov_b32_e32 v3, s21
	v_mov_b32_e32 v48, s0
	;; [unrolled: 1-line block ×3, first 2 shown]
	s_waitcnt lgkmcnt(0)
	v_cmp_gt_i64_e64 s[0:1], s[12:13], v[2:3]
	v_cmp_le_i64_e32 vcc, s[14:15], v[48:49]
	v_cndmask_b32_e64 v2, 0, 1, s[0:1]
	v_cmp_ne_u32_e64 s[0:1], 1, v2
	s_cbranch_vccz .LBB159_49
; %bb.1:
	s_and_b64 vcc, exec, s[0:1]
	s_cbranch_vccnz .LBB159_50
; %bb.2:
	v_lshlrev_b32_e32 v21, 3, v1
	v_add_co_u32_e32 v9, vcc, s20, v21
	v_addc_co_u32_e64 v10, s[2:3], 0, 0, vcc
	v_mul_lo_u32 v7, s15, v9
	v_mul_lo_u32 v8, s14, v10
	v_mad_u64_u32 v[5:6], s[2:3], s14, v9, 0
	v_mov_b32_e32 v2, 0
	s_load_dword s7, s[4:5], 0x44
	v_add_u32_e32 v3, s33, v0
	v_mov_b32_e32 v4, v2
	v_add3_u32 v6, v6, v8, v7
	v_cmp_gt_i64_e64 s[2:3], s[14:15], v[3:4]
	v_lshlrev_b64 v[19:20], 2, v[3:4]
	v_lshlrev_b64 v[3:4], 2, v[5:6]
	s_add_u32 s22, s4, 64
	v_mov_b32_e32 v7, s17
	v_add_co_u32_e32 v22, vcc, s16, v3
	s_addc_u32 s23, s5, 0
	s_waitcnt lgkmcnt(0)
	s_lshl_b32 s7, s7, 7
	v_addc_co_u32_e32 v23, vcc, v7, v4, vcc
	s_mul_i32 s8, s15, s7
	s_mul_hi_u32 s9, s14, s7
	v_add_co_u32_e32 v7, vcc, 7, v9
	s_add_i32 s9, s9, s8
	s_mul_i32 s8, s14, s7
	v_addc_co_u32_e32 v8, vcc, 0, v10, vcc
	s_lshl_b64 s[24:25], s[8:9], 2
	v_mul_lo_u32 v12, s15, v7
	v_mul_lo_u32 v13, s14, v8
	v_mad_u64_u32 v[7:8], s[8:9], s14, v7, 0
	v_mov_b32_e32 v11, s19
	v_add_co_u32_e32 v24, vcc, s18, v3
	v_add3_u32 v8, v8, v13, v12
	v_addc_co_u32_e32 v25, vcc, v11, v4, vcc
	v_lshlrev_b64 v[3:4], 2, v[7:8]
	v_mov_b32_e32 v7, s17
	v_add_co_u32_e32 v26, vcc, s16, v3
	v_addc_co_u32_e32 v27, vcc, v7, v4, vcc
	v_add_co_u32_e32 v7, vcc, 6, v9
	v_addc_co_u32_e32 v8, vcc, 0, v10, vcc
	v_mul_lo_u32 v12, s15, v7
	v_mul_lo_u32 v13, s14, v8
	v_mad_u64_u32 v[7:8], s[8:9], s14, v7, 0
	v_add_co_u32_e32 v28, vcc, s18, v3
	v_add3_u32 v8, v8, v13, v12
	v_addc_co_u32_e32 v29, vcc, v11, v4, vcc
	v_lshlrev_b64 v[3:4], 2, v[7:8]
	v_mov_b32_e32 v7, s17
	v_add_co_u32_e32 v30, vcc, s16, v3
	v_addc_co_u32_e32 v31, vcc, v7, v4, vcc
	v_add_co_u32_e32 v7, vcc, 5, v9
	v_addc_co_u32_e32 v8, vcc, 0, v10, vcc
	v_mul_lo_u32 v12, s15, v7
	v_mul_lo_u32 v13, s14, v8
	v_mad_u64_u32 v[7:8], s[8:9], s14, v7, 0
	;; [unrolled: 12-line block ×5, first 2 shown]
	v_add_co_u32_e32 v44, vcc, s18, v3
	v_add3_u32 v8, v8, v10, v9
	v_addc_co_u32_e32 v45, vcc, v11, v4, vcc
	v_lshlrev_b64 v[3:4], 2, v[7:8]
	v_mov_b32_e32 v7, s17
	v_add_co_u32_e32 v46, vcc, s16, v3
	v_addc_co_u32_e32 v47, vcc, v7, v4, vcc
	v_mov_b32_e32 v7, s19
	v_add_co_u32_e32 v48, vcc, s18, v3
	v_addc_co_u32_e32 v50, vcc, v7, v4, vcc
	v_mov_b32_e32 v4, s15
	v_add_co_u32_e32 v3, vcc, s14, v5
	v_addc_co_u32_e32 v4, vcc, v6, v4, vcc
	v_lshlrev_b64 v[3:4], 2, v[3:4]
	v_mov_b32_e32 v5, s17
	v_add_co_u32_e32 v51, vcc, s16, v3
	v_addc_co_u32_e32 v52, vcc, v5, v4, vcc
	v_add_co_u32_e32 v53, vcc, s18, v3
	v_mbcnt_lo_u32_b32 v3, -1, 0
	v_mbcnt_hi_u32_b32 v3, -1, v3
	v_mov_b32_e32 v5, s19
	s_add_u32 s26, s20, 0x7f
	v_lshlrev_b32_e32 v3, 2, v3
	v_addc_co_u32_e32 v54, vcc, v5, v4, vcc
	s_addc_u32 s27, 0, 0
	v_and_b32_e32 v55, 0x100, v3
	s_mov_b64 s[28:29], s[20:21]
	v_mov_b32_e32 v56, 0
.LBB159_3:                              ; =>This Inner Loop Header: Depth=1
	v_mov_b32_e32 v3, s12
	v_mov_b32_e32 v4, s13
	v_cmp_ge_i64_e32 vcc, s[26:27], v[3:4]
	v_mov_b32_e32 v3, s27
	v_add_co_u32_e64 v57, s[8:9], s26, v21
	v_addc_co_u32_e64 v58, s[8:9], 0, v3, s[8:9]
	s_mov_b64 s[8:9], -1
	s_and_b64 vcc, exec, vcc
                                        ; implicit-def: $vgpr3_vgpr4_vgpr5_vgpr6_vgpr7_vgpr8_vgpr9_vgpr10
                                        ; implicit-def: $vgpr49
                                        ; implicit-def: $vgpr11_vgpr12_vgpr13_vgpr14_vgpr15_vgpr16_vgpr17_vgpr18
                                        ; implicit-def: $vgpr3
	s_cbranch_vccz .LBB159_25
; %bb.4:                                ;   in Loop: Header=BB159_3 Depth=1
	s_load_dword s8, s[22:23], 0xc
	v_mov_b32_e32 v59, 0
	s_waitcnt lgkmcnt(0)
	s_and_b32 s8, s8, 0xffff
	v_mad_u32_u24 v3, v1, s8, v0
	v_and_b32_e32 v3, 63, v3
	v_cmp_gt_u32_e32 vcc, 8, v3
	s_and_saveexec_b64 s[8:9], vcc
	s_cbranch_execz .LBB159_8
; %bb.5:                                ;   in Loop: Header=BB159_3 Depth=1
	v_add_co_u32_e32 v3, vcc, v57, v3
	v_addc_co_u32_e32 v4, vcc, 0, v58, vcc
	v_add_co_u32_e32 v3, vcc, 0xffffff81, v3
	v_addc_co_u32_e32 v4, vcc, -1, v4, vcc
	v_cmp_gt_i64_e32 vcc, s[12:13], v[3:4]
	v_mov_b32_e32 v59, 0
	s_and_saveexec_b64 s[30:31], vcc
	s_cbranch_execz .LBB159_7
; %bb.6:                                ;   in Loop: Header=BB159_3 Depth=1
	v_lshlrev_b64 v[3:4], 2, v[3:4]
	v_mov_b32_e32 v5, s11
	v_add_co_u32_e32 v3, vcc, s10, v3
	v_addc_co_u32_e32 v4, vcc, v5, v4, vcc
	global_load_dword v59, v[3:4], off
.LBB159_7:                              ;   in Loop: Header=BB159_3 Depth=1
	s_or_b64 exec, exec, s[30:31]
.LBB159_8:                              ;   in Loop: Header=BB159_3 Depth=1
	s_or_b64 exec, exec, s[8:9]
	v_add_co_u32_e32 v3, vcc, 0xffffff81, v57
	v_addc_co_u32_e32 v4, vcc, -1, v58, vcc
	v_mov_b32_e32 v9, v2
	v_cmp_gt_i64_e32 vcc, s[12:13], v[3:4]
	v_mov_b32_e32 v3, v2
	v_mov_b32_e32 v4, v2
	;; [unrolled: 1-line block ×15, first 2 shown]
	s_and_b64 s[30:31], s[2:3], vcc
	v_mov_b32_e32 v9, v8
	v_mov_b32_e32 v8, v7
	;; [unrolled: 1-line block ×7, first 2 shown]
	s_and_saveexec_b64 s[8:9], s[30:31]
	s_cbranch_execz .LBB159_10
; %bb.9:                                ;   in Loop: Header=BB159_3 Depth=1
	v_add_co_u32_e32 v3, vcc, v22, v19
	v_addc_co_u32_e32 v4, vcc, v23, v20, vcc
	global_load_dword v3, v[3:4], off
	v_add_co_u32_e32 v4, vcc, v24, v19
	v_addc_co_u32_e32 v5, vcc, v25, v20, vcc
	global_load_dword v11, v[4:5], off
	v_mov_b32_e32 v4, v2
	v_mov_b32_e32 v5, v2
	;; [unrolled: 1-line block ×14, first 2 shown]
.LBB159_10:                             ;   in Loop: Header=BB159_3 Depth=1
	s_or_b64 exec, exec, s[8:9]
	v_add_co_u32_e32 v60, vcc, 0xffffff82, v57
	v_addc_co_u32_e32 v61, vcc, -1, v58, vcc
	v_cmp_gt_i64_e32 vcc, s[12:13], v[60:61]
	s_and_b64 s[30:31], s[2:3], vcc
	s_and_saveexec_b64 s[8:9], s[30:31]
	s_cbranch_execz .LBB159_12
; %bb.11:                               ;   in Loop: Header=BB159_3 Depth=1
	v_add_co_u32_e32 v60, vcc, v51, v19
	v_addc_co_u32_e32 v61, vcc, v52, v20, vcc
	global_load_dword v4, v[60:61], off
	v_add_co_u32_e32 v60, vcc, v53, v19
	v_addc_co_u32_e32 v61, vcc, v54, v20, vcc
	global_load_dword v12, v[60:61], off
.LBB159_12:                             ;   in Loop: Header=BB159_3 Depth=1
	s_or_b64 exec, exec, s[8:9]
	v_add_co_u32_e32 v60, vcc, 0xffffff83, v57
	v_addc_co_u32_e32 v61, vcc, -1, v58, vcc
	v_cmp_gt_i64_e32 vcc, s[12:13], v[60:61]
	s_and_b64 s[30:31], s[2:3], vcc
	s_and_saveexec_b64 s[8:9], s[30:31]
	s_cbranch_execz .LBB159_14
; %bb.13:                               ;   in Loop: Header=BB159_3 Depth=1
	v_add_co_u32_e32 v60, vcc, v46, v19
	v_addc_co_u32_e32 v61, vcc, v47, v20, vcc
	global_load_dword v5, v[60:61], off
	v_add_co_u32_e32 v60, vcc, v48, v19
	v_addc_co_u32_e32 v61, vcc, v50, v20, vcc
	global_load_dword v13, v[60:61], off
.LBB159_14:                             ;   in Loop: Header=BB159_3 Depth=1
	;; [unrolled: 15-line block ×7, first 2 shown]
	s_or_b64 exec, exec, s[8:9]
	s_waitcnt vmcnt(0)
	ds_bpermute_b32 v49, v55, v59
	ds_bpermute_b32 v60, v55, v59 offset:4
	v_mul_f32_e32 v3, v11, v3
	ds_bpermute_b32 v11, v55, v59 offset:8
	v_mul_f32_e32 v4, v12, v4
	s_waitcnt lgkmcnt(2)
	v_fma_f32 v49, v3, v49, v56
	s_waitcnt lgkmcnt(1)
	v_fmac_f32_e32 v49, v4, v60
	ds_bpermute_b32 v3, v55, v59 offset:12
	v_mul_f32_e32 v4, v13, v5
	s_waitcnt lgkmcnt(1)
	v_fmac_f32_e32 v49, v4, v11
	ds_bpermute_b32 v4, v55, v59 offset:16
	v_mul_f32_e32 v5, v14, v6
	s_waitcnt lgkmcnt(1)
	v_fmac_f32_e32 v49, v5, v3
	v_mul_f32_e32 v3, v15, v7
	ds_bpermute_b32 v5, v55, v59 offset:20
	s_waitcnt lgkmcnt(1)
	v_fmac_f32_e32 v49, v3, v4
	ds_bpermute_b32 v4, v55, v59 offset:24
	ds_bpermute_b32 v3, v55, v59 offset:28
	v_mul_f32_e32 v6, v16, v8
	s_waitcnt lgkmcnt(2)
	v_fmac_f32_e32 v49, v6, v5
	v_mul_f32_e32 v5, v17, v9
	s_waitcnt lgkmcnt(1)
	v_fmac_f32_e32 v49, v5, v4
	s_mov_b64 s[8:9], 0
.LBB159_25:                             ;   in Loop: Header=BB159_3 Depth=1
	s_and_b64 vcc, exec, s[8:9]
	s_cbranch_vccz .LBB159_40
; %bb.26:                               ;   in Loop: Header=BB159_3 Depth=1
	s_load_dword s8, s[22:23], 0x0
	v_mov_b32_e32 v49, 0
	s_waitcnt lgkmcnt(0)
	s_cmp_lt_u32 s6, s8
	s_cselect_b32 s8, 12, 18
	s_add_u32 s8, s22, s8
	s_addc_u32 s9, s23, 0
	global_load_ushort v3, v2, s[8:9]
	s_waitcnt vmcnt(0)
	v_mad_u32_u24 v3, v1, v3, v0
	v_and_b32_e32 v3, 63, v3
	v_cmp_gt_u32_e32 vcc, 8, v3
	s_and_saveexec_b64 s[8:9], vcc
	s_cbranch_execz .LBB159_30
; %bb.27:                               ;   in Loop: Header=BB159_3 Depth=1
	v_add_co_u32_e32 v3, vcc, v57, v3
	v_addc_co_u32_e32 v4, vcc, 0, v58, vcc
	v_add_co_u32_e32 v3, vcc, 0xffffff81, v3
	v_addc_co_u32_e32 v4, vcc, -1, v4, vcc
	v_cmp_gt_i64_e32 vcc, s[12:13], v[3:4]
	v_mov_b32_e32 v49, 0
	s_and_saveexec_b64 s[30:31], vcc
	s_cbranch_execz .LBB159_29
; %bb.28:                               ;   in Loop: Header=BB159_3 Depth=1
	v_lshlrev_b64 v[3:4], 2, v[3:4]
	v_mov_b32_e32 v5, s11
	v_add_co_u32_e32 v3, vcc, s10, v3
	v_addc_co_u32_e32 v4, vcc, v5, v4, vcc
	global_load_dword v49, v[3:4], off
.LBB159_29:                             ;   in Loop: Header=BB159_3 Depth=1
	s_or_b64 exec, exec, s[30:31]
.LBB159_30:                             ;   in Loop: Header=BB159_3 Depth=1
	s_or_b64 exec, exec, s[8:9]
	v_mov_b32_e32 v9, v2
	v_mov_b32_e32 v3, v2
	;; [unrolled: 1-line block ×23, first 2 shown]
	s_and_saveexec_b64 s[8:9], s[2:3]
	s_cbranch_execnz .LBB159_42
; %bb.31:                               ;   in Loop: Header=BB159_3 Depth=1
	s_or_b64 exec, exec, s[8:9]
	s_and_saveexec_b64 s[8:9], s[2:3]
	s_cbranch_execnz .LBB159_43
.LBB159_32:                             ;   in Loop: Header=BB159_3 Depth=1
	s_or_b64 exec, exec, s[8:9]
	s_and_saveexec_b64 s[8:9], s[2:3]
	s_cbranch_execnz .LBB159_44
.LBB159_33:                             ;   in Loop: Header=BB159_3 Depth=1
	s_or_b64 exec, exec, s[8:9]
	s_and_saveexec_b64 s[8:9], s[2:3]
	s_cbranch_execnz .LBB159_45
.LBB159_34:                             ;   in Loop: Header=BB159_3 Depth=1
	s_or_b64 exec, exec, s[8:9]
	s_and_saveexec_b64 s[8:9], s[2:3]
	s_cbranch_execnz .LBB159_46
.LBB159_35:                             ;   in Loop: Header=BB159_3 Depth=1
	s_or_b64 exec, exec, s[8:9]
	s_and_saveexec_b64 s[8:9], s[2:3]
	s_cbranch_execnz .LBB159_47
.LBB159_36:                             ;   in Loop: Header=BB159_3 Depth=1
	s_or_b64 exec, exec, s[8:9]
	s_and_saveexec_b64 s[8:9], s[2:3]
	s_cbranch_execnz .LBB159_48
.LBB159_37:                             ;   in Loop: Header=BB159_3 Depth=1
	s_or_b64 exec, exec, s[8:9]
	s_and_saveexec_b64 s[8:9], s[2:3]
	s_cbranch_execz .LBB159_39
.LBB159_38:                             ;   in Loop: Header=BB159_3 Depth=1
	v_add_co_u32_e32 v57, vcc, v26, v19
	v_addc_co_u32_e32 v58, vcc, v27, v20, vcc
	global_load_dword v10, v[57:58], off
	v_add_co_u32_e32 v57, vcc, v28, v19
	v_addc_co_u32_e32 v58, vcc, v29, v20, vcc
	global_load_dword v18, v[57:58], off
.LBB159_39:                             ;   in Loop: Header=BB159_3 Depth=1
	s_or_b64 exec, exec, s[8:9]
	s_waitcnt vmcnt(0)
	ds_bpermute_b32 v57, v55, v49
	ds_bpermute_b32 v58, v55, v49 offset:4
	v_mul_f32_e32 v3, v11, v3
	ds_bpermute_b32 v11, v55, v49 offset:8
	v_mul_f32_e32 v4, v12, v4
	s_waitcnt lgkmcnt(2)
	v_fmac_f32_e32 v56, v3, v57
	s_waitcnt lgkmcnt(1)
	v_fmac_f32_e32 v56, v4, v58
	ds_bpermute_b32 v3, v55, v49 offset:12
	v_mul_f32_e32 v4, v13, v5
	s_waitcnt lgkmcnt(1)
	v_fmac_f32_e32 v56, v4, v11
	ds_bpermute_b32 v4, v55, v49 offset:16
	v_mul_f32_e32 v5, v14, v6
	s_waitcnt lgkmcnt(1)
	v_fmac_f32_e32 v56, v5, v3
	v_mul_f32_e32 v3, v15, v7
	ds_bpermute_b32 v5, v55, v49 offset:20
	s_waitcnt lgkmcnt(1)
	v_fmac_f32_e32 v56, v3, v4
	ds_bpermute_b32 v4, v55, v49 offset:24
	ds_bpermute_b32 v3, v55, v49 offset:28
	v_mul_f32_e32 v6, v16, v8
	s_waitcnt lgkmcnt(2)
	v_fmac_f32_e32 v56, v6, v5
	v_mul_f32_e32 v5, v17, v9
	s_waitcnt lgkmcnt(1)
	v_fmac_f32_e32 v56, v5, v4
	v_mov_b32_e32 v49, v56
.LBB159_40:                             ;   in Loop: Header=BB159_3 Depth=1
	v_mul_f32_e32 v4, v10, v18
	s_waitcnt lgkmcnt(0)
	v_fmac_f32_e32 v49, v4, v3
	v_mov_b32_e32 v3, s25
	v_add_co_u32_e32 v22, vcc, s24, v22
	v_addc_co_u32_e32 v23, vcc, v23, v3, vcc
	v_add_co_u32_e32 v24, vcc, s24, v24
	v_addc_co_u32_e32 v25, vcc, v25, v3, vcc
	;; [unrolled: 2-line block ×15, first 2 shown]
	v_add_co_u32_e32 v53, vcc, s24, v53
	s_add_u32 s28, s28, s7
	v_addc_co_u32_e32 v54, vcc, v54, v3, vcc
	v_mov_b32_e32 v3, s12
	s_addc_u32 s29, s29, 0
	v_mov_b32_e32 v4, s13
	v_cmp_lt_i64_e32 vcc, s[28:29], v[3:4]
	s_add_u32 s26, s26, s7
	s_addc_u32 s27, s27, 0
	s_cbranch_vccz .LBB159_50
; %bb.41:                               ;   in Loop: Header=BB159_3 Depth=1
	v_mov_b32_e32 v56, v49
	s_branch .LBB159_3
.LBB159_42:                             ;   in Loop: Header=BB159_3 Depth=1
	v_add_co_u32_e32 v3, vcc, v22, v19
	v_addc_co_u32_e32 v4, vcc, v23, v20, vcc
	global_load_dword v3, v[3:4], off
	v_add_co_u32_e32 v4, vcc, v24, v19
	v_addc_co_u32_e32 v5, vcc, v25, v20, vcc
	global_load_dword v11, v[4:5], off
	v_mov_b32_e32 v4, v2
	v_mov_b32_e32 v5, v2
	;; [unrolled: 1-line block ×14, first 2 shown]
	s_or_b64 exec, exec, s[8:9]
	s_and_saveexec_b64 s[8:9], s[2:3]
	s_cbranch_execz .LBB159_32
.LBB159_43:                             ;   in Loop: Header=BB159_3 Depth=1
	v_add_co_u32_e32 v57, vcc, v51, v19
	v_addc_co_u32_e32 v58, vcc, v52, v20, vcc
	global_load_dword v4, v[57:58], off
	v_add_co_u32_e32 v57, vcc, v53, v19
	v_addc_co_u32_e32 v58, vcc, v54, v20, vcc
	global_load_dword v12, v[57:58], off
	s_or_b64 exec, exec, s[8:9]
	s_and_saveexec_b64 s[8:9], s[2:3]
	s_cbranch_execz .LBB159_33
.LBB159_44:                             ;   in Loop: Header=BB159_3 Depth=1
	v_add_co_u32_e32 v57, vcc, v46, v19
	v_addc_co_u32_e32 v58, vcc, v47, v20, vcc
	global_load_dword v5, v[57:58], off
	v_add_co_u32_e32 v57, vcc, v48, v19
	v_addc_co_u32_e32 v58, vcc, v50, v20, vcc
	global_load_dword v13, v[57:58], off
	s_or_b64 exec, exec, s[8:9]
	s_and_saveexec_b64 s[8:9], s[2:3]
	s_cbranch_execz .LBB159_34
.LBB159_45:                             ;   in Loop: Header=BB159_3 Depth=1
	v_add_co_u32_e32 v57, vcc, v42, v19
	v_addc_co_u32_e32 v58, vcc, v43, v20, vcc
	global_load_dword v6, v[57:58], off
	v_add_co_u32_e32 v57, vcc, v44, v19
	v_addc_co_u32_e32 v58, vcc, v45, v20, vcc
	global_load_dword v14, v[57:58], off
	s_or_b64 exec, exec, s[8:9]
	s_and_saveexec_b64 s[8:9], s[2:3]
	s_cbranch_execz .LBB159_35
.LBB159_46:                             ;   in Loop: Header=BB159_3 Depth=1
	v_add_co_u32_e32 v57, vcc, v38, v19
	v_addc_co_u32_e32 v58, vcc, v39, v20, vcc
	global_load_dword v7, v[57:58], off
	v_add_co_u32_e32 v57, vcc, v40, v19
	v_addc_co_u32_e32 v58, vcc, v41, v20, vcc
	global_load_dword v15, v[57:58], off
	s_or_b64 exec, exec, s[8:9]
	s_and_saveexec_b64 s[8:9], s[2:3]
	s_cbranch_execz .LBB159_36
.LBB159_47:                             ;   in Loop: Header=BB159_3 Depth=1
	v_add_co_u32_e32 v57, vcc, v34, v19
	v_addc_co_u32_e32 v58, vcc, v35, v20, vcc
	global_load_dword v8, v[57:58], off
	v_add_co_u32_e32 v57, vcc, v36, v19
	v_addc_co_u32_e32 v58, vcc, v37, v20, vcc
	global_load_dword v16, v[57:58], off
	s_or_b64 exec, exec, s[8:9]
	s_and_saveexec_b64 s[8:9], s[2:3]
	s_cbranch_execz .LBB159_37
.LBB159_48:                             ;   in Loop: Header=BB159_3 Depth=1
	v_add_co_u32_e32 v57, vcc, v30, v19
	v_addc_co_u32_e32 v58, vcc, v31, v20, vcc
	global_load_dword v9, v[57:58], off
	v_add_co_u32_e32 v57, vcc, v32, v19
	v_addc_co_u32_e32 v58, vcc, v33, v20, vcc
	global_load_dword v17, v[57:58], off
	s_or_b64 exec, exec, s[8:9]
	s_and_saveexec_b64 s[8:9], s[2:3]
	s_cbranch_execnz .LBB159_38
	s_branch .LBB159_39
.LBB159_49:
                                        ; implicit-def: $vgpr49
	s_branch .LBB159_51
.LBB159_50:
	s_cbranch_execnz .LBB159_83
.LBB159_51:
	s_and_b64 vcc, exec, s[0:1]
	v_mov_b32_e32 v49, 0
	s_cbranch_vccnz .LBB159_83
; %bb.52:
	v_lshlrev_b32_e32 v50, 3, v1
	v_add_co_u32_e32 v6, vcc, s20, v50
	v_addc_co_u32_e64 v7, s[0:1], 0, 0, vcc
	s_load_dword s7, s[4:5], 0x44
	v_mul_lo_u32 v2, s15, v6
	v_mul_lo_u32 v3, s14, v7
	v_mad_u64_u32 v[4:5], s[0:1], s14, v6, 0
	s_add_u32 s2, s4, 64
	s_addc_u32 s3, s5, 0
	v_add3_u32 v5, v5, v3, v2
	s_waitcnt lgkmcnt(0)
	s_lshl_b32 s7, s7, 7
	v_lshlrev_b64 v[2:3], 2, v[4:5]
	s_mul_i32 s0, s15, s7
	s_mul_hi_u32 s1, s14, s7
	v_mov_b32_e32 v8, s17
	v_add_co_u32_e32 v51, vcc, s16, v2
	s_add_i32 s1, s1, s0
	s_mul_i32 s0, s14, s7
	v_addc_co_u32_e32 v52, vcc, v8, v3, vcc
	s_lshl_b64 s[8:9], s[0:1], 2
	v_mov_b32_e32 v8, s19
	v_add_co_u32_e32 v53, vcc, s18, v2
	s_add_u32 s22, s20, 0x7f
	v_addc_co_u32_e32 v54, vcc, v8, v3, vcc
	s_addc_u32 s23, 0, 0
	v_lshlrev_b32_e32 v2, 5, v1
	s_lshl_b64 s[0:1], s[20:21], 2
	v_mov_b32_e32 v3, s1
	v_add_co_u32_e32 v8, vcc, s0, v2
	v_addc_co_u32_e32 v9, vcc, 0, v3, vcc
	v_add_co_u32_e32 v12, vcc, 4, v8
	v_addc_co_u32_e32 v10, vcc, 0, v9, vcc
	v_mov_b32_e32 v2, s16
	v_mul_lo_u32 v14, s14, v10
	v_mov_b32_e32 v10, s18
	v_mov_b32_e32 v3, s17
	;; [unrolled: 1-line block ×3, first 2 shown]
	v_mad_u64_u32 v[19:20], s[0:1], s14, v12, v[2:3]
	v_mul_lo_u32 v15, s15, v12
	v_mad_u64_u32 v[21:22], s[0:1], s14, v12, v[10:11]
	v_add_co_u32_e32 v12, vcc, 8, v8
	v_addc_co_u32_e32 v16, vcc, 0, v9, vcc
	v_mov_b32_e32 v13, s15
	v_add_co_u32_e32 v4, vcc, s14, v4
	v_addc_co_u32_e32 v5, vcc, v5, v13, vcc
	v_mul_lo_u32 v17, s15, v12
	v_mad_u64_u32 v[23:24], s[0:1], s14, v12, v[2:3]
	v_mad_u64_u32 v[25:26], s[0:1], s14, v12, v[10:11]
	v_add_co_u32_e32 v12, vcc, 12, v8
	v_addc_co_u32_e32 v13, vcc, 0, v9, vcc
	v_add3_u32 v20, v15, v20, v14
	v_add3_u32 v22, v15, v22, v14
	v_mul_lo_u32 v13, s14, v13
	v_mul_lo_u32 v14, s15, v12
	v_mad_u64_u32 v[27:28], s[0:1], s14, v12, v[2:3]
	v_mad_u64_u32 v[29:30], s[0:1], s14, v12, v[10:11]
	v_add_co_u32_e32 v12, vcc, 16, v8
	v_mul_lo_u32 v16, s14, v16
	v_addc_co_u32_e32 v15, vcc, 0, v9, vcc
	v_mul_lo_u32 v18, s15, v12
	v_mad_u64_u32 v[31:32], s[0:1], s14, v12, v[2:3]
	v_mad_u64_u32 v[33:34], s[0:1], s14, v12, v[10:11]
	v_add_co_u32_e32 v12, vcc, 20, v8
	v_add3_u32 v28, v14, v28, v13
	v_add3_u32 v30, v14, v30, v13
	v_addc_co_u32_e32 v13, vcc, 0, v9, vcc
	v_mul_lo_u32 v14, s15, v12
	v_mad_u64_u32 v[35:36], s[0:1], s14, v12, v[2:3]
	v_mad_u64_u32 v[37:38], s[0:1], s14, v12, v[10:11]
	v_add_co_u32_e32 v12, vcc, 24, v8
	v_add3_u32 v24, v17, v24, v16
	v_add3_u32 v26, v17, v26, v16
	v_addc_co_u32_e32 v16, vcc, 0, v9, vcc
	v_add_co_u32_e32 v8, vcc, 28, v8
	v_addc_co_u32_e32 v9, vcc, 0, v9, vcc
	v_mad_u64_u32 v[39:40], s[0:1], s14, v12, v[2:3]
	v_mad_u64_u32 v[43:44], s[0:1], s14, v8, v[2:3]
	v_add_co_u32_e32 v2, vcc, 7, v6
	v_addc_co_u32_e32 v3, vcc, 0, v7, vcc
	v_mad_u64_u32 v[41:42], s[0:1], s14, v12, v[10:11]
	v_mad_u64_u32 v[45:46], s[0:1], s14, v8, v[10:11]
	v_mul_lo_u32 v10, s14, v3
	v_mul_lo_u32 v11, s15, v2
	v_mad_u64_u32 v[2:3], s[0:1], s14, v2, 0
	v_mul_lo_u32 v9, s14, v9
	v_mul_lo_u32 v8, s15, v8
	v_add3_u32 v3, v3, v10, v11
	v_lshlrev_b64 v[2:3], 2, v[2:3]
	v_mul_lo_u32 v17, s15, v12
	v_add3_u32 v44, v8, v44, v9
	v_add3_u32 v46, v8, v46, v9
	v_mov_b32_e32 v8, s17
	v_add_co_u32_e32 v55, vcc, s16, v2
	v_addc_co_u32_e32 v56, vcc, v8, v3, vcc
	v_add_co_u32_e32 v8, vcc, 6, v6
	v_addc_co_u32_e32 v9, vcc, 0, v7, vcc
	v_mul_lo_u32 v11, s14, v9
	v_mul_lo_u32 v12, s15, v8
	v_mad_u64_u32 v[8:9], s[0:1], s14, v8, 0
	v_mov_b32_e32 v10, s19
	v_add_co_u32_e32 v57, vcc, s18, v2
	v_add3_u32 v9, v9, v11, v12
	v_addc_co_u32_e32 v58, vcc, v10, v3, vcc
	v_lshlrev_b64 v[2:3], 2, v[8:9]
	v_mov_b32_e32 v8, s17
	v_add_co_u32_e32 v59, vcc, s16, v2
	v_addc_co_u32_e32 v60, vcc, v8, v3, vcc
	v_add_co_u32_e32 v8, vcc, 5, v6
	v_addc_co_u32_e32 v9, vcc, 0, v7, vcc
	v_mul_lo_u32 v11, s14, v9
	v_mul_lo_u32 v12, s15, v8
	v_mad_u64_u32 v[8:9], s[0:1], s14, v8, 0
	v_add_co_u32_e32 v61, vcc, s18, v2
	v_add3_u32 v9, v9, v11, v12
	v_addc_co_u32_e32 v62, vcc, v10, v3, vcc
	v_lshlrev_b64 v[2:3], 2, v[8:9]
	v_mov_b32_e32 v8, s17
	v_add_co_u32_e32 v63, vcc, s16, v2
	v_addc_co_u32_e32 v64, vcc, v8, v3, vcc
	v_add_co_u32_e32 v8, vcc, 4, v6
	v_addc_co_u32_e32 v9, vcc, 0, v7, vcc
	v_mul_lo_u32 v11, s14, v9
	v_mul_lo_u32 v12, s15, v8
	v_mad_u64_u32 v[8:9], s[0:1], s14, v8, 0
	v_add_co_u32_e32 v65, vcc, s18, v2
	v_add3_u32 v9, v9, v11, v12
	v_addc_co_u32_e32 v66, vcc, v10, v3, vcc
	v_lshlrev_b64 v[2:3], 2, v[8:9]
	v_mov_b32_e32 v8, s17
	v_add_co_u32_e32 v67, vcc, s16, v2
	v_addc_co_u32_e32 v68, vcc, v8, v3, vcc
	v_add_co_u32_e32 v8, vcc, 3, v6
	v_addc_co_u32_e32 v9, vcc, 0, v7, vcc
	v_mul_lo_u32 v11, s14, v9
	v_mul_lo_u32 v12, s15, v8
	v_mad_u64_u32 v[8:9], s[0:1], s14, v8, 0
	v_add_co_u32_e32 v69, vcc, s18, v2
	v_add3_u32 v9, v9, v11, v12
	v_addc_co_u32_e32 v70, vcc, v10, v3, vcc
	v_lshlrev_b64 v[2:3], 2, v[8:9]
	v_mov_b32_e32 v8, s17
	v_add_co_u32_e32 v71, vcc, s16, v2
	v_addc_co_u32_e32 v72, vcc, v8, v3, vcc
	v_add_co_u32_e32 v6, vcc, 2, v6
	v_addc_co_u32_e32 v7, vcc, 0, v7, vcc
	v_mul_lo_u32 v9, s14, v7
	v_mul_lo_u32 v10, s15, v6
	v_mad_u64_u32 v[6:7], s[0:1], s14, v6, 0
	v_mov_b32_e32 v8, s19
	v_add_co_u32_e32 v73, vcc, s18, v2
	v_add3_u32 v7, v7, v9, v10
	v_addc_co_u32_e32 v74, vcc, v8, v3, vcc
	v_lshlrev_b64 v[2:3], 2, v[6:7]
	v_mov_b32_e32 v6, s17
	v_add_co_u32_e32 v75, vcc, s16, v2
	v_addc_co_u32_e32 v76, vcc, v6, v3, vcc
	v_mov_b32_e32 v6, s19
	v_add_co_u32_e32 v77, vcc, s18, v2
	v_addc_co_u32_e32 v78, vcc, v6, v3, vcc
	v_lshlrev_b64 v[2:3], 2, v[4:5]
	v_mov_b32_e32 v4, s17
	v_add_co_u32_e32 v79, vcc, s16, v2
	v_addc_co_u32_e32 v80, vcc, v4, v3, vcc
	v_mov_b32_e32 v4, s19
	v_add_co_u32_e32 v81, vcc, s18, v2
	v_mov_b32_e32 v2, 0
	v_mul_lo_u32 v15, s14, v15
	v_mul_lo_u32 v13, s14, v13
	;; [unrolled: 1-line block ×3, first 2 shown]
	v_addc_co_u32_e32 v82, vcc, v4, v3, vcc
	v_add_u32_e32 v3, s33, v0
	v_mov_b32_e32 v4, v2
	v_lshlrev_b64 v[47:48], 2, v[3:4]
	v_mbcnt_lo_u32_b32 v3, -1, 0
	v_mbcnt_hi_u32_b32 v3, -1, v3
	v_lshlrev_b32_e32 v3, 2, v3
	v_add3_u32 v32, v18, v32, v15
	v_add3_u32 v34, v18, v34, v15
	;; [unrolled: 1-line block ×6, first 2 shown]
	v_and_b32_e32 v83, 0x100, v3
	v_mov_b32_e32 v84, 0
.LBB159_53:                             ; =>This Inner Loop Header: Depth=1
	v_mov_b32_e32 v3, s12
	v_mov_b32_e32 v4, s13
	v_cmp_ge_i64_e32 vcc, s[22:23], v[3:4]
	v_mov_b32_e32 v3, s23
	v_add_co_u32_e64 v85, s[0:1], s22, v50
	v_addc_co_u32_e64 v86, s[0:1], 0, v3, s[0:1]
	s_mov_b64 s[0:1], -1
                                        ; implicit-def: $vgpr49
	s_cbranch_vccz .LBB159_75
; %bb.54:                               ;   in Loop: Header=BB159_53 Depth=1
	s_load_dword s0, s[2:3], 0xc
	v_mov_b32_e32 v87, 0
	s_waitcnt lgkmcnt(0)
	s_and_b32 s0, s0, 0xffff
	v_mad_u32_u24 v3, v1, s0, v0
	v_and_b32_e32 v3, 63, v3
	v_cmp_gt_u32_e32 vcc, 8, v3
	s_and_saveexec_b64 s[0:1], vcc
	s_cbranch_execz .LBB159_58
; %bb.55:                               ;   in Loop: Header=BB159_53 Depth=1
	v_add_co_u32_e32 v3, vcc, v85, v3
	v_addc_co_u32_e32 v4, vcc, 0, v86, vcc
	v_add_co_u32_e32 v3, vcc, 0xffffff81, v3
	v_addc_co_u32_e32 v4, vcc, -1, v4, vcc
	v_cmp_gt_i64_e32 vcc, s[12:13], v[3:4]
	v_mov_b32_e32 v87, 0
	s_and_saveexec_b64 s[16:17], vcc
	s_cbranch_execz .LBB159_57
; %bb.56:                               ;   in Loop: Header=BB159_53 Depth=1
	v_lshlrev_b64 v[3:4], 2, v[3:4]
	v_mov_b32_e32 v5, s11
	v_add_co_u32_e32 v3, vcc, s10, v3
	v_addc_co_u32_e32 v4, vcc, v5, v4, vcc
	global_load_dword v87, v[3:4], off
.LBB159_57:                             ;   in Loop: Header=BB159_53 Depth=1
	s_or_b64 exec, exec, s[16:17]
.LBB159_58:                             ;   in Loop: Header=BB159_53 Depth=1
	s_or_b64 exec, exec, s[0:1]
	v_add_co_u32_e32 v3, vcc, 0xffffff81, v85
	v_addc_co_u32_e32 v4, vcc, -1, v86, vcc
	v_mov_b32_e32 v9, v2
	v_cmp_gt_i64_e32 vcc, s[12:13], v[3:4]
	v_mov_b32_e32 v3, v2
	v_mov_b32_e32 v4, v2
	;; [unrolled: 1-line block ×22, first 2 shown]
	s_and_saveexec_b64 s[0:1], vcc
	s_cbranch_execz .LBB159_60
; %bb.59:                               ;   in Loop: Header=BB159_53 Depth=1
	v_add_co_u32_e32 v3, vcc, v51, v47
	v_addc_co_u32_e32 v4, vcc, v52, v48, vcc
	global_load_dword v3, v[3:4], off
	v_add_co_u32_e32 v4, vcc, v53, v47
	v_addc_co_u32_e32 v5, vcc, v54, v48, vcc
	global_load_dword v11, v[4:5], off
	v_mov_b32_e32 v4, v2
	v_mov_b32_e32 v5, v2
	v_mov_b32_e32 v6, v2
	v_mov_b32_e32 v7, v2
	v_mov_b32_e32 v8, v2
	v_mov_b32_e32 v9, v2
	v_mov_b32_e32 v10, v2
	v_mov_b32_e32 v12, v2
	v_mov_b32_e32 v13, v2
	v_mov_b32_e32 v14, v2
	v_mov_b32_e32 v15, v2
	v_mov_b32_e32 v16, v2
	v_mov_b32_e32 v17, v2
	v_mov_b32_e32 v18, v2
.LBB159_60:                             ;   in Loop: Header=BB159_53 Depth=1
	s_or_b64 exec, exec, s[0:1]
	v_add_co_u32_e32 v88, vcc, 0xffffff82, v85
	v_addc_co_u32_e32 v89, vcc, -1, v86, vcc
	v_cmp_gt_i64_e32 vcc, s[12:13], v[88:89]
	s_and_saveexec_b64 s[0:1], vcc
	s_cbranch_execz .LBB159_62
; %bb.61:                               ;   in Loop: Header=BB159_53 Depth=1
	v_add_co_u32_e32 v88, vcc, v79, v47
	v_addc_co_u32_e32 v89, vcc, v80, v48, vcc
	global_load_dword v4, v[88:89], off
	v_add_co_u32_e32 v88, vcc, v81, v47
	v_addc_co_u32_e32 v89, vcc, v82, v48, vcc
	global_load_dword v12, v[88:89], off
.LBB159_62:                             ;   in Loop: Header=BB159_53 Depth=1
	s_or_b64 exec, exec, s[0:1]
	v_add_co_u32_e32 v88, vcc, 0xffffff83, v85
	v_addc_co_u32_e32 v89, vcc, -1, v86, vcc
	v_cmp_gt_i64_e32 vcc, s[12:13], v[88:89]
	s_and_saveexec_b64 s[0:1], vcc
	s_cbranch_execz .LBB159_64
; %bb.63:                               ;   in Loop: Header=BB159_53 Depth=1
	v_add_co_u32_e32 v88, vcc, v75, v47
	v_addc_co_u32_e32 v89, vcc, v76, v48, vcc
	global_load_dword v5, v[88:89], off
	v_add_co_u32_e32 v88, vcc, v77, v47
	v_addc_co_u32_e32 v89, vcc, v78, v48, vcc
	global_load_dword v13, v[88:89], off
.LBB159_64:                             ;   in Loop: Header=BB159_53 Depth=1
	;; [unrolled: 14-line block ×7, first 2 shown]
	s_or_b64 exec, exec, s[0:1]
	s_waitcnt vmcnt(0)
	ds_bpermute_b32 v49, v83, v87
	ds_bpermute_b32 v88, v83, v87 offset:4
	v_mul_f32_e32 v3, v11, v3
	ds_bpermute_b32 v11, v83, v87 offset:8
	v_mul_f32_e32 v4, v12, v4
	s_waitcnt lgkmcnt(2)
	v_fma_f32 v49, v3, v49, v84
	s_waitcnt lgkmcnt(1)
	v_fmac_f32_e32 v49, v4, v88
	ds_bpermute_b32 v3, v83, v87 offset:12
	v_mul_f32_e32 v4, v13, v5
	s_waitcnt lgkmcnt(1)
	v_fmac_f32_e32 v49, v4, v11
	ds_bpermute_b32 v4, v83, v87 offset:16
	v_mul_f32_e32 v5, v14, v6
	s_waitcnt lgkmcnt(1)
	v_fmac_f32_e32 v49, v5, v3
	v_mul_f32_e32 v3, v15, v7
	ds_bpermute_b32 v5, v83, v87 offset:20
	s_waitcnt lgkmcnt(1)
	v_fmac_f32_e32 v49, v3, v4
	ds_bpermute_b32 v3, v83, v87 offset:24
	ds_bpermute_b32 v6, v83, v87 offset:28
	v_mul_f32_e32 v4, v16, v8
	s_waitcnt lgkmcnt(2)
	v_fmac_f32_e32 v49, v4, v5
	v_mul_f32_e32 v4, v17, v9
	s_waitcnt lgkmcnt(1)
	v_fmac_f32_e32 v49, v4, v3
	;; [unrolled: 3-line block ×3, first 2 shown]
	s_mov_b64 s[0:1], 0
.LBB159_75:                             ;   in Loop: Header=BB159_53 Depth=1
	s_and_b64 vcc, exec, s[0:1]
	s_cbranch_vccz .LBB159_81
; %bb.76:                               ;   in Loop: Header=BB159_53 Depth=1
	s_load_dword s0, s[2:3], 0x0
	v_mov_b32_e32 v5, 0
	s_waitcnt lgkmcnt(0)
	s_cmp_lt_u32 s6, s0
	s_cselect_b32 s0, 12, 18
	s_add_u32 s0, s2, s0
	s_addc_u32 s1, s3, 0
	global_load_ushort v3, v2, s[0:1]
	s_waitcnt vmcnt(0)
	v_mad_u32_u24 v3, v1, v3, v0
	v_and_b32_e32 v3, 63, v3
	v_cmp_gt_u32_e32 vcc, 8, v3
	s_and_saveexec_b64 s[0:1], vcc
	s_cbranch_execz .LBB159_80
; %bb.77:                               ;   in Loop: Header=BB159_53 Depth=1
	v_add_co_u32_e32 v3, vcc, v85, v3
	v_addc_co_u32_e32 v4, vcc, 0, v86, vcc
	v_add_co_u32_e32 v3, vcc, 0xffffff81, v3
	v_addc_co_u32_e32 v4, vcc, -1, v4, vcc
	v_cmp_gt_i64_e32 vcc, s[12:13], v[3:4]
	v_mov_b32_e32 v5, 0
	s_and_saveexec_b64 s[16:17], vcc
	s_cbranch_execz .LBB159_79
; %bb.78:                               ;   in Loop: Header=BB159_53 Depth=1
	v_lshlrev_b64 v[3:4], 2, v[3:4]
	v_mov_b32_e32 v5, s11
	v_add_co_u32_e32 v3, vcc, s10, v3
	v_addc_co_u32_e32 v4, vcc, v5, v4, vcc
	global_load_dword v5, v[3:4], off
.LBB159_79:                             ;   in Loop: Header=BB159_53 Depth=1
	s_or_b64 exec, exec, s[16:17]
.LBB159_80:                             ;   in Loop: Header=BB159_53 Depth=1
	s_or_b64 exec, exec, s[0:1]
	v_add_co_u32_e32 v3, vcc, v51, v47
	v_addc_co_u32_e32 v4, vcc, v52, v48, vcc
	global_load_dword v6, v[3:4], off
	v_add_co_u32_e32 v3, vcc, v53, v47
	v_addc_co_u32_e32 v4, vcc, v54, v48, vcc
	global_load_dword v7, v[3:4], off
	;; [unrolled: 3-line block ×16, first 2 shown]
	s_waitcnt vmcnt(16)
	ds_bpermute_b32 v4, v83, v5
	ds_bpermute_b32 v86, v83, v5 offset:4
	s_waitcnt vmcnt(14)
	v_mul_f32_e32 v6, v6, v7
	s_waitcnt lgkmcnt(1)
	v_fmac_f32_e32 v84, v6, v4
	ds_bpermute_b32 v4, v83, v5 offset:8
	s_waitcnt vmcnt(12)
	v_mul_f32_e32 v6, v8, v9
	s_waitcnt lgkmcnt(1)
	v_fmac_f32_e32 v84, v6, v86
	ds_bpermute_b32 v6, v83, v5 offset:12
	s_waitcnt vmcnt(10)
	v_mul_f32_e32 v7, v10, v11
	s_waitcnt lgkmcnt(1)
	v_fmac_f32_e32 v84, v7, v4
	ds_bpermute_b32 v4, v83, v5 offset:16
	s_waitcnt vmcnt(8)
	v_mul_f32_e32 v7, v12, v13
	s_waitcnt lgkmcnt(1)
	v_fmac_f32_e32 v84, v7, v6
	ds_bpermute_b32 v7, v83, v5 offset:20
	s_waitcnt vmcnt(6)
	v_mul_f32_e32 v6, v14, v15
	s_waitcnt lgkmcnt(1)
	v_fmac_f32_e32 v84, v6, v4
	ds_bpermute_b32 v4, v83, v5 offset:24
	ds_bpermute_b32 v5, v83, v5 offset:28
	s_waitcnt vmcnt(4)
	v_mul_f32_e32 v6, v16, v17
	s_waitcnt lgkmcnt(2)
	v_fmac_f32_e32 v84, v6, v7
	s_waitcnt vmcnt(2)
	v_mul_f32_e32 v6, v18, v49
	s_waitcnt lgkmcnt(1)
	v_fmac_f32_e32 v84, v6, v4
	;; [unrolled: 4-line block ×3, first 2 shown]
	v_mov_b32_e32 v49, v84
.LBB159_81:                             ;   in Loop: Header=BB159_53 Depth=1
	v_mov_b32_e32 v5, s9
	v_add_co_u32_e32 v51, vcc, s8, v51
	v_addc_co_u32_e32 v52, vcc, v52, v5, vcc
	v_add_co_u32_e32 v53, vcc, s8, v53
	v_addc_co_u32_e32 v54, vcc, v54, v5, vcc
	;; [unrolled: 2-line block ×28, first 2 shown]
	s_add_u32 s20, s20, s7
	v_add_co_u32_e32 v79, vcc, s8, v79
	v_mov_b32_e32 v3, s12
	s_addc_u32 s21, s21, 0
	v_addc_co_u32_e32 v80, vcc, v80, v5, vcc
	v_mov_b32_e32 v4, s13
	v_cmp_ge_i64_e32 vcc, s[20:21], v[3:4]
	s_add_u32 s22, s22, s7
	v_add_co_u32_e64 v81, s[0:1], s8, v81
	s_addc_u32 s23, s23, 0
	v_addc_co_u32_e64 v82, s[0:1], v82, v5, s[0:1]
	s_cbranch_vccnz .LBB159_83
; %bb.82:                               ;   in Loop: Header=BB159_53 Depth=1
	v_mov_b32_e32 v84, v49
	s_branch .LBB159_53
.LBB159_83:
	v_mad_u32_u24 v2, v1, 33, v0
	v_lshl_add_u32 v3, v2, 2, 0
	v_mov_b32_e32 v4, 0
	ds_write_b32 v3, v4 offset:2112
	v_sub_u32_e32 v4, v2, v1
	s_movk_i32 s0, 0x800
	v_cmp_gt_u32_e32 vcc, s0, v4
	ds_write_b32 v3, v49
	s_waitcnt lgkmcnt(0)
	s_barrier
	s_and_saveexec_b64 s[0:1], vcc
	s_cbranch_execz .LBB159_103
; %bb.84:
	s_load_dwordx2 s[4:5], s[4:5], 0x30
	v_and_b32_e32 v1, 63, v4
	v_lshrrev_b32_e32 v2, 6, v4
	v_cmp_gt_u32_e32 vcc, 16, v1
	v_mul_u32_u24_e32 v3, 33, v1
                                        ; implicit-def: $vgpr1
	s_and_saveexec_b64 s[0:1], vcc
; %bb.85:
	v_lshlrev_b32_e32 v1, 2, v2
	v_lshlrev_b32_e32 v5, 2, v3
	v_add3_u32 v1, 0, v1, v5
	ds_read_b32 v1, v1
; %bb.86:
	s_or_b64 exec, exec, s[0:1]
	v_mbcnt_lo_u32_b32 v5, -1, 0
	v_mbcnt_hi_u32_b32 v8, -1, v5
	v_and_b32_e32 v5, 64, v8
	v_add_u32_e32 v9, 64, v5
	v_xor_b32_e32 v5, 8, v8
	v_cmp_lt_i32_e64 s[0:1], v5, v9
	v_cndmask_b32_e64 v5, v8, v5, s[0:1]
	v_lshlrev_b32_e32 v5, 2, v5
	s_waitcnt lgkmcnt(0)
	ds_bpermute_b32 v6, v5, v1
	v_xor_b32_e32 v7, 4, v8
	v_cmp_lt_i32_e64 s[0:1], v7, v9
	v_xor_b32_e32 v10, 2, v8
	s_mov_b32 s7, 0
	s_waitcnt lgkmcnt(0)
	v_add_f32_e32 v1, v1, v6
	v_cndmask_b32_e64 v6, v8, v7, s[0:1]
	v_lshlrev_b32_e32 v6, 2, v6
	ds_bpermute_b32 v7, v6, v1
	v_cmp_lt_i32_e64 s[0:1], v10, v9
	s_lshl_b64 s[6:7], s[6:7], 5
	s_cmp_eq_u64 s[4:5], 0
	s_cselect_b64 s[8:9], -1, 0
	s_waitcnt lgkmcnt(0)
	v_add_f32_e32 v1, v1, v7
	v_cndmask_b32_e64 v7, v8, v10, s[0:1]
	v_lshlrev_b32_e32 v7, 2, v7
	ds_bpermute_b32 v10, v7, v1
	v_cmp_ne_u32_e64 s[0:1], 0, v0
	v_xor_b32_e32 v0, 1, v8
	v_cmp_lt_i32_e64 s[2:3], v0, v9
	v_cndmask_b32_e64 v0, v8, v0, s[2:3]
	s_waitcnt lgkmcnt(0)
	v_add_f32_e32 v10, v1, v10
	v_lshlrev_b32_e32 v8, 2, v0
	ds_bpermute_b32 v9, v8, v10
	v_or_b32_e32 v0, s6, v2
	v_mov_b32_e32 v1, s7
	v_cmp_le_i64_e64 s[2:3], s[14:15], v[0:1]
	s_or_b64 s[2:3], s[0:1], s[2:3]
	s_waitcnt lgkmcnt(0)
	v_add_f32_e32 v9, v10, v9
	s_nor_b64 s[2:3], s[8:9], s[2:3]
	s_and_saveexec_b64 s[10:11], s[2:3]
	s_cbranch_execz .LBB159_88
; %bb.87:
	v_lshlrev_b64 v[0:1], 2, v[0:1]
	v_mov_b32_e32 v10, s5
	v_add_co_u32_e64 v0, s[2:3], s4, v0
	v_addc_co_u32_e64 v1, s[2:3], v10, v1, s[2:3]
	global_store_dword v[0:1], v9, off
.LBB159_88:
	s_or_b64 exec, exec, s[10:11]
	s_movk_i32 s2, 0x600
	v_cmp_gt_u32_e64 s[2:3], s2, v4
	s_and_b64 exec, exec, s[2:3]
	s_cbranch_execz .LBB159_103
; %bb.89:
	s_and_saveexec_b64 s[2:3], vcc
; %bb.90:
	v_lshlrev_b32_e32 v0, 2, v2
	v_lshlrev_b32_e32 v1, 2, v3
	v_add3_u32 v0, 0, v0, v1
	ds_read_b32 v9, v0 offset:32
; %bb.91:
	s_or_b64 exec, exec, s[2:3]
	s_waitcnt lgkmcnt(0)
	ds_bpermute_b32 v0, v5, v9
	v_mov_b32_e32 v10, s7
	s_waitcnt lgkmcnt(0)
	v_add_f32_e32 v0, v9, v0
	ds_bpermute_b32 v1, v6, v0
	v_add_u32_e32 v9, 8, v2
	s_waitcnt lgkmcnt(0)
	v_add_f32_e32 v0, v0, v1
	ds_bpermute_b32 v1, v7, v0
	s_waitcnt lgkmcnt(0)
	v_add_f32_e32 v11, v0, v1
	ds_bpermute_b32 v12, v8, v11
	v_add_co_u32_e64 v0, s[2:3], s6, v9
	v_addc_co_u32_e64 v1, s[2:3], 0, v10, s[2:3]
	v_cmp_le_i64_e64 s[2:3], s[14:15], v[0:1]
	s_waitcnt lgkmcnt(0)
	v_add_f32_e32 v0, v11, v12
	s_or_b64 s[2:3], s[0:1], s[2:3]
	s_nor_b64 s[2:3], s[8:9], s[2:3]
	s_and_saveexec_b64 s[10:11], s[2:3]
	s_cbranch_execz .LBB159_93
; %bb.92:
	v_mov_b32_e32 v1, s7
	v_add_co_u32_e64 v9, s[2:3], s6, v2
	v_addc_co_u32_e64 v10, s[2:3], 0, v1, s[2:3]
	v_lshlrev_b64 v[9:10], 2, v[9:10]
	v_mov_b32_e32 v1, s5
	v_add_co_u32_e64 v9, s[2:3], s4, v9
	v_addc_co_u32_e64 v10, s[2:3], v1, v10, s[2:3]
	global_store_dword v[9:10], v0, off offset:32
.LBB159_93:
	s_or_b64 exec, exec, s[10:11]
	s_movk_i32 s2, 0x400
	v_cmp_gt_u32_e64 s[2:3], s2, v4
	s_and_b64 exec, exec, s[2:3]
	s_cbranch_execz .LBB159_103
; %bb.94:
	s_and_saveexec_b64 s[2:3], vcc
; %bb.95:
	v_lshlrev_b32_e32 v0, 2, v2
	v_lshlrev_b32_e32 v1, 2, v3
	v_add3_u32 v0, 0, v0, v1
	ds_read_b32 v0, v0 offset:64
; %bb.96:
	s_or_b64 exec, exec, s[2:3]
	s_waitcnt lgkmcnt(0)
	ds_bpermute_b32 v1, v5, v0
	v_add_u32_e32 v10, 16, v2
	s_waitcnt lgkmcnt(0)
	v_add_f32_e32 v0, v0, v1
	ds_bpermute_b32 v1, v6, v0
	s_waitcnt lgkmcnt(0)
	v_add_f32_e32 v0, v0, v1
	ds_bpermute_b32 v9, v7, v0
	v_mov_b32_e32 v1, s7
	s_waitcnt lgkmcnt(0)
	v_add_f32_e32 v9, v0, v9
	ds_bpermute_b32 v11, v8, v9
	v_or_b32_e32 v0, s6, v10
	v_cmp_le_i64_e64 s[2:3], s[14:15], v[0:1]
	s_or_b64 s[2:3], s[0:1], s[2:3]
	s_waitcnt lgkmcnt(0)
	v_add_f32_e32 v0, v9, v11
	s_nor_b64 s[2:3], s[8:9], s[2:3]
	s_and_saveexec_b64 s[10:11], s[2:3]
	s_cbranch_execz .LBB159_98
; %bb.97:
	v_mov_b32_e32 v1, s7
	v_add_co_u32_e64 v9, s[2:3], s6, v2
	v_addc_co_u32_e64 v10, s[2:3], 0, v1, s[2:3]
	v_lshlrev_b64 v[9:10], 2, v[9:10]
	v_mov_b32_e32 v1, s5
	v_add_co_u32_e64 v9, s[2:3], s4, v9
	v_addc_co_u32_e64 v10, s[2:3], v1, v10, s[2:3]
	global_store_dword v[9:10], v0, off offset:64
.LBB159_98:
	s_or_b64 exec, exec, s[10:11]
	s_movk_i32 s2, 0x200
	v_cmp_gt_u32_e64 s[2:3], s2, v4
	s_and_b64 exec, exec, s[2:3]
	s_cbranch_execz .LBB159_103
; %bb.99:
	s_and_saveexec_b64 s[2:3], vcc
; %bb.100:
	v_lshlrev_b32_e32 v0, 2, v2
	v_lshlrev_b32_e32 v1, 2, v3
	v_add3_u32 v0, 0, v0, v1
	ds_read_b32 v0, v0 offset:96
; %bb.101:
	s_or_b64 exec, exec, s[2:3]
	s_waitcnt lgkmcnt(0)
	ds_bpermute_b32 v1, v5, v0
	v_add_u32_e32 v3, 24, v2
	v_or_b32_e32 v3, s6, v3
	v_mov_b32_e32 v4, s7
	v_cmp_le_i64_e32 vcc, s[14:15], v[3:4]
	s_waitcnt lgkmcnt(0)
	v_add_f32_e32 v0, v0, v1
	ds_bpermute_b32 v1, v6, v0
	s_or_b64 s[0:1], s[0:1], vcc
	s_nor_b64 s[0:1], s[8:9], s[0:1]
	s_waitcnt lgkmcnt(0)
	v_add_f32_e32 v0, v0, v1
	ds_bpermute_b32 v1, v7, v0
	s_waitcnt lgkmcnt(0)
	v_add_f32_e32 v0, v0, v1
	ds_bpermute_b32 v1, v8, v0
	s_and_saveexec_b64 s[2:3], s[0:1]
	s_xor_b64 s[2:3], exec, s[2:3]
	s_cbranch_execz .LBB159_103
; %bb.102:
	s_waitcnt lgkmcnt(0)
	v_add_f32_e32 v3, v0, v1
	v_mov_b32_e32 v1, s7
	v_add_co_u32_e32 v0, vcc, s6, v2
	v_addc_co_u32_e32 v1, vcc, 0, v1, vcc
	v_lshlrev_b64 v[0:1], 2, v[0:1]
	v_mov_b32_e32 v2, s5
	v_add_co_u32_e32 v0, vcc, s4, v0
	v_addc_co_u32_e32 v1, vcc, v2, v1, vcc
	global_store_dword v[0:1], v3, off offset:96
.LBB159_103:
	s_endpgm
	.section	.rodata,"a",@progbits
	.p2align	6, 0x0
	.amdhsa_kernel _ZN2at6native12_GLOBAL__N_135GammaBetaBackwardCUDAKernelTemplateIffLj32ELj16ELj128ELb0ELb0ELb1EEEvllPKT_S5_PKT0_S8_PS3_S9_
		.amdhsa_group_segment_fixed_size 0
		.amdhsa_private_segment_fixed_size 0
		.amdhsa_kernarg_size 320
		.amdhsa_user_sgpr_count 6
		.amdhsa_user_sgpr_private_segment_buffer 1
		.amdhsa_user_sgpr_dispatch_ptr 0
		.amdhsa_user_sgpr_queue_ptr 0
		.amdhsa_user_sgpr_kernarg_segment_ptr 1
		.amdhsa_user_sgpr_dispatch_id 0
		.amdhsa_user_sgpr_flat_scratch_init 0
		.amdhsa_user_sgpr_private_segment_size 0
		.amdhsa_uses_dynamic_stack 0
		.amdhsa_system_sgpr_private_segment_wavefront_offset 0
		.amdhsa_system_sgpr_workgroup_id_x 1
		.amdhsa_system_sgpr_workgroup_id_y 1
		.amdhsa_system_sgpr_workgroup_id_z 0
		.amdhsa_system_sgpr_workgroup_info 0
		.amdhsa_system_vgpr_workitem_id 1
		.amdhsa_next_free_vgpr 90
		.amdhsa_next_free_sgpr 34
		.amdhsa_reserve_vcc 1
		.amdhsa_reserve_flat_scratch 0
		.amdhsa_float_round_mode_32 0
		.amdhsa_float_round_mode_16_64 0
		.amdhsa_float_denorm_mode_32 3
		.amdhsa_float_denorm_mode_16_64 3
		.amdhsa_dx10_clamp 1
		.amdhsa_ieee_mode 1
		.amdhsa_fp16_overflow 0
		.amdhsa_exception_fp_ieee_invalid_op 0
		.amdhsa_exception_fp_denorm_src 0
		.amdhsa_exception_fp_ieee_div_zero 0
		.amdhsa_exception_fp_ieee_overflow 0
		.amdhsa_exception_fp_ieee_underflow 0
		.amdhsa_exception_fp_ieee_inexact 0
		.amdhsa_exception_int_div_zero 0
	.end_amdhsa_kernel
	.section	.text._ZN2at6native12_GLOBAL__N_135GammaBetaBackwardCUDAKernelTemplateIffLj32ELj16ELj128ELb0ELb0ELb1EEEvllPKT_S5_PKT0_S8_PS3_S9_,"axG",@progbits,_ZN2at6native12_GLOBAL__N_135GammaBetaBackwardCUDAKernelTemplateIffLj32ELj16ELj128ELb0ELb0ELb1EEEvllPKT_S5_PKT0_S8_PS3_S9_,comdat
.Lfunc_end159:
	.size	_ZN2at6native12_GLOBAL__N_135GammaBetaBackwardCUDAKernelTemplateIffLj32ELj16ELj128ELb0ELb0ELb1EEEvllPKT_S5_PKT0_S8_PS3_S9_, .Lfunc_end159-_ZN2at6native12_GLOBAL__N_135GammaBetaBackwardCUDAKernelTemplateIffLj32ELj16ELj128ELb0ELb0ELb1EEEvllPKT_S5_PKT0_S8_PS3_S9_
                                        ; -- End function
	.set _ZN2at6native12_GLOBAL__N_135GammaBetaBackwardCUDAKernelTemplateIffLj32ELj16ELj128ELb0ELb0ELb1EEEvllPKT_S5_PKT0_S8_PS3_S9_.num_vgpr, 90
	.set _ZN2at6native12_GLOBAL__N_135GammaBetaBackwardCUDAKernelTemplateIffLj32ELj16ELj128ELb0ELb0ELb1EEEvllPKT_S5_PKT0_S8_PS3_S9_.num_agpr, 0
	.set _ZN2at6native12_GLOBAL__N_135GammaBetaBackwardCUDAKernelTemplateIffLj32ELj16ELj128ELb0ELb0ELb1EEEvllPKT_S5_PKT0_S8_PS3_S9_.numbered_sgpr, 34
	.set _ZN2at6native12_GLOBAL__N_135GammaBetaBackwardCUDAKernelTemplateIffLj32ELj16ELj128ELb0ELb0ELb1EEEvllPKT_S5_PKT0_S8_PS3_S9_.num_named_barrier, 0
	.set _ZN2at6native12_GLOBAL__N_135GammaBetaBackwardCUDAKernelTemplateIffLj32ELj16ELj128ELb0ELb0ELb1EEEvllPKT_S5_PKT0_S8_PS3_S9_.private_seg_size, 0
	.set _ZN2at6native12_GLOBAL__N_135GammaBetaBackwardCUDAKernelTemplateIffLj32ELj16ELj128ELb0ELb0ELb1EEEvllPKT_S5_PKT0_S8_PS3_S9_.uses_vcc, 1
	.set _ZN2at6native12_GLOBAL__N_135GammaBetaBackwardCUDAKernelTemplateIffLj32ELj16ELj128ELb0ELb0ELb1EEEvllPKT_S5_PKT0_S8_PS3_S9_.uses_flat_scratch, 0
	.set _ZN2at6native12_GLOBAL__N_135GammaBetaBackwardCUDAKernelTemplateIffLj32ELj16ELj128ELb0ELb0ELb1EEEvllPKT_S5_PKT0_S8_PS3_S9_.has_dyn_sized_stack, 0
	.set _ZN2at6native12_GLOBAL__N_135GammaBetaBackwardCUDAKernelTemplateIffLj32ELj16ELj128ELb0ELb0ELb1EEEvllPKT_S5_PKT0_S8_PS3_S9_.has_recursion, 0
	.set _ZN2at6native12_GLOBAL__N_135GammaBetaBackwardCUDAKernelTemplateIffLj32ELj16ELj128ELb0ELb0ELb1EEEvllPKT_S5_PKT0_S8_PS3_S9_.has_indirect_call, 0
	.section	.AMDGPU.csdata,"",@progbits
; Kernel info:
; codeLenInByte = 6812
; TotalNumSgprs: 38
; NumVgprs: 90
; ScratchSize: 0
; MemoryBound: 0
; FloatMode: 240
; IeeeMode: 1
; LDSByteSize: 0 bytes/workgroup (compile time only)
; SGPRBlocks: 4
; VGPRBlocks: 22
; NumSGPRsForWavesPerEU: 38
; NumVGPRsForWavesPerEU: 90
; Occupancy: 2
; WaveLimiterHint : 0
; COMPUTE_PGM_RSRC2:SCRATCH_EN: 0
; COMPUTE_PGM_RSRC2:USER_SGPR: 6
; COMPUTE_PGM_RSRC2:TRAP_HANDLER: 0
; COMPUTE_PGM_RSRC2:TGID_X_EN: 1
; COMPUTE_PGM_RSRC2:TGID_Y_EN: 1
; COMPUTE_PGM_RSRC2:TGID_Z_EN: 0
; COMPUTE_PGM_RSRC2:TIDIG_COMP_CNT: 1
	.section	.text._ZN2at6native12_GLOBAL__N_135GammaBetaBackwardCUDAKernelTemplateIffLj32ELj32ELj256ELb0ELb1ELb1EEEvllPKT_S5_PKT0_S8_PS3_S9_,"axG",@progbits,_ZN2at6native12_GLOBAL__N_135GammaBetaBackwardCUDAKernelTemplateIffLj32ELj32ELj256ELb0ELb1ELb1EEEvllPKT_S5_PKT0_S8_PS3_S9_,comdat
	.globl	_ZN2at6native12_GLOBAL__N_135GammaBetaBackwardCUDAKernelTemplateIffLj32ELj32ELj256ELb0ELb1ELb1EEEvllPKT_S5_PKT0_S8_PS3_S9_ ; -- Begin function _ZN2at6native12_GLOBAL__N_135GammaBetaBackwardCUDAKernelTemplateIffLj32ELj32ELj256ELb0ELb1ELb1EEEvllPKT_S5_PKT0_S8_PS3_S9_
	.p2align	8
	.type	_ZN2at6native12_GLOBAL__N_135GammaBetaBackwardCUDAKernelTemplateIffLj32ELj32ELj256ELb0ELb1ELb1EEEvllPKT_S5_PKT0_S8_PS3_S9_,@function
_ZN2at6native12_GLOBAL__N_135GammaBetaBackwardCUDAKernelTemplateIffLj32ELj32ELj256ELb0ELb1ELb1EEEvllPKT_S5_PKT0_S8_PS3_S9_: ; @_ZN2at6native12_GLOBAL__N_135GammaBetaBackwardCUDAKernelTemplateIffLj32ELj32ELj256ELb0ELb1ELb1EEEvllPKT_S5_PKT0_S8_PS3_S9_
; %bb.0:
	s_load_dwordx4 s[8:11], s[4:5], 0x0
	s_lshl_b32 s18, s7, 8
	s_mov_b32 s19, 0
	v_mov_b32_e32 v2, s18
	v_mov_b32_e32 v3, s19
	s_waitcnt lgkmcnt(0)
	v_cmp_gt_i64_e32 vcc, s[8:9], v[2:3]
	s_cbranch_vccnz .LBB160_2
; %bb.1:
	s_mov_b64 s[0:1], 0
	s_branch .LBB160_3
.LBB160_2:
	s_mov_b64 s[0:1], -1
.LBB160_3:
	s_load_dwordx2 s[16:17], s[4:5], 0x30
	v_mov_b32_e32 v3, 0
	s_andn2_b64 vcc, exec, s[0:1]
	v_mbcnt_lo_u32_b32 v8, -1, 0
	s_cbranch_vccnz .LBB160_10
; %bb.4:
	s_load_dword s0, s[4:5], 0x4c
	s_load_dword s7, s[4:5], 0x44
	s_load_dwordx4 s[12:15], s[4:5], 0x10
	s_load_dwordx2 s[2:3], s[4:5], 0x28
	v_lshlrev_b32_e32 v4, 3, v1
	s_waitcnt lgkmcnt(0)
	s_and_b32 s0, s0, 0xffff
	v_mad_u32_u24 v2, v1, s0, v0
	v_and_b32_e32 v5, 63, v2
	v_add_co_u32_e32 v10, vcc, s18, v4
	v_addc_co_u32_e64 v11, s[20:21], 0, 0, vcc
	v_add_co_u32_e32 v4, vcc, v10, v5
	v_cmp_gt_u32_e64 s[0:1], 8, v5
	v_mbcnt_hi_u32_b32 v6, -1, v8
	v_addc_co_u32_e32 v5, vcc, 0, v11, vcc
	v_mul_lo_u32 v14, s11, v10
	v_mul_lo_u32 v15, s10, v11
	v_mad_u64_u32 v[11:12], s[20:21], s10, v10, 0
	v_lshlrev_b32_e32 v6, 2, v6
	v_and_b32_e32 v9, 0x100, v6
	v_lshlrev_b64 v[6:7], 2, v[4:5]
	v_mov_b32_e32 v3, 0
	v_lshl_add_u32 v2, s6, 5, v0
	v_mov_b32_e32 v13, s3
	v_add_co_u32_e32 v6, vcc, s2, v6
	v_add3_u32 v12, v12, v15, v14
	v_addc_co_u32_e32 v7, vcc, v13, v7, vcc
	v_lshlrev_b64 v[11:12], 2, v[11:12]
	v_lshlrev_b64 v[13:14], 2, v[2:3]
	s_lshl_b32 s4, s7, 8
	s_mul_i32 s2, s11, s4
	s_mul_hi_u32 s3, s10, s4
	s_mov_b32 s5, 0
	v_add_co_u32_e32 v2, vcc, v11, v13
	s_add_i32 s3, s3, s2
	s_mul_i32 s2, s10, s4
	v_or_b32_e32 v10, 20, v9
	v_addc_co_u32_e32 v11, vcc, v12, v14, vcc
	v_or_b32_e32 v12, 24, v9
	v_or_b32_e32 v13, 28, v9
	s_lshl_b64 s[20:21], s[4:5], 2
	s_lshl_b64 s[22:23], s[2:3], 2
	;; [unrolled: 1-line block ×3, first 2 shown]
	s_branch .LBB160_7
.LBB160_5:                              ;   in Loop: Header=BB160_7 Depth=1
	s_or_b64 exec, exec, s[24:25]
.LBB160_6:                              ;   in Loop: Header=BB160_7 Depth=1
	s_or_b64 exec, exec, s[2:3]
	v_mov_b32_e32 v15, s13
	v_add_co_u32_e32 v16, vcc, s12, v2
	v_addc_co_u32_e32 v17, vcc, v15, v11, vcc
	v_mov_b32_e32 v15, s11
	v_add_co_u32_e32 v18, vcc, s10, v16
	v_addc_co_u32_e32 v19, vcc, v17, v15, vcc
	global_load_dword v22, v[16:17], off
	v_mov_b32_e32 v17, s15
	v_add_co_u32_e32 v16, vcc, s14, v2
	v_addc_co_u32_e32 v17, vcc, v17, v11, vcc
	v_add_co_u32_e32 v20, vcc, s10, v16
	global_load_dword v16, v[16:17], off
	v_addc_co_u32_e32 v21, vcc, v17, v15, vcc
	s_waitcnt vmcnt(2)
	ds_bpermute_b32 v17, v9, v14
	s_add_u32 s18, s18, s4
	s_addc_u32 s19, s19, 0
	v_add_co_u32_e64 v6, s[2:3], s20, v6
	s_waitcnt vmcnt(0)
	v_mul_f32_e32 v16, v22, v16
	s_waitcnt lgkmcnt(0)
	v_fmac_f32_e32 v3, v16, v17
	v_add_co_u32_e32 v16, vcc, s10, v18
	v_addc_co_u32_e32 v17, vcc, v19, v15, vcc
	global_load_dword v22, v[18:19], off
	v_add_co_u32_e32 v18, vcc, s10, v20
	global_load_dword v20, v[20:21], off
	v_addc_co_u32_e32 v19, vcc, v21, v15, vcc
	v_or_b32_e32 v21, 4, v9
	ds_bpermute_b32 v21, v21, v14
	s_waitcnt vmcnt(0)
	v_mul_f32_e32 v20, v22, v20
	s_waitcnt lgkmcnt(0)
	v_fmac_f32_e32 v3, v20, v21
	v_add_co_u32_e32 v20, vcc, s10, v16
	v_addc_co_u32_e32 v21, vcc, v17, v15, vcc
	global_load_dword v22, v[16:17], off
	v_add_co_u32_e32 v16, vcc, s10, v18
	global_load_dword v18, v[18:19], off
	v_addc_co_u32_e32 v17, vcc, v19, v15, vcc
	v_or_b32_e32 v19, 8, v9
	ds_bpermute_b32 v19, v19, v14
	;; [unrolled: 12-line block ×4, first 2 shown]
	s_waitcnt vmcnt(0)
	v_mul_f32_e32 v20, v22, v20
	s_waitcnt lgkmcnt(0)
	v_fmac_f32_e32 v3, v20, v21
	v_add_co_u32_e32 v20, vcc, s10, v16
	v_addc_co_u32_e32 v21, vcc, v17, v15, vcc
	global_load_dword v22, v[16:17], off
	v_add_co_u32_e32 v16, vcc, s10, v18
	global_load_dword v18, v[18:19], off
	v_addc_co_u32_e32 v17, vcc, v19, v15, vcc
	ds_bpermute_b32 v19, v10, v14
	s_waitcnt vmcnt(0)
	v_mul_f32_e32 v18, v22, v18
	s_waitcnt lgkmcnt(0)
	v_fmac_f32_e32 v3, v18, v19
	v_add_co_u32_e32 v18, vcc, s10, v20
	v_addc_co_u32_e32 v19, vcc, v21, v15, vcc
	global_load_dword v22, v[20:21], off
	v_add_co_u32_e32 v20, vcc, s10, v16
	v_addc_co_u32_e32 v21, vcc, v17, v15, vcc
	global_load_dword v15, v[16:17], off
	ds_bpermute_b32 v16, v12, v14
	ds_bpermute_b32 v14, v13, v14
	s_waitcnt vmcnt(0)
	v_mul_f32_e32 v15, v22, v15
	s_waitcnt lgkmcnt(1)
	v_fmac_f32_e32 v3, v15, v16
	global_load_dword v15, v[18:19], off
	global_load_dword v16, v[20:21], off
	s_waitcnt vmcnt(0)
	v_mul_f32_e32 v15, v15, v16
	s_waitcnt lgkmcnt(0)
	v_fmac_f32_e32 v3, v15, v14
	v_mov_b32_e32 v15, s9
	v_mov_b32_e32 v14, s8
	v_cmp_lt_i64_e32 vcc, s[18:19], v[14:15]
	v_mov_b32_e32 v14, s21
	v_addc_co_u32_e64 v7, s[2:3], v7, v14, s[2:3]
	v_add_co_u32_e64 v2, s[2:3], s22, v2
	v_mov_b32_e32 v14, s23
	v_addc_co_u32_e64 v11, s[2:3], v11, v14, s[2:3]
	v_add_co_u32_e64 v4, s[2:3], s4, v4
	v_addc_co_u32_e64 v5, s[2:3], 0, v5, s[2:3]
	s_cbranch_vccz .LBB160_10
.LBB160_7:                              ; =>This Inner Loop Header: Depth=1
	v_mov_b32_e32 v14, 0
	s_and_saveexec_b64 s[2:3], s[0:1]
	s_cbranch_execz .LBB160_6
; %bb.8:                                ;   in Loop: Header=BB160_7 Depth=1
	v_cmp_gt_i64_e32 vcc, s[8:9], v[4:5]
	v_mov_b32_e32 v14, 0
	s_and_saveexec_b64 s[24:25], vcc
	s_cbranch_execz .LBB160_5
; %bb.9:                                ;   in Loop: Header=BB160_7 Depth=1
	global_load_dword v14, v[6:7], off
	s_branch .LBB160_5
.LBB160_10:
	v_mad_u32_u24 v2, v1, 33, v0
	v_lshl_add_u32 v4, v2, 2, 0
	ds_write_b32 v4, v3
	v_mov_b32_e32 v3, 0
	ds_write_b32 v4, v3 offset:4224
	v_sub_u32_e32 v3, v2, v1
	s_movk_i32 s0, 0x800
	v_cmp_gt_u32_e32 vcc, s0, v3
	s_waitcnt lgkmcnt(0)
	s_barrier
	s_and_saveexec_b64 s[0:1], vcc
	s_cbranch_execz .LBB160_20
; %bb.11:
	v_lshrrev_b32_e32 v1, 6, v3
	v_and_b32_e32 v2, 63, v3
	v_cmp_gt_u32_e32 vcc, 32, v2
	v_mul_u32_u24_e32 v2, 33, v2
	v_lshlrev_b32_e32 v1, 2, v1
                                        ; implicit-def: $vgpr5
	s_and_saveexec_b64 s[0:1], vcc
; %bb.12:
	v_lshlrev_b32_e32 v4, 2, v2
	v_add3_u32 v4, 0, v1, v4
	ds_read_b32 v5, v4
; %bb.13:
	s_or_b64 exec, exec, s[0:1]
	v_mbcnt_hi_u32_b32 v8, -1, v8
	v_and_b32_e32 v4, 64, v8
	v_add_u32_e32 v9, 64, v4
	v_xor_b32_e32 v4, 16, v8
	v_cmp_lt_i32_e64 s[0:1], v4, v9
	v_cndmask_b32_e64 v4, v8, v4, s[0:1]
	v_lshlrev_b32_e32 v4, 2, v4
	s_waitcnt lgkmcnt(0)
	ds_bpermute_b32 v6, v4, v5
	v_xor_b32_e32 v7, 8, v8
	v_cmp_lt_i32_e64 s[0:1], v7, v9
	v_xor_b32_e32 v10, 4, v8
	v_xor_b32_e32 v11, 2, v8
	s_waitcnt lgkmcnt(0)
	v_add_f32_e32 v6, v5, v6
	v_cndmask_b32_e64 v5, v8, v7, s[0:1]
	v_lshlrev_b32_e32 v5, 2, v5
	ds_bpermute_b32 v7, v5, v6
	v_cmp_lt_i32_e64 s[0:1], v10, v9
	s_cmp_lg_u64 s[16:17], 0
	s_mov_b32 s7, 0
	s_cselect_b64 s[4:5], -1, 0
	s_waitcnt lgkmcnt(0)
	v_add_f32_e32 v7, v6, v7
	v_cndmask_b32_e64 v6, v8, v10, s[0:1]
	v_lshlrev_b32_e32 v6, 2, v6
	ds_bpermute_b32 v10, v6, v7
	v_cmp_lt_i32_e64 s[0:1], v11, v9
	s_waitcnt lgkmcnt(0)
	v_add_f32_e32 v10, v7, v10
	v_cndmask_b32_e64 v7, v8, v11, s[0:1]
	v_lshlrev_b32_e32 v7, 2, v7
	ds_bpermute_b32 v11, v7, v10
	v_cmp_eq_u32_e64 s[0:1], 0, v0
	v_xor_b32_e32 v0, 1, v8
	v_cmp_lt_i32_e64 s[2:3], v0, v9
	v_cndmask_b32_e64 v0, v8, v0, s[2:3]
	s_waitcnt lgkmcnt(0)
	v_add_f32_e32 v10, v10, v11
	v_lshlrev_b32_e32 v0, 2, v0
	ds_bpermute_b32 v8, v0, v10
	s_and_b64 s[4:5], s[0:1], s[4:5]
	s_lshl_b64 s[0:1], s[6:7], 7
	s_add_u32 s2, s16, s0
	s_addc_u32 s3, s17, s1
	s_waitcnt lgkmcnt(0)
	v_add_f32_e32 v8, v10, v8
	s_and_saveexec_b64 s[0:1], s[4:5]
	s_cbranch_execz .LBB160_15
; %bb.14:
	global_store_dword v1, v8, s[2:3]
.LBB160_15:
	s_or_b64 exec, exec, s[0:1]
	s_movk_i32 s0, 0x400
	v_cmp_gt_u32_e64 s[0:1], s0, v3
	s_and_b64 exec, exec, s[0:1]
	s_cbranch_execz .LBB160_20
; %bb.16:
	s_and_saveexec_b64 s[0:1], vcc
; %bb.17:
	v_lshlrev_b32_e32 v2, 2, v2
	v_add3_u32 v2, 0, v1, v2
	ds_read_b32 v8, v2 offset:64
; %bb.18:
	s_or_b64 exec, exec, s[0:1]
	s_waitcnt lgkmcnt(0)
	ds_bpermute_b32 v2, v4, v8
	s_waitcnt lgkmcnt(0)
	v_add_f32_e32 v2, v8, v2
	ds_bpermute_b32 v3, v5, v2
	s_waitcnt lgkmcnt(0)
	v_add_f32_e32 v2, v2, v3
	;; [unrolled: 3-line block ×4, first 2 shown]
	ds_bpermute_b32 v0, v0, v2
	s_and_saveexec_b64 s[0:1], s[4:5]
	s_xor_b64 s[0:1], exec, s[0:1]
	s_cbranch_execz .LBB160_20
; %bb.19:
	s_waitcnt lgkmcnt(0)
	v_add_f32_e32 v0, v2, v0
	global_store_dword v1, v0, s[2:3] offset:64
.LBB160_20:
	s_endpgm
	.section	.rodata,"a",@progbits
	.p2align	6, 0x0
	.amdhsa_kernel _ZN2at6native12_GLOBAL__N_135GammaBetaBackwardCUDAKernelTemplateIffLj32ELj32ELj256ELb0ELb1ELb1EEEvllPKT_S5_PKT0_S8_PS3_S9_
		.amdhsa_group_segment_fixed_size 0
		.amdhsa_private_segment_fixed_size 0
		.amdhsa_kernarg_size 320
		.amdhsa_user_sgpr_count 6
		.amdhsa_user_sgpr_private_segment_buffer 1
		.amdhsa_user_sgpr_dispatch_ptr 0
		.amdhsa_user_sgpr_queue_ptr 0
		.amdhsa_user_sgpr_kernarg_segment_ptr 1
		.amdhsa_user_sgpr_dispatch_id 0
		.amdhsa_user_sgpr_flat_scratch_init 0
		.amdhsa_user_sgpr_private_segment_size 0
		.amdhsa_uses_dynamic_stack 0
		.amdhsa_system_sgpr_private_segment_wavefront_offset 0
		.amdhsa_system_sgpr_workgroup_id_x 1
		.amdhsa_system_sgpr_workgroup_id_y 1
		.amdhsa_system_sgpr_workgroup_id_z 0
		.amdhsa_system_sgpr_workgroup_info 0
		.amdhsa_system_vgpr_workitem_id 1
		.amdhsa_next_free_vgpr 23
		.amdhsa_next_free_sgpr 26
		.amdhsa_reserve_vcc 1
		.amdhsa_reserve_flat_scratch 0
		.amdhsa_float_round_mode_32 0
		.amdhsa_float_round_mode_16_64 0
		.amdhsa_float_denorm_mode_32 3
		.amdhsa_float_denorm_mode_16_64 3
		.amdhsa_dx10_clamp 1
		.amdhsa_ieee_mode 1
		.amdhsa_fp16_overflow 0
		.amdhsa_exception_fp_ieee_invalid_op 0
		.amdhsa_exception_fp_denorm_src 0
		.amdhsa_exception_fp_ieee_div_zero 0
		.amdhsa_exception_fp_ieee_overflow 0
		.amdhsa_exception_fp_ieee_underflow 0
		.amdhsa_exception_fp_ieee_inexact 0
		.amdhsa_exception_int_div_zero 0
	.end_amdhsa_kernel
	.section	.text._ZN2at6native12_GLOBAL__N_135GammaBetaBackwardCUDAKernelTemplateIffLj32ELj32ELj256ELb0ELb1ELb1EEEvllPKT_S5_PKT0_S8_PS3_S9_,"axG",@progbits,_ZN2at6native12_GLOBAL__N_135GammaBetaBackwardCUDAKernelTemplateIffLj32ELj32ELj256ELb0ELb1ELb1EEEvllPKT_S5_PKT0_S8_PS3_S9_,comdat
.Lfunc_end160:
	.size	_ZN2at6native12_GLOBAL__N_135GammaBetaBackwardCUDAKernelTemplateIffLj32ELj32ELj256ELb0ELb1ELb1EEEvllPKT_S5_PKT0_S8_PS3_S9_, .Lfunc_end160-_ZN2at6native12_GLOBAL__N_135GammaBetaBackwardCUDAKernelTemplateIffLj32ELj32ELj256ELb0ELb1ELb1EEEvllPKT_S5_PKT0_S8_PS3_S9_
                                        ; -- End function
	.set _ZN2at6native12_GLOBAL__N_135GammaBetaBackwardCUDAKernelTemplateIffLj32ELj32ELj256ELb0ELb1ELb1EEEvllPKT_S5_PKT0_S8_PS3_S9_.num_vgpr, 23
	.set _ZN2at6native12_GLOBAL__N_135GammaBetaBackwardCUDAKernelTemplateIffLj32ELj32ELj256ELb0ELb1ELb1EEEvllPKT_S5_PKT0_S8_PS3_S9_.num_agpr, 0
	.set _ZN2at6native12_GLOBAL__N_135GammaBetaBackwardCUDAKernelTemplateIffLj32ELj32ELj256ELb0ELb1ELb1EEEvllPKT_S5_PKT0_S8_PS3_S9_.numbered_sgpr, 26
	.set _ZN2at6native12_GLOBAL__N_135GammaBetaBackwardCUDAKernelTemplateIffLj32ELj32ELj256ELb0ELb1ELb1EEEvllPKT_S5_PKT0_S8_PS3_S9_.num_named_barrier, 0
	.set _ZN2at6native12_GLOBAL__N_135GammaBetaBackwardCUDAKernelTemplateIffLj32ELj32ELj256ELb0ELb1ELb1EEEvllPKT_S5_PKT0_S8_PS3_S9_.private_seg_size, 0
	.set _ZN2at6native12_GLOBAL__N_135GammaBetaBackwardCUDAKernelTemplateIffLj32ELj32ELj256ELb0ELb1ELb1EEEvllPKT_S5_PKT0_S8_PS3_S9_.uses_vcc, 1
	.set _ZN2at6native12_GLOBAL__N_135GammaBetaBackwardCUDAKernelTemplateIffLj32ELj32ELj256ELb0ELb1ELb1EEEvllPKT_S5_PKT0_S8_PS3_S9_.uses_flat_scratch, 0
	.set _ZN2at6native12_GLOBAL__N_135GammaBetaBackwardCUDAKernelTemplateIffLj32ELj32ELj256ELb0ELb1ELb1EEEvllPKT_S5_PKT0_S8_PS3_S9_.has_dyn_sized_stack, 0
	.set _ZN2at6native12_GLOBAL__N_135GammaBetaBackwardCUDAKernelTemplateIffLj32ELj32ELj256ELb0ELb1ELb1EEEvllPKT_S5_PKT0_S8_PS3_S9_.has_recursion, 0
	.set _ZN2at6native12_GLOBAL__N_135GammaBetaBackwardCUDAKernelTemplateIffLj32ELj32ELj256ELb0ELb1ELb1EEEvllPKT_S5_PKT0_S8_PS3_S9_.has_indirect_call, 0
	.section	.AMDGPU.csdata,"",@progbits
; Kernel info:
; codeLenInByte = 1476
; TotalNumSgprs: 30
; NumVgprs: 23
; ScratchSize: 0
; MemoryBound: 0
; FloatMode: 240
; IeeeMode: 1
; LDSByteSize: 0 bytes/workgroup (compile time only)
; SGPRBlocks: 3
; VGPRBlocks: 5
; NumSGPRsForWavesPerEU: 30
; NumVGPRsForWavesPerEU: 23
; Occupancy: 10
; WaveLimiterHint : 0
; COMPUTE_PGM_RSRC2:SCRATCH_EN: 0
; COMPUTE_PGM_RSRC2:USER_SGPR: 6
; COMPUTE_PGM_RSRC2:TRAP_HANDLER: 0
; COMPUTE_PGM_RSRC2:TGID_X_EN: 1
; COMPUTE_PGM_RSRC2:TGID_Y_EN: 1
; COMPUTE_PGM_RSRC2:TGID_Z_EN: 0
; COMPUTE_PGM_RSRC2:TIDIG_COMP_CNT: 1
	.section	.text._ZN2at6native12_GLOBAL__N_135GammaBetaBackwardCUDAKernelTemplateIffLj32ELj32ELj256ELb0ELb0ELb1EEEvllPKT_S5_PKT0_S8_PS3_S9_,"axG",@progbits,_ZN2at6native12_GLOBAL__N_135GammaBetaBackwardCUDAKernelTemplateIffLj32ELj32ELj256ELb0ELb0ELb1EEEvllPKT_S5_PKT0_S8_PS3_S9_,comdat
	.globl	_ZN2at6native12_GLOBAL__N_135GammaBetaBackwardCUDAKernelTemplateIffLj32ELj32ELj256ELb0ELb0ELb1EEEvllPKT_S5_PKT0_S8_PS3_S9_ ; -- Begin function _ZN2at6native12_GLOBAL__N_135GammaBetaBackwardCUDAKernelTemplateIffLj32ELj32ELj256ELb0ELb0ELb1EEEvllPKT_S5_PKT0_S8_PS3_S9_
	.p2align	8
	.type	_ZN2at6native12_GLOBAL__N_135GammaBetaBackwardCUDAKernelTemplateIffLj32ELj32ELj256ELb0ELb0ELb1EEEvllPKT_S5_PKT0_S8_PS3_S9_,@function
_ZN2at6native12_GLOBAL__N_135GammaBetaBackwardCUDAKernelTemplateIffLj32ELj32ELj256ELb0ELb0ELb1EEEvllPKT_S5_PKT0_S8_PS3_S9_: ; @_ZN2at6native12_GLOBAL__N_135GammaBetaBackwardCUDAKernelTemplateIffLj32ELj32ELj256ELb0ELb0ELb1EEEvllPKT_S5_PKT0_S8_PS3_S9_
; %bb.0:
	s_mov_b64 s[38:39], s[2:3]
	s_mov_b64 s[36:37], s[0:1]
	s_add_u32 s36, s36, s8
	s_load_dwordx8 s[12:19], s[4:5], 0x0
	s_load_dwordx2 s[10:11], s[4:5], 0x28
	s_addc_u32 s37, s37, 0
	s_lshl_b32 s20, s7, 8
	s_lshl_b32 s33, s6, 5
	s_mov_b32 s21, 0
	v_mov_b32_e32 v2, s20
	s_or_b32 s0, s33, 31
	v_mov_b32_e32 v3, s21
	v_mov_b32_e32 v48, s0
	;; [unrolled: 1-line block ×3, first 2 shown]
	s_waitcnt lgkmcnt(0)
	v_cmp_gt_i64_e64 s[0:1], s[12:13], v[2:3]
	v_cmp_le_i64_e32 vcc, s[14:15], v[48:49]
	v_mov_b32_e32 v60, v0
	v_cndmask_b32_e64 v0, 0, 1, s[0:1]
	v_cmp_ne_u32_e64 s[0:1], 1, v0
	s_cbranch_vccz .LBB161_49
; %bb.1:
	s_and_b64 vcc, exec, s[0:1]
	s_cbranch_vccnz .LBB161_50
; %bb.2:
	v_lshlrev_b32_e32 v0, 3, v1
	v_add_co_u32_e32 v5, vcc, s20, v0
	v_addc_co_u32_e64 v6, s[2:3], 0, 0, vcc
	v_mul_lo_u32 v10, s15, v5
	v_mul_lo_u32 v9, s14, v6
	v_mad_u64_u32 v[3:4], s[2:3], s14, v5, 0
	v_mov_b32_e32 v2, 0
	s_load_dword s7, s[4:5], 0x44
	v_add_u32_e32 v7, s33, v60
	v_mov_b32_e32 v8, v2
	v_add3_u32 v4, v4, v9, v10
	v_cmp_gt_i64_e64 s[2:3], s[14:15], v[7:8]
	v_lshlrev_b64 v[19:20], 2, v[7:8]
	v_lshlrev_b64 v[7:8], 2, v[3:4]
	s_add_u32 s22, s4, 64
	v_mov_b32_e32 v9, s17
	v_add_co_u32_e32 v61, vcc, s16, v7
	s_addc_u32 s23, s5, 0
	s_waitcnt lgkmcnt(0)
	s_lshl_b32 s7, s7, 8
	v_addc_co_u32_e32 v21, vcc, v9, v8, vcc
	s_mul_i32 s8, s15, s7
	s_mul_hi_u32 s9, s14, s7
	v_add_co_u32_e32 v9, vcc, 7, v5
	s_add_i32 s9, s9, s8
	s_mul_i32 s8, s14, s7
	v_addc_co_u32_e32 v10, vcc, 0, v6, vcc
	s_lshl_b64 s[24:25], s[8:9], 2
	v_mul_lo_u32 v12, s15, v9
	v_mul_lo_u32 v13, s14, v10
	v_mad_u64_u32 v[9:10], s[8:9], s14, v9, 0
	v_mov_b32_e32 v11, s19
	v_add_co_u32_e32 v22, vcc, s18, v7
	v_add3_u32 v10, v10, v13, v12
	v_addc_co_u32_e32 v23, vcc, v11, v8, vcc
	v_lshlrev_b64 v[7:8], 2, v[9:10]
	v_mov_b32_e32 v9, s17
	v_add_co_u32_e32 v24, vcc, s16, v7
	v_addc_co_u32_e32 v25, vcc, v9, v8, vcc
	v_add_co_u32_e32 v9, vcc, 6, v5
	v_addc_co_u32_e32 v10, vcc, 0, v6, vcc
	v_mul_lo_u32 v12, s15, v9
	v_mul_lo_u32 v13, s14, v10
	v_mad_u64_u32 v[9:10], s[8:9], s14, v9, 0
	v_add_co_u32_e32 v26, vcc, s18, v7
	v_add3_u32 v10, v10, v13, v12
	v_addc_co_u32_e32 v27, vcc, v11, v8, vcc
	v_lshlrev_b64 v[7:8], 2, v[9:10]
	v_mov_b32_e32 v9, s17
	v_add_co_u32_e32 v28, vcc, s16, v7
	v_addc_co_u32_e32 v29, vcc, v9, v8, vcc
	v_add_co_u32_e32 v9, vcc, 5, v5
	v_addc_co_u32_e32 v10, vcc, 0, v6, vcc
	v_mul_lo_u32 v12, s15, v9
	v_mul_lo_u32 v13, s14, v10
	v_mad_u64_u32 v[9:10], s[8:9], s14, v9, 0
	;; [unrolled: 12-line block ×5, first 2 shown]
	v_mov_b32_e32 v9, s19
	v_add_co_u32_e32 v42, vcc, s18, v7
	v_add3_u32 v6, v6, v11, v10
	v_lshlrev_b64 v[5:6], 2, v[5:6]
	v_addc_co_u32_e32 v43, vcc, v9, v8, vcc
	v_mov_b32_e32 v7, s17
	v_add_co_u32_e32 v44, vcc, s16, v5
	v_addc_co_u32_e32 v45, vcc, v7, v6, vcc
	v_mov_b32_e32 v7, s19
	v_add_co_u32_e32 v46, vcc, s18, v5
	;; [unrolled: 3-line block ×3, first 2 shown]
	v_addc_co_u32_e32 v4, vcc, v4, v5, vcc
	v_lshlrev_b64 v[3:4], 2, v[3:4]
	v_mov_b32_e32 v5, s17
	v_add_co_u32_e32 v48, vcc, s16, v3
	v_addc_co_u32_e32 v50, vcc, v5, v4, vcc
	v_add_co_u32_e32 v51, vcc, s18, v3
	v_mbcnt_lo_u32_b32 v3, -1, 0
	v_mbcnt_hi_u32_b32 v3, -1, v3
	v_mov_b32_e32 v5, s19
	s_add_u32 s26, s20, 0xff
	v_lshlrev_b32_e32 v3, 2, v3
	v_addc_co_u32_e32 v52, vcc, v5, v4, vcc
	s_addc_u32 s27, 0, 0
	v_and_b32_e32 v53, 0x100, v3
	s_mov_b64 s[28:29], s[20:21]
	v_mov_b32_e32 v54, 0
.LBB161_3:                              ; =>This Inner Loop Header: Depth=1
	v_mov_b32_e32 v3, s12
	v_mov_b32_e32 v4, s13
	v_cmp_ge_i64_e32 vcc, s[26:27], v[3:4]
	v_mov_b32_e32 v3, s27
	v_add_co_u32_e64 v55, s[8:9], s26, v0
	v_addc_co_u32_e64 v56, s[8:9], 0, v3, s[8:9]
	s_mov_b64 s[8:9], -1
	s_and_b64 vcc, exec, vcc
                                        ; implicit-def: $vgpr3_vgpr4_vgpr5_vgpr6_vgpr7_vgpr8_vgpr9_vgpr10
                                        ; implicit-def: $vgpr49
                                        ; implicit-def: $vgpr11_vgpr12_vgpr13_vgpr14_vgpr15_vgpr16_vgpr17_vgpr18
                                        ; implicit-def: $vgpr3
	s_cbranch_vccz .LBB161_25
; %bb.4:                                ;   in Loop: Header=BB161_3 Depth=1
	s_load_dword s8, s[22:23], 0xc
	v_mov_b32_e32 v57, 0
	s_waitcnt lgkmcnt(0)
	s_and_b32 s8, s8, 0xffff
	v_mad_u32_u24 v3, v1, s8, v60
	v_and_b32_e32 v3, 63, v3
	v_cmp_gt_u32_e32 vcc, 8, v3
	s_and_saveexec_b64 s[8:9], vcc
	s_cbranch_execz .LBB161_8
; %bb.5:                                ;   in Loop: Header=BB161_3 Depth=1
	v_add_co_u32_e32 v3, vcc, v55, v3
	v_addc_co_u32_e32 v4, vcc, 0, v56, vcc
	v_add_co_u32_e32 v3, vcc, 0xffffff01, v3
	v_addc_co_u32_e32 v4, vcc, -1, v4, vcc
	v_cmp_gt_i64_e32 vcc, s[12:13], v[3:4]
	v_mov_b32_e32 v57, 0
	s_and_saveexec_b64 s[30:31], vcc
	s_cbranch_execz .LBB161_7
; %bb.6:                                ;   in Loop: Header=BB161_3 Depth=1
	v_lshlrev_b64 v[3:4], 2, v[3:4]
	v_mov_b32_e32 v5, s11
	v_add_co_u32_e32 v3, vcc, s10, v3
	v_addc_co_u32_e32 v4, vcc, v5, v4, vcc
	global_load_dword v57, v[3:4], off
.LBB161_7:                              ;   in Loop: Header=BB161_3 Depth=1
	s_or_b64 exec, exec, s[30:31]
.LBB161_8:                              ;   in Loop: Header=BB161_3 Depth=1
	s_or_b64 exec, exec, s[8:9]
	v_add_co_u32_e32 v3, vcc, 0xffffff01, v55
	v_addc_co_u32_e32 v4, vcc, -1, v56, vcc
	v_mov_b32_e32 v9, v2
	v_cmp_gt_i64_e32 vcc, s[12:13], v[3:4]
	v_mov_b32_e32 v3, v2
	v_mov_b32_e32 v4, v2
	;; [unrolled: 1-line block ×15, first 2 shown]
	s_and_b64 s[30:31], s[2:3], vcc
	v_mov_b32_e32 v9, v8
	v_mov_b32_e32 v8, v7
	;; [unrolled: 1-line block ×7, first 2 shown]
	s_and_saveexec_b64 s[8:9], s[30:31]
	s_cbranch_execz .LBB161_10
; %bb.9:                                ;   in Loop: Header=BB161_3 Depth=1
	v_add_co_u32_e32 v3, vcc, v61, v19
	v_addc_co_u32_e32 v4, vcc, v21, v20, vcc
	global_load_dword v3, v[3:4], off
	v_add_co_u32_e32 v4, vcc, v22, v19
	v_addc_co_u32_e32 v5, vcc, v23, v20, vcc
	global_load_dword v11, v[4:5], off
	v_mov_b32_e32 v4, v2
	v_mov_b32_e32 v5, v2
	;; [unrolled: 1-line block ×14, first 2 shown]
.LBB161_10:                             ;   in Loop: Header=BB161_3 Depth=1
	s_or_b64 exec, exec, s[8:9]
	v_add_co_u32_e32 v58, vcc, 0xffffff02, v55
	v_addc_co_u32_e32 v59, vcc, -1, v56, vcc
	v_cmp_gt_i64_e32 vcc, s[12:13], v[58:59]
	s_and_b64 s[30:31], s[2:3], vcc
	s_and_saveexec_b64 s[8:9], s[30:31]
	s_cbranch_execz .LBB161_12
; %bb.11:                               ;   in Loop: Header=BB161_3 Depth=1
	v_add_co_u32_e32 v58, vcc, v48, v19
	v_addc_co_u32_e32 v59, vcc, v50, v20, vcc
	global_load_dword v4, v[58:59], off
	v_add_co_u32_e32 v58, vcc, v51, v19
	v_addc_co_u32_e32 v59, vcc, v52, v20, vcc
	global_load_dword v12, v[58:59], off
.LBB161_12:                             ;   in Loop: Header=BB161_3 Depth=1
	s_or_b64 exec, exec, s[8:9]
	v_add_co_u32_e32 v58, vcc, 0xffffff03, v55
	v_addc_co_u32_e32 v59, vcc, -1, v56, vcc
	v_cmp_gt_i64_e32 vcc, s[12:13], v[58:59]
	s_and_b64 s[30:31], s[2:3], vcc
	s_and_saveexec_b64 s[8:9], s[30:31]
	s_cbranch_execz .LBB161_14
; %bb.13:                               ;   in Loop: Header=BB161_3 Depth=1
	v_add_co_u32_e32 v58, vcc, v44, v19
	v_addc_co_u32_e32 v59, vcc, v45, v20, vcc
	global_load_dword v5, v[58:59], off
	v_add_co_u32_e32 v58, vcc, v46, v19
	v_addc_co_u32_e32 v59, vcc, v47, v20, vcc
	global_load_dword v13, v[58:59], off
.LBB161_14:                             ;   in Loop: Header=BB161_3 Depth=1
	;; [unrolled: 15-line block ×7, first 2 shown]
	s_or_b64 exec, exec, s[8:9]
	s_waitcnt vmcnt(0)
	ds_bpermute_b32 v49, v53, v57
	ds_bpermute_b32 v58, v53, v57 offset:4
	v_mul_f32_e32 v3, v11, v3
	ds_bpermute_b32 v11, v53, v57 offset:8
	v_mul_f32_e32 v4, v12, v4
	s_waitcnt lgkmcnt(2)
	v_fma_f32 v49, v3, v49, v54
	s_waitcnt lgkmcnt(1)
	v_fmac_f32_e32 v49, v4, v58
	ds_bpermute_b32 v3, v53, v57 offset:12
	v_mul_f32_e32 v4, v13, v5
	s_waitcnt lgkmcnt(1)
	v_fmac_f32_e32 v49, v4, v11
	ds_bpermute_b32 v4, v53, v57 offset:16
	v_mul_f32_e32 v5, v14, v6
	s_waitcnt lgkmcnt(1)
	v_fmac_f32_e32 v49, v5, v3
	v_mul_f32_e32 v3, v15, v7
	ds_bpermute_b32 v5, v53, v57 offset:20
	s_waitcnt lgkmcnt(1)
	v_fmac_f32_e32 v49, v3, v4
	ds_bpermute_b32 v4, v53, v57 offset:24
	ds_bpermute_b32 v3, v53, v57 offset:28
	v_mul_f32_e32 v6, v16, v8
	s_waitcnt lgkmcnt(2)
	v_fmac_f32_e32 v49, v6, v5
	v_mul_f32_e32 v5, v17, v9
	s_waitcnt lgkmcnt(1)
	v_fmac_f32_e32 v49, v5, v4
	s_mov_b64 s[8:9], 0
.LBB161_25:                             ;   in Loop: Header=BB161_3 Depth=1
	s_and_b64 vcc, exec, s[8:9]
	s_cbranch_vccz .LBB161_40
; %bb.26:                               ;   in Loop: Header=BB161_3 Depth=1
	s_load_dword s8, s[22:23], 0x0
	v_mov_b32_e32 v49, 0
	s_waitcnt lgkmcnt(0)
	s_cmp_lt_u32 s6, s8
	s_cselect_b32 s8, 12, 18
	s_add_u32 s8, s22, s8
	s_addc_u32 s9, s23, 0
	global_load_ushort v3, v2, s[8:9]
	s_waitcnt vmcnt(0)
	v_mad_u32_u24 v3, v1, v3, v60
	v_and_b32_e32 v3, 63, v3
	v_cmp_gt_u32_e32 vcc, 8, v3
	s_and_saveexec_b64 s[8:9], vcc
	s_cbranch_execz .LBB161_30
; %bb.27:                               ;   in Loop: Header=BB161_3 Depth=1
	v_add_co_u32_e32 v3, vcc, v55, v3
	v_addc_co_u32_e32 v4, vcc, 0, v56, vcc
	v_add_co_u32_e32 v3, vcc, 0xffffff01, v3
	v_addc_co_u32_e32 v4, vcc, -1, v4, vcc
	v_cmp_gt_i64_e32 vcc, s[12:13], v[3:4]
	v_mov_b32_e32 v49, 0
	s_and_saveexec_b64 s[30:31], vcc
	s_cbranch_execz .LBB161_29
; %bb.28:                               ;   in Loop: Header=BB161_3 Depth=1
	v_lshlrev_b64 v[3:4], 2, v[3:4]
	v_mov_b32_e32 v5, s11
	v_add_co_u32_e32 v3, vcc, s10, v3
	v_addc_co_u32_e32 v4, vcc, v5, v4, vcc
	global_load_dword v49, v[3:4], off
.LBB161_29:                             ;   in Loop: Header=BB161_3 Depth=1
	s_or_b64 exec, exec, s[30:31]
.LBB161_30:                             ;   in Loop: Header=BB161_3 Depth=1
	s_or_b64 exec, exec, s[8:9]
	v_mov_b32_e32 v9, v2
	v_mov_b32_e32 v3, v2
	;; [unrolled: 1-line block ×23, first 2 shown]
	s_and_saveexec_b64 s[8:9], s[2:3]
	s_cbranch_execnz .LBB161_42
; %bb.31:                               ;   in Loop: Header=BB161_3 Depth=1
	s_or_b64 exec, exec, s[8:9]
	s_and_saveexec_b64 s[8:9], s[2:3]
	s_cbranch_execnz .LBB161_43
.LBB161_32:                             ;   in Loop: Header=BB161_3 Depth=1
	s_or_b64 exec, exec, s[8:9]
	s_and_saveexec_b64 s[8:9], s[2:3]
	s_cbranch_execnz .LBB161_44
.LBB161_33:                             ;   in Loop: Header=BB161_3 Depth=1
	s_or_b64 exec, exec, s[8:9]
	s_and_saveexec_b64 s[8:9], s[2:3]
	s_cbranch_execnz .LBB161_45
.LBB161_34:                             ;   in Loop: Header=BB161_3 Depth=1
	s_or_b64 exec, exec, s[8:9]
	s_and_saveexec_b64 s[8:9], s[2:3]
	s_cbranch_execnz .LBB161_46
.LBB161_35:                             ;   in Loop: Header=BB161_3 Depth=1
	s_or_b64 exec, exec, s[8:9]
	s_and_saveexec_b64 s[8:9], s[2:3]
	s_cbranch_execnz .LBB161_47
.LBB161_36:                             ;   in Loop: Header=BB161_3 Depth=1
	s_or_b64 exec, exec, s[8:9]
	s_and_saveexec_b64 s[8:9], s[2:3]
	s_cbranch_execnz .LBB161_48
.LBB161_37:                             ;   in Loop: Header=BB161_3 Depth=1
	s_or_b64 exec, exec, s[8:9]
	s_and_saveexec_b64 s[8:9], s[2:3]
	s_cbranch_execz .LBB161_39
.LBB161_38:                             ;   in Loop: Header=BB161_3 Depth=1
	v_add_co_u32_e32 v55, vcc, v24, v19
	v_addc_co_u32_e32 v56, vcc, v25, v20, vcc
	global_load_dword v10, v[55:56], off
	v_add_co_u32_e32 v55, vcc, v26, v19
	v_addc_co_u32_e32 v56, vcc, v27, v20, vcc
	global_load_dword v18, v[55:56], off
.LBB161_39:                             ;   in Loop: Header=BB161_3 Depth=1
	s_or_b64 exec, exec, s[8:9]
	s_waitcnt vmcnt(0)
	ds_bpermute_b32 v55, v53, v49
	ds_bpermute_b32 v56, v53, v49 offset:4
	v_mul_f32_e32 v3, v11, v3
	ds_bpermute_b32 v11, v53, v49 offset:8
	v_mul_f32_e32 v4, v12, v4
	s_waitcnt lgkmcnt(2)
	v_fmac_f32_e32 v54, v3, v55
	s_waitcnt lgkmcnt(1)
	v_fmac_f32_e32 v54, v4, v56
	ds_bpermute_b32 v3, v53, v49 offset:12
	v_mul_f32_e32 v4, v13, v5
	s_waitcnt lgkmcnt(1)
	v_fmac_f32_e32 v54, v4, v11
	ds_bpermute_b32 v4, v53, v49 offset:16
	v_mul_f32_e32 v5, v14, v6
	s_waitcnt lgkmcnt(1)
	v_fmac_f32_e32 v54, v5, v3
	v_mul_f32_e32 v3, v15, v7
	ds_bpermute_b32 v5, v53, v49 offset:20
	s_waitcnt lgkmcnt(1)
	v_fmac_f32_e32 v54, v3, v4
	ds_bpermute_b32 v4, v53, v49 offset:24
	ds_bpermute_b32 v3, v53, v49 offset:28
	v_mul_f32_e32 v6, v16, v8
	s_waitcnt lgkmcnt(2)
	v_fmac_f32_e32 v54, v6, v5
	v_mul_f32_e32 v5, v17, v9
	s_waitcnt lgkmcnt(1)
	v_fmac_f32_e32 v54, v5, v4
	v_mov_b32_e32 v49, v54
.LBB161_40:                             ;   in Loop: Header=BB161_3 Depth=1
	v_mul_f32_e32 v4, v10, v18
	s_waitcnt lgkmcnt(0)
	v_fmac_f32_e32 v49, v4, v3
	v_mov_b32_e32 v3, s25
	v_add_co_u32_e32 v61, vcc, s24, v61
	v_addc_co_u32_e32 v21, vcc, v21, v3, vcc
	v_add_co_u32_e32 v22, vcc, s24, v22
	v_addc_co_u32_e32 v23, vcc, v23, v3, vcc
	;; [unrolled: 2-line block ×15, first 2 shown]
	v_add_co_u32_e32 v51, vcc, s24, v51
	s_add_u32 s28, s28, s7
	v_addc_co_u32_e32 v52, vcc, v52, v3, vcc
	v_mov_b32_e32 v3, s12
	s_addc_u32 s29, s29, 0
	v_mov_b32_e32 v4, s13
	v_cmp_lt_i64_e32 vcc, s[28:29], v[3:4]
	s_add_u32 s26, s26, s7
	s_addc_u32 s27, s27, 0
	s_cbranch_vccz .LBB161_50
; %bb.41:                               ;   in Loop: Header=BB161_3 Depth=1
	v_mov_b32_e32 v54, v49
	s_branch .LBB161_3
.LBB161_42:                             ;   in Loop: Header=BB161_3 Depth=1
	v_add_co_u32_e32 v3, vcc, v61, v19
	v_addc_co_u32_e32 v4, vcc, v21, v20, vcc
	global_load_dword v3, v[3:4], off
	v_add_co_u32_e32 v4, vcc, v22, v19
	v_addc_co_u32_e32 v5, vcc, v23, v20, vcc
	global_load_dword v11, v[4:5], off
	v_mov_b32_e32 v4, v2
	v_mov_b32_e32 v5, v2
	;; [unrolled: 1-line block ×14, first 2 shown]
	s_or_b64 exec, exec, s[8:9]
	s_and_saveexec_b64 s[8:9], s[2:3]
	s_cbranch_execz .LBB161_32
.LBB161_43:                             ;   in Loop: Header=BB161_3 Depth=1
	v_add_co_u32_e32 v55, vcc, v48, v19
	v_addc_co_u32_e32 v56, vcc, v50, v20, vcc
	global_load_dword v4, v[55:56], off
	v_add_co_u32_e32 v55, vcc, v51, v19
	v_addc_co_u32_e32 v56, vcc, v52, v20, vcc
	global_load_dword v12, v[55:56], off
	s_or_b64 exec, exec, s[8:9]
	s_and_saveexec_b64 s[8:9], s[2:3]
	s_cbranch_execz .LBB161_33
.LBB161_44:                             ;   in Loop: Header=BB161_3 Depth=1
	v_add_co_u32_e32 v55, vcc, v44, v19
	v_addc_co_u32_e32 v56, vcc, v45, v20, vcc
	global_load_dword v5, v[55:56], off
	v_add_co_u32_e32 v55, vcc, v46, v19
	v_addc_co_u32_e32 v56, vcc, v47, v20, vcc
	global_load_dword v13, v[55:56], off
	s_or_b64 exec, exec, s[8:9]
	s_and_saveexec_b64 s[8:9], s[2:3]
	s_cbranch_execz .LBB161_34
.LBB161_45:                             ;   in Loop: Header=BB161_3 Depth=1
	v_add_co_u32_e32 v55, vcc, v40, v19
	v_addc_co_u32_e32 v56, vcc, v41, v20, vcc
	global_load_dword v6, v[55:56], off
	v_add_co_u32_e32 v55, vcc, v42, v19
	v_addc_co_u32_e32 v56, vcc, v43, v20, vcc
	global_load_dword v14, v[55:56], off
	s_or_b64 exec, exec, s[8:9]
	s_and_saveexec_b64 s[8:9], s[2:3]
	s_cbranch_execz .LBB161_35
.LBB161_46:                             ;   in Loop: Header=BB161_3 Depth=1
	v_add_co_u32_e32 v55, vcc, v36, v19
	v_addc_co_u32_e32 v56, vcc, v37, v20, vcc
	global_load_dword v7, v[55:56], off
	v_add_co_u32_e32 v55, vcc, v38, v19
	v_addc_co_u32_e32 v56, vcc, v39, v20, vcc
	global_load_dword v15, v[55:56], off
	s_or_b64 exec, exec, s[8:9]
	s_and_saveexec_b64 s[8:9], s[2:3]
	s_cbranch_execz .LBB161_36
.LBB161_47:                             ;   in Loop: Header=BB161_3 Depth=1
	v_add_co_u32_e32 v55, vcc, v32, v19
	v_addc_co_u32_e32 v56, vcc, v33, v20, vcc
	global_load_dword v8, v[55:56], off
	v_add_co_u32_e32 v55, vcc, v34, v19
	v_addc_co_u32_e32 v56, vcc, v35, v20, vcc
	global_load_dword v16, v[55:56], off
	s_or_b64 exec, exec, s[8:9]
	s_and_saveexec_b64 s[8:9], s[2:3]
	s_cbranch_execz .LBB161_37
.LBB161_48:                             ;   in Loop: Header=BB161_3 Depth=1
	v_add_co_u32_e32 v55, vcc, v28, v19
	v_addc_co_u32_e32 v56, vcc, v29, v20, vcc
	global_load_dword v9, v[55:56], off
	v_add_co_u32_e32 v55, vcc, v30, v19
	v_addc_co_u32_e32 v56, vcc, v31, v20, vcc
	global_load_dword v17, v[55:56], off
	s_or_b64 exec, exec, s[8:9]
	s_and_saveexec_b64 s[8:9], s[2:3]
	s_cbranch_execnz .LBB161_38
	s_branch .LBB161_39
.LBB161_49:
                                        ; implicit-def: $vgpr49
	s_branch .LBB161_51
.LBB161_50:
	s_cbranch_execnz .LBB161_84
.LBB161_51:
	s_and_b64 vcc, exec, s[0:1]
	v_mov_b32_e32 v49, 0
	s_cbranch_vccnz .LBB161_84
; %bb.52:
	v_lshlrev_b32_e32 v0, 3, v1
	buffer_store_dword v0, off, s[36:39], 0 offset:100 ; 4-byte Folded Spill
	v_add_co_u32_e32 v0, vcc, s20, v0
	v_addc_co_u32_e64 v17, s[0:1], 0, 0, vcc
	v_mul_lo_u32 v2, s15, v0
	v_mul_lo_u32 v3, s14, v17
	v_mad_u64_u32 v[4:5], s[0:1], s14, v0, 0
	s_load_dword s7, s[4:5], 0x44
	s_add_u32 s2, s4, 64
	v_add3_u32 v5, v5, v3, v2
	v_lshlrev_b64 v[2:3], 2, v[4:5]
	s_addc_u32 s3, s5, 0
	s_waitcnt lgkmcnt(0)
	s_lshl_b32 s7, s7, 8
	v_mov_b32_e32 v6, s17
	v_add_co_u32_e32 v7, vcc, s16, v2
	s_mul_i32 s0, s15, s7
	s_mul_hi_u32 s1, s14, s7
	v_addc_co_u32_e32 v6, vcc, v6, v3, vcc
	s_add_i32 s1, s1, s0
	s_mul_i32 s0, s14, s7
	buffer_store_dword v6, off, s[36:39], 0 offset:4 ; 4-byte Folded Spill
	s_lshl_b64 s[8:9], s[0:1], 2
	v_mov_b32_e32 v6, s19
	v_add_co_u32_e32 v2, vcc, s18, v2
	buffer_store_dword v2, off, s[36:39], 0 offset:8 ; 4-byte Folded Spill
	v_addc_co_u32_e32 v2, vcc, v6, v3, vcc
	s_add_u32 s22, s20, 0xff
	buffer_store_dword v2, off, s[36:39], 0 offset:12 ; 4-byte Folded Spill
	s_addc_u32 s23, 0, 0
	v_lshlrev_b32_e32 v2, 5, v1
	s_lshl_b64 s[0:1], s[20:21], 2
	v_mov_b32_e32 v3, s1
	v_add_co_u32_e32 v6, vcc, s0, v2
	buffer_store_dword v7, off, s[36:39], 0 ; 4-byte Folded Spill
	v_addc_co_u32_e32 v7, vcc, 0, v3, vcc
	v_add_co_u32_e32 v8, vcc, 4, v6
	v_addc_co_u32_e32 v9, vcc, 0, v7, vcc
	v_mov_b32_e32 v2, s16
	v_mul_lo_u32 v12, s14, v9
	v_mov_b32_e32 v9, s18
	v_mov_b32_e32 v3, s17
	;; [unrolled: 1-line block ×3, first 2 shown]
	v_mad_u64_u32 v[19:20], s[0:1], s14, v8, v[2:3]
	v_mul_lo_u32 v13, s15, v8
	v_mad_u64_u32 v[21:22], s[0:1], s14, v8, v[9:10]
	v_add_co_u32_e32 v8, vcc, 8, v6
	v_addc_co_u32_e32 v14, vcc, 0, v7, vcc
	v_mov_b32_e32 v11, s15
	v_add_co_u32_e32 v4, vcc, s14, v4
	v_addc_co_u32_e32 v5, vcc, v5, v11, vcc
	v_mul_lo_u32 v15, s15, v8
	v_mad_u64_u32 v[23:24], s[0:1], s14, v8, v[2:3]
	v_mad_u64_u32 v[25:26], s[0:1], s14, v8, v[9:10]
	v_add_co_u32_e32 v8, vcc, 12, v6
	v_addc_co_u32_e32 v11, vcc, 0, v7, vcc
	v_add3_u32 v20, v13, v20, v12
	v_add3_u32 v22, v13, v22, v12
	v_mul_lo_u32 v11, s14, v11
	v_mul_lo_u32 v12, s15, v8
	v_mad_u64_u32 v[27:28], s[0:1], s14, v8, v[2:3]
	v_mad_u64_u32 v[29:30], s[0:1], s14, v8, v[9:10]
	v_add_co_u32_e32 v8, vcc, 16, v6
	v_mul_lo_u32 v14, s14, v14
	v_addc_co_u32_e32 v13, vcc, 0, v7, vcc
	v_mul_lo_u32 v16, s15, v8
	v_mad_u64_u32 v[31:32], s[0:1], s14, v8, v[2:3]
	v_mad_u64_u32 v[33:34], s[0:1], s14, v8, v[9:10]
	v_add_co_u32_e32 v8, vcc, 20, v6
	v_add3_u32 v28, v12, v28, v11
	v_add3_u32 v30, v12, v30, v11
	v_addc_co_u32_e32 v11, vcc, 0, v7, vcc
	v_mul_lo_u32 v12, s15, v8
	v_mad_u64_u32 v[35:36], s[0:1], s14, v8, v[2:3]
	v_mad_u64_u32 v[37:38], s[0:1], s14, v8, v[9:10]
	v_add_co_u32_e32 v8, vcc, 24, v6
	v_add3_u32 v24, v15, v24, v14
	v_add3_u32 v26, v15, v26, v14
	v_addc_co_u32_e32 v14, vcc, 0, v7, vcc
	v_add_co_u32_e32 v6, vcc, 28, v6
	v_addc_co_u32_e32 v7, vcc, 0, v7, vcc
	v_mad_u64_u32 v[39:40], s[0:1], s14, v8, v[2:3]
	v_mad_u64_u32 v[43:44], s[0:1], s14, v6, v[2:3]
	v_add_co_u32_e32 v2, vcc, 7, v0
	v_addc_co_u32_e32 v3, vcc, 0, v17, vcc
	v_mul_lo_u32 v15, s15, v8
	v_mad_u64_u32 v[41:42], s[0:1], s14, v8, v[9:10]
	v_mad_u64_u32 v[45:46], s[0:1], s14, v6, v[9:10]
	v_mul_lo_u32 v8, s14, v3
	v_mul_lo_u32 v9, s15, v2
	v_mad_u64_u32 v[2:3], s[0:1], s14, v2, 0
	v_mul_lo_u32 v7, s14, v7
	v_mul_lo_u32 v6, s15, v6
	v_add3_u32 v3, v3, v8, v9
	v_lshlrev_b64 v[2:3], 2, v[2:3]
	buffer_store_dword v1, off, s[36:39], 0 offset:96 ; 4-byte Folded Spill
	v_add3_u32 v44, v6, v44, v7
	v_add3_u32 v46, v6, v46, v7
	v_mov_b32_e32 v6, s17
	v_add_co_u32_e32 v1, vcc, s16, v2
	buffer_store_dword v1, off, s[36:39], 0 offset:16 ; 4-byte Folded Spill
	v_addc_co_u32_e32 v1, vcc, v6, v3, vcc
	v_add_co_u32_e32 v6, vcc, 6, v0
	v_addc_co_u32_e32 v7, vcc, 0, v17, vcc
	v_mul_lo_u32 v9, s14, v7
	v_mul_lo_u32 v10, s15, v6
	v_mad_u64_u32 v[6:7], s[0:1], s14, v6, 0
	buffer_store_dword v1, off, s[36:39], 0 offset:20 ; 4-byte Folded Spill
	v_mov_b32_e32 v8, s19
	v_add_co_u32_e32 v1, vcc, s18, v2
	v_add3_u32 v7, v7, v9, v10
	buffer_store_dword v1, off, s[36:39], 0 offset:24 ; 4-byte Folded Spill
	v_addc_co_u32_e32 v1, vcc, v8, v3, vcc
	v_lshlrev_b64 v[2:3], 2, v[6:7]
	buffer_store_dword v1, off, s[36:39], 0 offset:28 ; 4-byte Folded Spill
	v_mov_b32_e32 v6, s17
	v_add_co_u32_e32 v1, vcc, s16, v2
	buffer_store_dword v1, off, s[36:39], 0 offset:32 ; 4-byte Folded Spill
	v_addc_co_u32_e32 v1, vcc, v6, v3, vcc
	v_add_co_u32_e32 v6, vcc, 5, v0
	v_addc_co_u32_e32 v7, vcc, 0, v17, vcc
	v_mul_lo_u32 v9, s14, v7
	v_mul_lo_u32 v10, s15, v6
	v_mad_u64_u32 v[6:7], s[0:1], s14, v6, 0
	buffer_store_dword v1, off, s[36:39], 0 offset:36 ; 4-byte Folded Spill
	v_add_co_u32_e32 v1, vcc, s18, v2
	v_add3_u32 v7, v7, v9, v10
	buffer_store_dword v1, off, s[36:39], 0 offset:40 ; 4-byte Folded Spill
	v_addc_co_u32_e32 v1, vcc, v8, v3, vcc
	v_lshlrev_b64 v[2:3], 2, v[6:7]
	buffer_store_dword v1, off, s[36:39], 0 offset:44 ; 4-byte Folded Spill
	v_mov_b32_e32 v6, s17
	v_add_co_u32_e32 v1, vcc, s16, v2
	buffer_store_dword v1, off, s[36:39], 0 offset:48 ; 4-byte Folded Spill
	v_addc_co_u32_e32 v1, vcc, v6, v3, vcc
	v_add_co_u32_e32 v6, vcc, 4, v0
	v_addc_co_u32_e32 v7, vcc, 0, v17, vcc
	v_mul_lo_u32 v9, s14, v7
	v_mul_lo_u32 v10, s15, v6
	v_mad_u64_u32 v[6:7], s[0:1], s14, v6, 0
	buffer_store_dword v1, off, s[36:39], 0 offset:52 ; 4-byte Folded Spill
	v_add_co_u32_e32 v1, vcc, s18, v2
	v_add3_u32 v7, v7, v9, v10
	buffer_store_dword v1, off, s[36:39], 0 offset:56 ; 4-byte Folded Spill
	v_addc_co_u32_e32 v1, vcc, v8, v3, vcc
	v_lshlrev_b64 v[2:3], 2, v[6:7]
	buffer_store_dword v1, off, s[36:39], 0 offset:60 ; 4-byte Folded Spill
	v_mov_b32_e32 v6, s17
	v_add_co_u32_e32 v1, vcc, s16, v2
	buffer_store_dword v1, off, s[36:39], 0 offset:64 ; 4-byte Folded Spill
	v_addc_co_u32_e32 v1, vcc, v6, v3, vcc
	buffer_store_dword v1, off, s[36:39], 0 offset:68 ; 4-byte Folded Spill
	v_mov_b32_e32 v6, s19
	v_add_co_u32_e32 v1, vcc, s18, v2
	buffer_store_dword v1, off, s[36:39], 0 offset:72 ; 4-byte Folded Spill
	v_addc_co_u32_e32 v1, vcc, v6, v3, vcc
	v_add_co_u32_e32 v2, vcc, 3, v0
	v_addc_co_u32_e32 v3, vcc, 0, v17, vcc
	v_mul_lo_u32 v6, s14, v3
	v_mul_lo_u32 v7, s15, v2
	v_mad_u64_u32 v[2:3], s[0:1], s14, v2, 0
	buffer_store_dword v1, off, s[36:39], 0 offset:76 ; 4-byte Folded Spill
	v_mul_lo_u32 v13, s14, v13
	v_add3_u32 v3, v3, v6, v7
	v_lshlrev_b64 v[2:3], 2, v[2:3]
	v_mov_b32_e32 v6, s17
	v_add_co_u32_e32 v1, vcc, s16, v2
	buffer_store_dword v1, off, s[36:39], 0 offset:80 ; 4-byte Folded Spill
	v_addc_co_u32_e32 v1, vcc, v6, v3, vcc
	buffer_store_dword v1, off, s[36:39], 0 offset:84 ; 4-byte Folded Spill
	v_mov_b32_e32 v6, s19
	v_add_co_u32_e32 v1, vcc, s18, v2
	v_addc_co_u32_e32 v58, vcc, v6, v3, vcc
	v_add_co_u32_e32 v0, vcc, 2, v0
	buffer_store_dword v1, off, s[36:39], 0 offset:88 ; 4-byte Folded Spill
	v_addc_co_u32_e32 v1, vcc, 0, v17, vcc
	v_mul_lo_u32 v2, s14, v1
	v_mul_lo_u32 v3, s15, v0
	v_mad_u64_u32 v[0:1], s[0:1], s14, v0, 0
	v_mul_lo_u32 v11, s14, v11
	v_mul_lo_u32 v14, s14, v14
	v_add3_u32 v1, v1, v2, v3
	v_lshlrev_b64 v[0:1], 2, v[0:1]
	v_mov_b32_e32 v2, s17
	v_add_co_u32_e32 v59, vcc, s16, v0
	v_mov_b32_e32 v3, v60
	v_addc_co_u32_e32 v60, vcc, v2, v1, vcc
	v_mov_b32_e32 v2, s19
	v_add_co_u32_e32 v61, vcc, s18, v0
	v_addc_co_u32_e32 v62, vcc, v2, v1, vcc
	v_lshlrev_b64 v[0:1], 2, v[4:5]
	v_mov_b32_e32 v2, s17
	v_add_co_u32_e32 v63, vcc, s16, v0
	v_addc_co_u32_e32 v50, vcc, v2, v1, vcc
	v_mov_b32_e32 v2, s19
	v_add_co_u32_e32 v51, vcc, s18, v0
	v_addc_co_u32_e32 v0, vcc, v2, v1, vcc
	v_mov_b32_e32 v2, 0
	v_mbcnt_lo_u32_b32 v1, -1, 0
	buffer_store_dword v3, off, s[36:39], 0 offset:92 ; 4-byte Folded Spill
	v_add_u32_e32 v3, s33, v3
	v_mov_b32_e32 v4, v2
	v_mbcnt_hi_u32_b32 v1, -1, v1
	v_lshlrev_b64 v[47:48], 2, v[3:4]
	v_lshlrev_b32_e32 v1, 2, v1
	v_add3_u32 v32, v16, v32, v13
	v_add3_u32 v34, v16, v34, v13
	;; [unrolled: 1-line block ×6, first 2 shown]
	v_and_b32_e32 v1, 0x100, v1
	v_mov_b32_e32 v52, 0
.LBB161_53:                             ; =>This Inner Loop Header: Depth=1
	v_mov_b32_e32 v3, s12
	v_mov_b32_e32 v4, s13
	v_cmp_ge_i64_e32 vcc, s[22:23], v[3:4]
	buffer_load_dword v4, off, s[36:39], 0 offset:100 ; 4-byte Folded Reload
	v_mov_b32_e32 v3, s23
	s_and_b64 vcc, exec, vcc
                                        ; implicit-def: $vgpr49
	s_waitcnt vmcnt(0)
	v_add_co_u32_e64 v53, s[0:1], s22, v4
	v_addc_co_u32_e64 v54, s[0:1], 0, v3, s[0:1]
	s_mov_b64 s[0:1], -1
	s_cbranch_vccz .LBB161_75
; %bb.54:                               ;   in Loop: Header=BB161_53 Depth=1
	s_load_dword s0, s[2:3], 0xc
	buffer_load_dword v3, off, s[36:39], 0 offset:92 ; 4-byte Folded Reload
	buffer_load_dword v4, off, s[36:39], 0 offset:96 ; 4-byte Folded Reload
	v_mov_b32_e32 v55, 0
	s_waitcnt lgkmcnt(0)
	s_and_b32 s0, s0, 0xffff
	s_waitcnt vmcnt(0)
	v_mad_u32_u24 v3, v4, s0, v3
	v_and_b32_e32 v3, 63, v3
	v_cmp_gt_u32_e32 vcc, 8, v3
	s_and_saveexec_b64 s[0:1], vcc
	s_cbranch_execz .LBB161_58
; %bb.55:                               ;   in Loop: Header=BB161_53 Depth=1
	v_add_co_u32_e32 v3, vcc, v53, v3
	v_addc_co_u32_e32 v4, vcc, 0, v54, vcc
	v_add_co_u32_e32 v3, vcc, 0xffffff01, v3
	v_addc_co_u32_e32 v4, vcc, -1, v4, vcc
	v_cmp_gt_i64_e32 vcc, s[12:13], v[3:4]
	v_mov_b32_e32 v55, 0
	s_and_saveexec_b64 s[16:17], vcc
	s_cbranch_execz .LBB161_57
; %bb.56:                               ;   in Loop: Header=BB161_53 Depth=1
	v_lshlrev_b64 v[3:4], 2, v[3:4]
	v_mov_b32_e32 v5, s11
	v_add_co_u32_e32 v3, vcc, s10, v3
	v_addc_co_u32_e32 v4, vcc, v5, v4, vcc
	global_load_dword v55, v[3:4], off
.LBB161_57:                             ;   in Loop: Header=BB161_53 Depth=1
	s_or_b64 exec, exec, s[16:17]
.LBB161_58:                             ;   in Loop: Header=BB161_53 Depth=1
	s_or_b64 exec, exec, s[0:1]
	v_add_co_u32_e32 v3, vcc, 0xffffff01, v53
	v_addc_co_u32_e32 v4, vcc, -1, v54, vcc
	v_mov_b32_e32 v9, v2
	v_cmp_gt_i64_e32 vcc, s[12:13], v[3:4]
	v_mov_b32_e32 v3, v2
	v_mov_b32_e32 v4, v2
	;; [unrolled: 1-line block ×22, first 2 shown]
	s_and_saveexec_b64 s[0:1], vcc
	s_cbranch_execz .LBB161_60
; %bb.59:                               ;   in Loop: Header=BB161_53 Depth=1
	buffer_load_dword v3, off, s[36:39], 0  ; 4-byte Folded Reload
	buffer_load_dword v4, off, s[36:39], 0 offset:4 ; 4-byte Folded Reload
	buffer_load_dword v5, off, s[36:39], 0 offset:12 ; 4-byte Folded Reload
	v_mov_b32_e32 v6, v2
	v_mov_b32_e32 v7, v2
	;; [unrolled: 1-line block ×12, first 2 shown]
	s_waitcnt vmcnt(2)
	v_add_co_u32_e32 v3, vcc, v3, v47
	s_waitcnt vmcnt(1)
	v_addc_co_u32_e32 v4, vcc, v4, v48, vcc
	global_load_dword v3, v[3:4], off
	s_nop 0
	buffer_load_dword v4, off, s[36:39], 0 offset:8 ; 4-byte Folded Reload
	s_waitcnt vmcnt(0)
	v_add_co_u32_e32 v4, vcc, v4, v47
	v_addc_co_u32_e32 v5, vcc, v5, v48, vcc
	global_load_dword v11, v[4:5], off
	v_mov_b32_e32 v4, v2
	v_mov_b32_e32 v5, v2
.LBB161_60:                             ;   in Loop: Header=BB161_53 Depth=1
	s_or_b64 exec, exec, s[0:1]
	v_add_co_u32_e32 v56, vcc, 0xffffff02, v53
	v_addc_co_u32_e32 v57, vcc, -1, v54, vcc
	v_cmp_gt_i64_e32 vcc, s[12:13], v[56:57]
	s_and_saveexec_b64 s[0:1], vcc
	s_cbranch_execz .LBB161_62
; %bb.61:                               ;   in Loop: Header=BB161_53 Depth=1
	v_add_co_u32_e32 v56, vcc, v63, v47
	v_addc_co_u32_e32 v57, vcc, v50, v48, vcc
	global_load_dword v4, v[56:57], off
	v_add_co_u32_e32 v56, vcc, v51, v47
	v_addc_co_u32_e32 v57, vcc, v0, v48, vcc
	global_load_dword v12, v[56:57], off
.LBB161_62:                             ;   in Loop: Header=BB161_53 Depth=1
	s_or_b64 exec, exec, s[0:1]
	v_add_co_u32_e32 v56, vcc, 0xffffff03, v53
	v_addc_co_u32_e32 v57, vcc, -1, v54, vcc
	v_cmp_gt_i64_e32 vcc, s[12:13], v[56:57]
	s_and_saveexec_b64 s[0:1], vcc
	s_cbranch_execz .LBB161_64
; %bb.63:                               ;   in Loop: Header=BB161_53 Depth=1
	v_add_co_u32_e32 v56, vcc, v59, v47
	v_addc_co_u32_e32 v57, vcc, v60, v48, vcc
	global_load_dword v5, v[56:57], off
	v_add_co_u32_e32 v56, vcc, v61, v47
	v_addc_co_u32_e32 v57, vcc, v62, v48, vcc
	global_load_dword v13, v[56:57], off
.LBB161_64:                             ;   in Loop: Header=BB161_53 Depth=1
	s_or_b64 exec, exec, s[0:1]
	v_add_co_u32_e32 v56, vcc, 0xffffff04, v53
	v_addc_co_u32_e32 v57, vcc, -1, v54, vcc
	v_cmp_gt_i64_e32 vcc, s[12:13], v[56:57]
	s_and_saveexec_b64 s[0:1], vcc
	s_cbranch_execz .LBB161_66
; %bb.65:                               ;   in Loop: Header=BB161_53 Depth=1
	buffer_load_dword v6, off, s[36:39], 0 offset:80 ; 4-byte Folded Reload
	buffer_load_dword v14, off, s[36:39], 0 offset:88 ; 4-byte Folded Reload
	s_waitcnt vmcnt(1)
	v_add_co_u32_e32 v56, vcc, v6, v47
	buffer_load_dword v6, off, s[36:39], 0 offset:84 ; 4-byte Folded Reload
	s_waitcnt vmcnt(0)
	v_addc_co_u32_e32 v57, vcc, v6, v48, vcc
	global_load_dword v6, v[56:57], off
	v_add_co_u32_e32 v56, vcc, v14, v47
	v_addc_co_u32_e32 v57, vcc, v58, v48, vcc
	global_load_dword v14, v[56:57], off
.LBB161_66:                             ;   in Loop: Header=BB161_53 Depth=1
	s_or_b64 exec, exec, s[0:1]
	v_add_co_u32_e32 v56, vcc, 0xffffff05, v53
	v_addc_co_u32_e32 v57, vcc, -1, v54, vcc
	v_cmp_gt_i64_e32 vcc, s[12:13], v[56:57]
	s_and_saveexec_b64 s[0:1], vcc
	s_cbranch_execz .LBB161_68
; %bb.67:                               ;   in Loop: Header=BB161_53 Depth=1
	buffer_load_dword v7, off, s[36:39], 0 offset:64 ; 4-byte Folded Reload
	buffer_load_dword v15, off, s[36:39], 0 offset:72 ; 4-byte Folded Reload
	s_waitcnt vmcnt(1)
	v_add_co_u32_e32 v56, vcc, v7, v47
	buffer_load_dword v7, off, s[36:39], 0 offset:68 ; 4-byte Folded Reload
	s_waitcnt vmcnt(0)
	v_addc_co_u32_e32 v57, vcc, v7, v48, vcc
	global_load_dword v7, v[56:57], off
	v_add_co_u32_e32 v56, vcc, v15, v47
	buffer_load_dword v15, off, s[36:39], 0 offset:76 ; 4-byte Folded Reload
	s_waitcnt vmcnt(0)
	v_addc_co_u32_e32 v57, vcc, v15, v48, vcc
	global_load_dword v15, v[56:57], off
.LBB161_68:                             ;   in Loop: Header=BB161_53 Depth=1
	s_or_b64 exec, exec, s[0:1]
	v_add_co_u32_e32 v56, vcc, 0xffffff06, v53
	v_addc_co_u32_e32 v57, vcc, -1, v54, vcc
	v_cmp_gt_i64_e32 vcc, s[12:13], v[56:57]
	s_and_saveexec_b64 s[0:1], vcc
	s_cbranch_execz .LBB161_70
; %bb.69:                               ;   in Loop: Header=BB161_53 Depth=1
	buffer_load_dword v8, off, s[36:39], 0 offset:48 ; 4-byte Folded Reload
	buffer_load_dword v16, off, s[36:39], 0 offset:56 ; 4-byte Folded Reload
	s_waitcnt vmcnt(1)
	v_add_co_u32_e32 v56, vcc, v8, v47
	buffer_load_dword v8, off, s[36:39], 0 offset:52 ; 4-byte Folded Reload
	s_waitcnt vmcnt(0)
	v_addc_co_u32_e32 v57, vcc, v8, v48, vcc
	global_load_dword v8, v[56:57], off
	v_add_co_u32_e32 v56, vcc, v16, v47
	buffer_load_dword v16, off, s[36:39], 0 offset:60 ; 4-byte Folded Reload
	s_waitcnt vmcnt(0)
	v_addc_co_u32_e32 v57, vcc, v16, v48, vcc
	global_load_dword v16, v[56:57], off
.LBB161_70:                             ;   in Loop: Header=BB161_53 Depth=1
	;; [unrolled: 21-line block ×4, first 2 shown]
	s_or_b64 exec, exec, s[0:1]
	s_waitcnt vmcnt(0)
	ds_bpermute_b32 v49, v1, v55
	v_mul_f32_e32 v3, v11, v3
	v_mul_f32_e32 v4, v12, v4
	s_mov_b64 s[0:1], 0
	s_waitcnt lgkmcnt(0)
	v_fma_f32 v49, v3, v49, v52
	ds_bpermute_b32 v3, v1, v55 offset:4
	s_waitcnt lgkmcnt(0)
	v_fmac_f32_e32 v49, v4, v3
	ds_bpermute_b32 v3, v1, v55 offset:8
	v_mul_f32_e32 v4, v13, v5
	s_waitcnt lgkmcnt(0)
	v_fmac_f32_e32 v49, v4, v3
	ds_bpermute_b32 v3, v1, v55 offset:12
	v_mul_f32_e32 v4, v14, v6
	;; [unrolled: 4-line block ×6, first 2 shown]
	s_waitcnt lgkmcnt(0)
	v_fmac_f32_e32 v49, v4, v3
.LBB161_75:                             ;   in Loop: Header=BB161_53 Depth=1
	s_and_b64 vcc, exec, s[0:1]
	s_cbranch_vccz .LBB161_81
; %bb.76:                               ;   in Loop: Header=BB161_53 Depth=1
	s_load_dword s0, s[2:3], 0x0
	s_waitcnt lgkmcnt(0)
	s_cmp_lt_u32 s6, s0
	s_cselect_b32 s0, 12, 18
	s_add_u32 s0, s2, s0
	s_addc_u32 s1, s3, 0
	global_load_ushort v3, v2, s[0:1]
	buffer_load_dword v4, off, s[36:39], 0 offset:92 ; 4-byte Folded Reload
	buffer_load_dword v5, off, s[36:39], 0 offset:96 ; 4-byte Folded Reload
	s_waitcnt vmcnt(0)
	v_mad_u32_u24 v3, v5, v3, v4
	v_and_b32_e32 v3, 63, v3
	v_cmp_gt_u32_e32 vcc, 8, v3
	v_mov_b32_e32 v5, 0
	s_and_saveexec_b64 s[0:1], vcc
	s_cbranch_execz .LBB161_80
; %bb.77:                               ;   in Loop: Header=BB161_53 Depth=1
	v_add_co_u32_e32 v3, vcc, v53, v3
	v_addc_co_u32_e32 v4, vcc, 0, v54, vcc
	v_add_co_u32_e32 v3, vcc, 0xffffff01, v3
	v_addc_co_u32_e32 v4, vcc, -1, v4, vcc
	v_cmp_gt_i64_e32 vcc, s[12:13], v[3:4]
	v_mov_b32_e32 v5, 0
	s_and_saveexec_b64 s[16:17], vcc
	s_cbranch_execz .LBB161_79
; %bb.78:                               ;   in Loop: Header=BB161_53 Depth=1
	v_lshlrev_b64 v[3:4], 2, v[3:4]
	v_mov_b32_e32 v5, s11
	v_add_co_u32_e32 v3, vcc, s10, v3
	v_addc_co_u32_e32 v4, vcc, v5, v4, vcc
	global_load_dword v5, v[3:4], off
.LBB161_79:                             ;   in Loop: Header=BB161_53 Depth=1
	s_or_b64 exec, exec, s[16:17]
.LBB161_80:                             ;   in Loop: Header=BB161_53 Depth=1
	s_or_b64 exec, exec, s[0:1]
	buffer_load_dword v3, off, s[36:39], 0  ; 4-byte Folded Reload
	buffer_load_dword v4, off, s[36:39], 0 offset:4 ; 4-byte Folded Reload
	s_waitcnt vmcnt(1)
	v_add_co_u32_e32 v3, vcc, v3, v47
	s_waitcnt vmcnt(0)
	v_addc_co_u32_e32 v4, vcc, v4, v48, vcc
	global_load_dword v6, v[3:4], off
	s_nop 0
	buffer_load_dword v3, off, s[36:39], 0 offset:8 ; 4-byte Folded Reload
	buffer_load_dword v4, off, s[36:39], 0 offset:12 ; 4-byte Folded Reload
	s_waitcnt vmcnt(1)
	v_add_co_u32_e32 v3, vcc, v3, v47
	s_waitcnt vmcnt(0)
	v_addc_co_u32_e32 v4, vcc, v4, v48, vcc
	global_load_dword v7, v[3:4], off
	v_add_co_u32_e32 v3, vcc, v19, v47
	v_addc_co_u32_e32 v4, vcc, v20, v48, vcc
	global_load_dword v8, v[3:4], off
	v_add_co_u32_e32 v3, vcc, v21, v47
	;; [unrolled: 3-line block ×14, first 2 shown]
	v_addc_co_u32_e32 v4, vcc, v46, v48, vcc
	global_load_dword v3, v[3:4], off
	ds_bpermute_b32 v4, v1, v5
	s_waitcnt vmcnt(14)
	v_mul_f32_e32 v6, v6, v7
	s_waitcnt lgkmcnt(0)
	v_fmac_f32_e32 v52, v6, v4
	ds_bpermute_b32 v4, v1, v5 offset:4
	s_waitcnt vmcnt(12)
	v_mul_f32_e32 v6, v8, v9
	s_waitcnt lgkmcnt(0)
	v_fmac_f32_e32 v52, v6, v4
	ds_bpermute_b32 v4, v1, v5 offset:8
	;; [unrolled: 5-line block ×7, first 2 shown]
	s_waitcnt vmcnt(0)
	v_mul_f32_e32 v3, v53, v3
	s_waitcnt lgkmcnt(0)
	v_fmac_f32_e32 v52, v3, v4
	v_mov_b32_e32 v49, v52
.LBB161_81:                             ;   in Loop: Header=BB161_53 Depth=1
	buffer_load_dword v3, off, s[36:39], 0  ; 4-byte Folded Reload
	buffer_load_dword v4, off, s[36:39], 0 offset:4 ; 4-byte Folded Reload
	s_add_u32 s20, s20, s7
	s_addc_u32 s21, s21, 0
	s_add_u32 s22, s22, s7
	s_addc_u32 s23, s23, 0
	s_waitcnt vmcnt(1)
	v_add_co_u32_e32 v3, vcc, s8, v3
	buffer_store_dword v3, off, s[36:39], 0 ; 4-byte Folded Spill
	v_mov_b32_e32 v3, s9
	s_waitcnt vmcnt(1)
	v_addc_co_u32_e32 v4, vcc, v4, v3, vcc
	buffer_store_dword v4, off, s[36:39], 0 offset:4 ; 4-byte Folded Spill
	buffer_load_dword v4, off, s[36:39], 0 offset:8 ; 4-byte Folded Reload
	s_waitcnt vmcnt(0)
	v_add_co_u32_e32 v4, vcc, s8, v4
	buffer_store_dword v4, off, s[36:39], 0 offset:8 ; 4-byte Folded Spill
	buffer_load_dword v4, off, s[36:39], 0 offset:12 ; 4-byte Folded Reload
	s_waitcnt vmcnt(0)
	v_addc_co_u32_e32 v4, vcc, v4, v3, vcc
	buffer_store_dword v4, off, s[36:39], 0 offset:12 ; 4-byte Folded Spill
	buffer_load_dword v4, off, s[36:39], 0 offset:16 ; 4-byte Folded Reload
	v_add_co_u32_e32 v19, vcc, s8, v19
	v_addc_co_u32_e32 v20, vcc, v20, v3, vcc
	v_add_co_u32_e32 v23, vcc, s8, v23
	v_addc_co_u32_e32 v24, vcc, v24, v3, vcc
	;; [unrolled: 2-line block ×14, first 2 shown]
	s_waitcnt vmcnt(0)
	v_add_co_u32_e32 v4, vcc, s8, v4
	buffer_store_dword v4, off, s[36:39], 0 offset:16 ; 4-byte Folded Spill
	buffer_load_dword v4, off, s[36:39], 0 offset:20 ; 4-byte Folded Reload
	s_waitcnt vmcnt(0)
	v_addc_co_u32_e32 v4, vcc, v4, v3, vcc
	buffer_store_dword v4, off, s[36:39], 0 offset:20 ; 4-byte Folded Spill
	buffer_load_dword v4, off, s[36:39], 0 offset:24 ; 4-byte Folded Reload
	s_waitcnt vmcnt(0)
	v_add_co_u32_e32 v4, vcc, s8, v4
	buffer_store_dword v4, off, s[36:39], 0 offset:24 ; 4-byte Folded Spill
	buffer_load_dword v4, off, s[36:39], 0 offset:28 ; 4-byte Folded Reload
	s_waitcnt vmcnt(0)
	v_addc_co_u32_e32 v4, vcc, v4, v3, vcc
	buffer_store_dword v4, off, s[36:39], 0 offset:28 ; 4-byte Folded Spill
	buffer_load_dword v4, off, s[36:39], 0 offset:32 ; 4-byte Folded Reload
	;; [unrolled: 8-line block ×9, first 2 shown]
	s_waitcnt vmcnt(0)
	v_add_co_u32_e32 v4, vcc, s8, v4
	v_addc_co_u32_e32 v58, vcc, v58, v3, vcc
	v_add_co_u32_e32 v59, vcc, s8, v59
	v_addc_co_u32_e32 v60, vcc, v60, v3, vcc
	;; [unrolled: 2-line block ×4, first 2 shown]
	v_add_co_u32_e32 v51, vcc, s8, v51
	buffer_store_dword v4, off, s[36:39], 0 offset:88 ; 4-byte Folded Spill
	v_addc_co_u32_e32 v0, vcc, v0, v3, vcc
	v_mov_b32_e32 v3, s12
	v_mov_b32_e32 v4, s13
	v_cmp_ge_i64_e32 vcc, s[20:21], v[3:4]
	s_cbranch_vccnz .LBB161_83
; %bb.82:                               ;   in Loop: Header=BB161_53 Depth=1
	v_mov_b32_e32 v52, v49
	s_branch .LBB161_53
.LBB161_83:
	buffer_load_dword v60, off, s[36:39], 0 offset:92 ; 4-byte Folded Reload
	buffer_load_dword v1, off, s[36:39], 0 offset:96 ; 4-byte Folded Reload
.LBB161_84:
	s_waitcnt vmcnt(0)
	v_mad_u32_u24 v0, v1, 33, v60
	v_sub_u32_e32 v4, v0, v1
	s_movk_i32 s0, 0x800
	v_lshl_add_u32 v3, v0, 2, 0
	v_mov_b32_e32 v2, 0
	v_cmp_gt_u32_e32 vcc, s0, v4
	ds_write_b32 v3, v49
	ds_write_b32 v3, v2 offset:4224
	s_waitcnt lgkmcnt(0)
	s_barrier
	s_and_saveexec_b64 s[0:1], vcc
	s_cbranch_execz .LBB161_94
; %bb.85:
	s_load_dwordx2 s[4:5], s[4:5], 0x30
	v_and_b32_e32 v0, 63, v4
	v_lshrrev_b32_e32 v2, 6, v4
	v_cmp_gt_u32_e32 vcc, 32, v0
	v_mul_u32_u24_e32 v3, 33, v0
                                        ; implicit-def: $vgpr0
	s_and_saveexec_b64 s[0:1], vcc
; %bb.86:
	v_lshlrev_b32_e32 v0, 2, v2
	v_lshlrev_b32_e32 v1, 2, v3
	v_add3_u32 v0, 0, v0, v1
	ds_read_b32 v0, v0
; %bb.87:
	s_or_b64 exec, exec, s[0:1]
	v_mbcnt_lo_u32_b32 v1, -1, 0
	v_mbcnt_hi_u32_b32 v1, -1, v1
	v_and_b32_e32 v5, 64, v1
	v_add_u32_e32 v9, 64, v5
	v_xor_b32_e32 v5, 16, v1
	v_cmp_lt_i32_e64 s[0:1], v5, v9
	v_cndmask_b32_e64 v5, v1, v5, s[0:1]
	v_lshlrev_b32_e32 v5, 2, v5
	s_waitcnt lgkmcnt(0)
	ds_bpermute_b32 v6, v5, v0
	v_xor_b32_e32 v7, 8, v1
	v_cmp_lt_i32_e64 s[0:1], v7, v9
	v_xor_b32_e32 v8, 4, v1
	v_xor_b32_e32 v10, 2, v1
	s_waitcnt lgkmcnt(0)
	v_add_f32_e32 v0, v0, v6
	v_cndmask_b32_e64 v6, v1, v7, s[0:1]
	v_lshlrev_b32_e32 v6, 2, v6
	ds_bpermute_b32 v7, v6, v0
	v_cmp_lt_i32_e64 s[0:1], v8, v9
	s_mov_b32 s7, 0
	s_lshl_b64 s[6:7], s[6:7], 5
	s_cmp_eq_u64 s[4:5], 0
	s_waitcnt lgkmcnt(0)
	v_add_f32_e32 v0, v0, v7
	v_cndmask_b32_e64 v7, v1, v8, s[0:1]
	v_lshlrev_b32_e32 v7, 2, v7
	ds_bpermute_b32 v8, v7, v0
	v_cmp_lt_i32_e64 s[0:1], v10, v9
	s_cselect_b64 s[8:9], -1, 0
	s_waitcnt lgkmcnt(0)
	v_add_f32_e32 v0, v0, v8
	v_cndmask_b32_e64 v8, v1, v10, s[0:1]
	v_lshlrev_b32_e32 v8, 2, v8
	ds_bpermute_b32 v10, v8, v0
	v_cmp_ne_u32_e64 s[0:1], 0, v60
	s_waitcnt lgkmcnt(0)
	v_add_f32_e32 v10, v0, v10
	v_xor_b32_e32 v0, 1, v1
	v_cmp_lt_i32_e64 s[2:3], v0, v9
	v_cndmask_b32_e64 v0, v1, v0, s[2:3]
	v_lshlrev_b32_e32 v9, 2, v0
	ds_bpermute_b32 v11, v9, v10
	v_or_b32_e32 v0, s6, v2
	v_mov_b32_e32 v1, s7
	v_cmp_le_i64_e64 s[2:3], s[14:15], v[0:1]
	s_or_b64 s[2:3], s[0:1], s[2:3]
	s_waitcnt lgkmcnt(0)
	v_add_f32_e32 v10, v10, v11
	s_nor_b64 s[2:3], s[8:9], s[2:3]
	s_and_saveexec_b64 s[10:11], s[2:3]
	s_cbranch_execz .LBB161_89
; %bb.88:
	v_lshlrev_b64 v[0:1], 2, v[0:1]
	v_mov_b32_e32 v11, s5
	v_add_co_u32_e64 v0, s[2:3], s4, v0
	v_addc_co_u32_e64 v1, s[2:3], v11, v1, s[2:3]
	global_store_dword v[0:1], v10, off
.LBB161_89:
	s_or_b64 exec, exec, s[10:11]
	s_movk_i32 s2, 0x400
	v_cmp_gt_u32_e64 s[2:3], s2, v4
	s_and_b64 exec, exec, s[2:3]
	s_cbranch_execz .LBB161_94
; %bb.90:
	s_and_saveexec_b64 s[2:3], vcc
; %bb.91:
	v_lshlrev_b32_e32 v0, 2, v2
	v_lshlrev_b32_e32 v1, 2, v3
	v_add3_u32 v0, 0, v0, v1
	ds_read_b32 v10, v0 offset:64
; %bb.92:
	s_or_b64 exec, exec, s[2:3]
	s_waitcnt lgkmcnt(0)
	ds_bpermute_b32 v0, v5, v10
	v_add_u32_e32 v3, 16, v2
	v_or_b32_e32 v3, s6, v3
	v_mov_b32_e32 v4, s7
	v_cmp_le_i64_e32 vcc, s[14:15], v[3:4]
	s_waitcnt lgkmcnt(0)
	v_add_f32_e32 v0, v10, v0
	ds_bpermute_b32 v1, v6, v0
	s_or_b64 s[0:1], s[0:1], vcc
	s_nor_b64 s[0:1], s[8:9], s[0:1]
	s_waitcnt lgkmcnt(0)
	v_add_f32_e32 v0, v0, v1
	ds_bpermute_b32 v1, v7, v0
	s_waitcnt lgkmcnt(0)
	v_add_f32_e32 v0, v0, v1
	ds_bpermute_b32 v1, v8, v0
	;; [unrolled: 3-line block ×3, first 2 shown]
	s_and_saveexec_b64 s[2:3], s[0:1]
	s_xor_b64 s[2:3], exec, s[2:3]
	s_cbranch_execz .LBB161_94
; %bb.93:
	s_waitcnt lgkmcnt(0)
	v_add_f32_e32 v3, v0, v1
	v_mov_b32_e32 v1, s7
	v_add_co_u32_e32 v0, vcc, s6, v2
	v_addc_co_u32_e32 v1, vcc, 0, v1, vcc
	v_lshlrev_b64 v[0:1], 2, v[0:1]
	v_mov_b32_e32 v2, s5
	v_add_co_u32_e32 v0, vcc, s4, v0
	v_addc_co_u32_e32 v1, vcc, v2, v1, vcc
	global_store_dword v[0:1], v3, off offset:64
.LBB161_94:
	s_endpgm
	.section	.rodata,"a",@progbits
	.p2align	6, 0x0
	.amdhsa_kernel _ZN2at6native12_GLOBAL__N_135GammaBetaBackwardCUDAKernelTemplateIffLj32ELj32ELj256ELb0ELb0ELb1EEEvllPKT_S5_PKT0_S8_PS3_S9_
		.amdhsa_group_segment_fixed_size 0
		.amdhsa_private_segment_fixed_size 108
		.amdhsa_kernarg_size 320
		.amdhsa_user_sgpr_count 6
		.amdhsa_user_sgpr_private_segment_buffer 1
		.amdhsa_user_sgpr_dispatch_ptr 0
		.amdhsa_user_sgpr_queue_ptr 0
		.amdhsa_user_sgpr_kernarg_segment_ptr 1
		.amdhsa_user_sgpr_dispatch_id 0
		.amdhsa_user_sgpr_flat_scratch_init 0
		.amdhsa_user_sgpr_private_segment_size 0
		.amdhsa_uses_dynamic_stack 0
		.amdhsa_system_sgpr_private_segment_wavefront_offset 1
		.amdhsa_system_sgpr_workgroup_id_x 1
		.amdhsa_system_sgpr_workgroup_id_y 1
		.amdhsa_system_sgpr_workgroup_id_z 0
		.amdhsa_system_sgpr_workgroup_info 0
		.amdhsa_system_vgpr_workitem_id 1
		.amdhsa_next_free_vgpr 64
		.amdhsa_next_free_sgpr 40
		.amdhsa_reserve_vcc 1
		.amdhsa_reserve_flat_scratch 0
		.amdhsa_float_round_mode_32 0
		.amdhsa_float_round_mode_16_64 0
		.amdhsa_float_denorm_mode_32 3
		.amdhsa_float_denorm_mode_16_64 3
		.amdhsa_dx10_clamp 1
		.amdhsa_ieee_mode 1
		.amdhsa_fp16_overflow 0
		.amdhsa_exception_fp_ieee_invalid_op 0
		.amdhsa_exception_fp_denorm_src 0
		.amdhsa_exception_fp_ieee_div_zero 0
		.amdhsa_exception_fp_ieee_overflow 0
		.amdhsa_exception_fp_ieee_underflow 0
		.amdhsa_exception_fp_ieee_inexact 0
		.amdhsa_exception_int_div_zero 0
	.end_amdhsa_kernel
	.section	.text._ZN2at6native12_GLOBAL__N_135GammaBetaBackwardCUDAKernelTemplateIffLj32ELj32ELj256ELb0ELb0ELb1EEEvllPKT_S5_PKT0_S8_PS3_S9_,"axG",@progbits,_ZN2at6native12_GLOBAL__N_135GammaBetaBackwardCUDAKernelTemplateIffLj32ELj32ELj256ELb0ELb0ELb1EEEvllPKT_S5_PKT0_S8_PS3_S9_,comdat
.Lfunc_end161:
	.size	_ZN2at6native12_GLOBAL__N_135GammaBetaBackwardCUDAKernelTemplateIffLj32ELj32ELj256ELb0ELb0ELb1EEEvllPKT_S5_PKT0_S8_PS3_S9_, .Lfunc_end161-_ZN2at6native12_GLOBAL__N_135GammaBetaBackwardCUDAKernelTemplateIffLj32ELj32ELj256ELb0ELb0ELb1EEEvllPKT_S5_PKT0_S8_PS3_S9_
                                        ; -- End function
	.set _ZN2at6native12_GLOBAL__N_135GammaBetaBackwardCUDAKernelTemplateIffLj32ELj32ELj256ELb0ELb0ELb1EEEvllPKT_S5_PKT0_S8_PS3_S9_.num_vgpr, 64
	.set _ZN2at6native12_GLOBAL__N_135GammaBetaBackwardCUDAKernelTemplateIffLj32ELj32ELj256ELb0ELb0ELb1EEEvllPKT_S5_PKT0_S8_PS3_S9_.num_agpr, 0
	.set _ZN2at6native12_GLOBAL__N_135GammaBetaBackwardCUDAKernelTemplateIffLj32ELj32ELj256ELb0ELb0ELb1EEEvllPKT_S5_PKT0_S8_PS3_S9_.numbered_sgpr, 40
	.set _ZN2at6native12_GLOBAL__N_135GammaBetaBackwardCUDAKernelTemplateIffLj32ELj32ELj256ELb0ELb0ELb1EEEvllPKT_S5_PKT0_S8_PS3_S9_.num_named_barrier, 0
	.set _ZN2at6native12_GLOBAL__N_135GammaBetaBackwardCUDAKernelTemplateIffLj32ELj32ELj256ELb0ELb0ELb1EEEvllPKT_S5_PKT0_S8_PS3_S9_.private_seg_size, 108
	.set _ZN2at6native12_GLOBAL__N_135GammaBetaBackwardCUDAKernelTemplateIffLj32ELj32ELj256ELb0ELb0ELb1EEEvllPKT_S5_PKT0_S8_PS3_S9_.uses_vcc, 1
	.set _ZN2at6native12_GLOBAL__N_135GammaBetaBackwardCUDAKernelTemplateIffLj32ELj32ELj256ELb0ELb0ELb1EEEvllPKT_S5_PKT0_S8_PS3_S9_.uses_flat_scratch, 0
	.set _ZN2at6native12_GLOBAL__N_135GammaBetaBackwardCUDAKernelTemplateIffLj32ELj32ELj256ELb0ELb0ELb1EEEvllPKT_S5_PKT0_S8_PS3_S9_.has_dyn_sized_stack, 0
	.set _ZN2at6native12_GLOBAL__N_135GammaBetaBackwardCUDAKernelTemplateIffLj32ELj32ELj256ELb0ELb0ELb1EEEvllPKT_S5_PKT0_S8_PS3_S9_.has_recursion, 0
	.set _ZN2at6native12_GLOBAL__N_135GammaBetaBackwardCUDAKernelTemplateIffLj32ELj32ELj256ELb0ELb0ELb1EEEvllPKT_S5_PKT0_S8_PS3_S9_.has_indirect_call, 0
	.section	.AMDGPU.csdata,"",@progbits
; Kernel info:
; codeLenInByte = 7492
; TotalNumSgprs: 44
; NumVgprs: 64
; ScratchSize: 108
; MemoryBound: 0
; FloatMode: 240
; IeeeMode: 1
; LDSByteSize: 0 bytes/workgroup (compile time only)
; SGPRBlocks: 5
; VGPRBlocks: 15
; NumSGPRsForWavesPerEU: 44
; NumVGPRsForWavesPerEU: 64
; Occupancy: 4
; WaveLimiterHint : 0
; COMPUTE_PGM_RSRC2:SCRATCH_EN: 1
; COMPUTE_PGM_RSRC2:USER_SGPR: 6
; COMPUTE_PGM_RSRC2:TRAP_HANDLER: 0
; COMPUTE_PGM_RSRC2:TGID_X_EN: 1
; COMPUTE_PGM_RSRC2:TGID_Y_EN: 1
; COMPUTE_PGM_RSRC2:TGID_Z_EN: 0
; COMPUTE_PGM_RSRC2:TIDIG_COMP_CNT: 1
	.section	.text._ZN2at6native12_GLOBAL__N_118cuComputeGradInputIN3c104HalfEfLb1EEEvPKT_S7_llPKT0_SA_S7_PS5_,"axG",@progbits,_ZN2at6native12_GLOBAL__N_118cuComputeGradInputIN3c104HalfEfLb1EEEvPKT_S7_llPKT0_SA_S7_PS5_,comdat
	.globl	_ZN2at6native12_GLOBAL__N_118cuComputeGradInputIN3c104HalfEfLb1EEEvPKT_S7_llPKT0_SA_S7_PS5_ ; -- Begin function _ZN2at6native12_GLOBAL__N_118cuComputeGradInputIN3c104HalfEfLb1EEEvPKT_S7_llPKT0_SA_S7_PS5_
	.p2align	8
	.type	_ZN2at6native12_GLOBAL__N_118cuComputeGradInputIN3c104HalfEfLb1EEEvPKT_S7_llPKT0_SA_S7_PS5_,@function
_ZN2at6native12_GLOBAL__N_118cuComputeGradInputIN3c104HalfEfLb1EEEvPKT_S7_llPKT0_SA_S7_PS5_: ; @_ZN2at6native12_GLOBAL__N_118cuComputeGradInputIN3c104HalfEfLb1EEEvPKT_S7_llPKT0_SA_S7_PS5_
; %bb.0:
	s_load_dwordx4 s[16:19], s[4:5], 0x10
	s_mov_b32 s14, s7
	s_ashr_i32 s15, s7, 31
	v_mov_b32_e32 v2, s14
	v_mov_b32_e32 v3, s15
	s_waitcnt lgkmcnt(0)
	v_cmp_le_i64_e32 vcc, s[16:17], v[2:3]
	s_cbranch_vccnz .LBB162_49
; %bb.1:
	s_load_dword s0, s[4:5], 0x4c
	s_load_dwordx4 s[20:23], s[4:5], 0x30
	s_load_dword s33, s[4:5], 0x44
	s_load_dwordx4 s[24:27], s[4:5], 0x0
	s_load_dwordx2 s[34:35], s[4:5], 0x28
	v_cmp_gt_i64_e64 s[4:5], s[18:19], 0
	s_waitcnt lgkmcnt(0)
	s_lshr_b32 s38, s0, 16
	s_and_b32 s39, s0, 0xffff
	s_cmp_lg_u64 s[20:21], 0
	s_cselect_b64 s[8:9], -1, 0
	s_cmp_gt_u32 s39, 1
	s_cselect_b64 s[28:29], -1, 0
	s_cmp_gt_u32 s38, 1
	s_cselect_b64 s[30:31], -1, 0
	s_xor_b32 s1, s18, s19
	s_flbit_i32 s0, s19
	s_ashr_i32 s1, s1, 31
	s_add_i32 s0, s0, -1
	s_add_i32 s1, s1, 32
	s_min_u32 s2, s0, s1
	s_lshl_b64 s[0:1], s[18:19], s2
	s_min_u32 s0, s0, 1
	s_or_b32 s0, s1, s0
	v_cvt_f32_i32_e32 v2, s0
	s_sub_i32 s0, 32, s2
	v_cndmask_b32_e64 v5, 0, 1, s[4:5]
	v_cmp_ne_u32_e64 s[4:5], 1, v5
	v_ldexp_f32 v10, v2, s0
	v_div_scale_f32 v2, s[0:1], v10, v10, 1.0
	v_div_scale_f32 v4, vcc, 1.0, v10, 1.0
	v_mbcnt_lo_u32_b32 v8, -1, 0
	v_mbcnt_hi_u32_b32 v11, -1, v8
	s_mul_i32 s40, s38, s39
	v_mov_b32_e32 v3, 0
	s_ashr_i32 s41, s40, 31
	v_lshlrev_b32_e32 v6, 3, v0
	v_cmp_eq_u32_e64 s[0:1], 0, v1
	v_cmp_ne_u32_e64 s[2:3], 0, v1
	v_add_u32_e32 v14, 0, v6
	v_rcp_f32_e32 v7, v2
	v_fma_f32 v5, -v2, v7, 1.0
	v_fmac_f32_e32 v7, v5, v7
	v_mul_f32_e32 v5, v4, v7
	v_fma_f32 v8, -v2, v5, v4
	v_fmac_f32_e32 v5, v8, v7
	v_fma_f32 v2, -v2, v5, v4
	v_div_fmas_f32 v7, v2, v7, v5
	v_mad_u32_u24 v2, v1, s39, v0
	v_lshlrev_b32_e32 v4, 3, v2
	v_add_u32_e32 v5, s40, v2
	v_cndmask_b32_e64 v8, 0, 1, s[8:9]
	v_cmp_gt_i64_e64 s[6:7], s[18:19], v[2:3]
	v_ashrrev_i32_e32 v9, 31, v5
	v_cmp_ne_u32_e64 s[8:9], 1, v8
	v_add_u32_e32 v12, 0, v4
	v_mov_b32_e32 v8, s41
	v_subrev_co_u32_e32 v4, vcc, s40, v5
	v_subb_co_u32_e32 v5, vcc, v9, v8, vcc
	v_div_fixup_f32 v13, v7, v10, 1.0
	s_branch .LBB162_4
.LBB162_2:                              ;   in Loop: Header=BB162_4 Depth=1
	s_or_b64 exec, exec, s[12:13]
.LBB162_3:                              ;   in Loop: Header=BB162_4 Depth=1
	s_add_i32 s14, s33, s14
	s_ashr_i32 s15, s14, 31
	v_mov_b32_e32 v6, s14
	v_mov_b32_e32 v7, s15
	v_cmp_le_i64_e32 vcc, s[16:17], v[6:7]
	s_waitcnt vmcnt(0)
	s_barrier
	s_cbranch_vccnz .LBB162_49
.LBB162_4:                              ; =>This Loop Header: Depth=1
                                        ;     Child Loop BB162_8 Depth 2
                                        ;     Child Loop BB162_20 Depth 2
	;; [unrolled: 1-line block ×6, first 2 shown]
	s_mul_i32 s10, s14, s19
	s_mul_hi_u32 s11, s14, s18
	s_add_i32 s10, s11, s10
	s_mul_i32 s11, s15, s18
	s_add_i32 s11, s10, s11
	s_lshl_b64 s[12:13], s[14:15], 2
	s_add_u32 s12, s34, s12
	s_mul_i32 s10, s14, s18
	s_addc_u32 s13, s35, s13
	s_load_dword s15, s[12:13], 0x0
	s_lshl_b64 s[36:37], s[10:11], 1
	s_add_u32 s42, s26, s36
	s_addc_u32 s43, s27, s37
	s_add_u32 s44, s24, s36
	s_addc_u32 s45, s25, s37
	s_and_b64 vcc, exec, s[8:9]
	s_cbranch_vccnz .LBB162_14
; %bb.5:                                ;   in Loop: Header=BB162_4 Depth=1
	s_and_b64 vcc, exec, s[4:5]
	s_cbranch_vccnz .LBB162_15
; %bb.6:                                ;   in Loop: Header=BB162_4 Depth=1
	s_mov_b32 s46, 0
	v_mov_b32_e32 v15, 0
	s_branch .LBB162_8
.LBB162_7:                              ;   in Loop: Header=BB162_8 Depth=2
	s_or_b64 exec, exec, s[10:11]
	s_add_i32 s46, s46, s40
	v_mul_f32_e32 v6, v8, v16
	s_ashr_i32 s10, s46, 31
	v_mul_f32_e32 v8, v9, v6
	v_mov_b32_e32 v6, s46
	v_mov_b32_e32 v7, s10
	v_cmp_le_i64_e32 vcc, s[18:19], v[6:7]
	s_waitcnt lgkmcnt(0)
	v_fmac_f32_e32 v15, s15, v8
	s_cbranch_vccnz .LBB162_16
.LBB162_8:                              ;   Parent Loop BB162_4 Depth=1
                                        ; =>  This Inner Loop Header: Depth=2
	v_add_u32_e32 v6, s46, v2
	v_ashrrev_i32_e32 v7, 31, v6
	v_cmp_gt_i64_e32 vcc, s[18:19], v[6:7]
	v_lshlrev_b64 v[6:7], 1, v[6:7]
	v_mov_b32_e32 v8, 0
	s_and_saveexec_b64 s[12:13], vcc
	s_cbranch_execz .LBB162_10
; %bb.9:                                ;   in Loop: Header=BB162_8 Depth=2
	v_mov_b32_e32 v9, s21
	v_add_co_u32_e64 v8, s[10:11], s20, v6
	v_addc_co_u32_e64 v9, s[10:11], v9, v7, s[10:11]
	global_load_ushort v8, v[8:9], off
	s_waitcnt vmcnt(0)
	v_cvt_f32_f16_e32 v8, v8
.LBB162_10:                             ;   in Loop: Header=BB162_8 Depth=2
	s_or_b64 exec, exec, s[12:13]
	v_mov_b32_e32 v16, 0
	v_mov_b32_e32 v9, 0
	s_and_saveexec_b64 s[12:13], vcc
	s_cbranch_execz .LBB162_12
; %bb.11:                               ;   in Loop: Header=BB162_8 Depth=2
	v_mov_b32_e32 v9, s43
	v_add_co_u32_e64 v17, s[10:11], s42, v6
	v_addc_co_u32_e64 v18, s[10:11], v9, v7, s[10:11]
	global_load_ushort v9, v[17:18], off
	s_waitcnt vmcnt(0)
	v_cvt_f32_f16_e32 v9, v9
.LBB162_12:                             ;   in Loop: Header=BB162_8 Depth=2
	s_or_b64 exec, exec, s[12:13]
	s_and_saveexec_b64 s[10:11], vcc
	s_cbranch_execz .LBB162_7
; %bb.13:                               ;   in Loop: Header=BB162_8 Depth=2
	v_mov_b32_e32 v16, s45
	v_add_co_u32_e32 v6, vcc, s44, v6
	v_addc_co_u32_e32 v7, vcc, v16, v7, vcc
	global_load_ushort v6, v[6:7], off
	s_waitcnt vmcnt(0)
	v_cvt_f32_f16_e32 v16, v6
	s_branch .LBB162_7
.LBB162_14:                             ;   in Loop: Header=BB162_4 Depth=1
                                        ; implicit-def: $vgpr15
	s_branch .LBB162_17
.LBB162_15:                             ;   in Loop: Header=BB162_4 Depth=1
	v_mov_b32_e32 v15, 0
.LBB162_16:                             ;   in Loop: Header=BB162_4 Depth=1
	s_cbranch_execnz .LBB162_25
.LBB162_17:                             ;   in Loop: Header=BB162_4 Depth=1
	s_and_b64 vcc, exec, s[4:5]
	s_cbranch_vccnz .LBB162_24
; %bb.18:                               ;   in Loop: Header=BB162_4 Depth=1
	s_mov_b32 s46, 0
	v_mov_b32_e32 v15, 0
	s_branch .LBB162_20
.LBB162_19:                             ;   in Loop: Header=BB162_20 Depth=2
	s_or_b64 exec, exec, s[10:11]
	s_add_i32 s46, s46, s40
	s_ashr_i32 s10, s46, 31
	v_mov_b32_e32 v6, s46
	v_mov_b32_e32 v7, s10
	v_cmp_le_i64_e32 vcc, s[18:19], v[6:7]
	v_mul_f32_e32 v8, v8, v9
	s_waitcnt lgkmcnt(0)
	v_fmac_f32_e32 v15, s15, v8
	s_cbranch_vccnz .LBB162_25
.LBB162_20:                             ;   Parent Loop BB162_4 Depth=1
                                        ; =>  This Inner Loop Header: Depth=2
	v_add_u32_e32 v6, s46, v2
	v_ashrrev_i32_e32 v7, 31, v6
	v_cmp_gt_i64_e32 vcc, s[18:19], v[6:7]
	v_lshlrev_b64 v[6:7], 1, v[6:7]
	v_mov_b32_e32 v8, 0
	s_and_saveexec_b64 s[12:13], vcc
	s_cbranch_execz .LBB162_22
; %bb.21:                               ;   in Loop: Header=BB162_20 Depth=2
	v_mov_b32_e32 v9, s43
	v_add_co_u32_e64 v8, s[10:11], s42, v6
	v_addc_co_u32_e64 v9, s[10:11], v9, v7, s[10:11]
	global_load_ushort v8, v[8:9], off
	s_waitcnt vmcnt(0)
	v_cvt_f32_f16_e32 v8, v8
.LBB162_22:                             ;   in Loop: Header=BB162_20 Depth=2
	s_or_b64 exec, exec, s[12:13]
	v_mov_b32_e32 v9, 0
	s_and_saveexec_b64 s[10:11], vcc
	s_cbranch_execz .LBB162_19
; %bb.23:                               ;   in Loop: Header=BB162_20 Depth=2
	v_mov_b32_e32 v9, s45
	v_add_co_u32_e32 v6, vcc, s44, v6
	v_addc_co_u32_e32 v7, vcc, v9, v7, vcc
	global_load_ushort v6, v[6:7], off
	s_waitcnt vmcnt(0)
	v_cvt_f32_f16_e32 v9, v6
	s_branch .LBB162_19
.LBB162_24:                             ;   in Loop: Header=BB162_4 Depth=1
	v_mov_b32_e32 v15, 0
.LBB162_25:                             ;   in Loop: Header=BB162_4 Depth=1
	s_andn2_b64 vcc, exec, s[28:29]
	s_cbranch_vccnz .LBB162_28
; %bb.26:                               ;   in Loop: Header=BB162_4 Depth=1
	v_and_b32_e32 v6, 64, v11
	v_add_u32_e32 v6, 64, v6
	s_mov_b32 s10, s39
.LBB162_27:                             ;   Parent Loop BB162_4 Depth=1
                                        ; =>  This Inner Loop Header: Depth=2
	s_lshr_b32 s11, s10, 1
	v_xor_b32_e32 v7, s11, v11
	v_cmp_lt_i32_e32 vcc, v7, v6
	v_cndmask_b32_e32 v7, v11, v7, vcc
	v_lshlrev_b32_e32 v7, 2, v7
	ds_bpermute_b32 v7, v7, v15
	s_cmp_lt_u32 s10, 4
	s_mov_b32 s10, s11
	s_waitcnt lgkmcnt(0)
	v_add_f32_e32 v15, v15, v7
	s_cbranch_scc0 .LBB162_27
.LBB162_28:                             ;   in Loop: Header=BB162_4 Depth=1
	s_andn2_b64 vcc, exec, s[30:31]
	s_mov_b32 s46, s38
	s_cbranch_vccnz .LBB162_40
.LBB162_29:                             ;   Parent Loop BB162_4 Depth=1
                                        ; =>  This Inner Loop Header: Depth=2
	s_lshr_b32 s47, s46, 1
	s_and_b32 s12, s46, 0xfffe
	v_cmp_le_u32_e64 s[10:11], s47, v1
	v_cmp_gt_u32_e64 s[12:13], s12, v1
	v_cmp_gt_u32_e32 vcc, s47, v1
	s_and_b64 s[12:13], s[10:11], s[12:13]
	s_and_saveexec_b64 s[10:11], s[12:13]
; %bb.30:                               ;   in Loop: Header=BB162_29 Depth=2
	v_subrev_u32_e32 v6, s47, v1
	v_mad_u32_u24 v6, v6, s39, v0
	v_lshl_add_u32 v6, v6, 3, 0
	ds_write_b32 v6, v15 offset:4
; %bb.31:                               ;   in Loop: Header=BB162_29 Depth=2
	s_or_b64 exec, exec, s[10:11]
	s_waitcnt lgkmcnt(0)
	s_barrier
	s_and_saveexec_b64 s[10:11], vcc
	s_cbranch_execz .LBB162_33
; %bb.32:                               ;   in Loop: Header=BB162_29 Depth=2
	ds_read_b32 v6, v12 offset:4
	s_waitcnt lgkmcnt(0)
	v_add_f32_e32 v15, v15, v6
.LBB162_33:                             ;   in Loop: Header=BB162_29 Depth=2
	s_or_b64 exec, exec, s[10:11]
	s_cmp_lt_u32 s46, 4
	s_barrier
	s_cbranch_scc1 .LBB162_35
; %bb.34:                               ;   in Loop: Header=BB162_29 Depth=2
	s_mov_b32 s46, s47
	s_branch .LBB162_29
.LBB162_35:                             ;   in Loop: Header=BB162_4 Depth=1
	s_and_saveexec_b64 s[10:11], s[0:1]
; %bb.36:                               ;   in Loop: Header=BB162_4 Depth=1
	ds_write_b32 v14, v15 offset:4
; %bb.37:                               ;   in Loop: Header=BB162_4 Depth=1
	s_or_b64 exec, exec, s[10:11]
	s_waitcnt lgkmcnt(0)
	s_barrier
	s_and_saveexec_b64 s[10:11], s[2:3]
; %bb.38:                               ;   in Loop: Header=BB162_4 Depth=1
	ds_read_b32 v15, v14 offset:4
; %bb.39:                               ;   in Loop: Header=BB162_4 Depth=1
	s_or_b64 exec, exec, s[10:11]
.LBB162_40:                             ;   in Loop: Header=BB162_4 Depth=1
	s_add_u32 s46, s22, s36
	s_addc_u32 s47, s23, s37
	s_and_b64 vcc, exec, s[8:9]
	s_waitcnt lgkmcnt(0)
	v_mul_f32_e32 v16, s15, v13
	s_cbranch_vccnz .LBB162_45
; %bb.41:                               ;   in Loop: Header=BB162_4 Depth=1
	s_and_saveexec_b64 s[10:11], s[6:7]
	s_cbranch_execz .LBB162_44
; %bb.42:                               ;   in Loop: Header=BB162_4 Depth=1
	v_mov_b32_e32 v7, v5
	v_mov_b32_e32 v9, v3
	s_mov_b64 s[12:13], 0
	v_mov_b32_e32 v6, v4
	v_mov_b32_e32 v8, v2
.LBB162_43:                             ;   Parent Loop BB162_4 Depth=1
                                        ; =>  This Inner Loop Header: Depth=2
	v_lshlrev_b64 v[17:18], 1, v[8:9]
	v_mov_b32_e32 v9, s43
	v_add_co_u32_e32 v8, vcc, s42, v17
	v_addc_co_u32_e32 v9, vcc, v9, v18, vcc
	v_mov_b32_e32 v20, s45
	v_add_co_u32_e32 v19, vcc, s44, v17
	v_addc_co_u32_e32 v20, vcc, v20, v18, vcc
	global_load_ushort v22, v[8:9], off
	global_load_ushort v23, v[19:20], off
	v_mov_b32_e32 v21, s21
	v_add_co_u32_e32 v8, vcc, s20, v17
	v_addc_co_u32_e32 v9, vcc, v21, v18, vcc
	global_load_ushort v19, v[8:9], off
	v_mov_b32_e32 v8, s41
	v_add_co_u32_e32 v6, vcc, s40, v6
	v_addc_co_u32_e32 v7, vcc, v7, v8, vcc
	v_mov_b32_e32 v20, s47
	v_add_co_u32_e32 v17, vcc, s46, v17
	v_addc_co_u32_e32 v18, vcc, v20, v18, vcc
	v_cmp_le_i64_e32 vcc, s[18:19], v[6:7]
	v_ashrrev_i32_e32 v9, 31, v6
	v_mov_b32_e32 v8, v6
	s_or_b64 s[12:13], vcc, s[12:13]
	s_waitcnt vmcnt(2)
	v_cvt_f32_f16_e32 v20, v22
	s_waitcnt vmcnt(1)
	v_cvt_f32_f16_e32 v21, v23
	v_mul_f32_e32 v20, s15, v20
	v_mul_f32_e32 v21, v10, v21
	;; [unrolled: 1-line block ×3, first 2 shown]
	s_waitcnt vmcnt(0)
	v_fma_mix_f32 v19, v21, v19, -v20 op_sel_hi:[0,1,0]
	v_fma_mixlo_f16 v19, v16, v19, 0
	global_store_short v[17:18], v19, off
	s_andn2_b64 exec, exec, s[12:13]
	s_cbranch_execnz .LBB162_43
.LBB162_44:                             ;   in Loop: Header=BB162_4 Depth=1
	s_or_b64 exec, exec, s[10:11]
	s_cbranch_execnz .LBB162_3
	s_branch .LBB162_46
.LBB162_45:                             ;   in Loop: Header=BB162_4 Depth=1
.LBB162_46:                             ;   in Loop: Header=BB162_4 Depth=1
	s_and_saveexec_b64 s[12:13], s[6:7]
	s_cbranch_execz .LBB162_2
; %bb.47:                               ;   in Loop: Header=BB162_4 Depth=1
	v_mov_b32_e32 v7, v5
	v_mov_b32_e32 v9, v3
	s_mov_b64 s[36:37], 0
	v_mov_b32_e32 v6, v4
	v_mov_b32_e32 v8, v2
.LBB162_48:                             ;   Parent Loop BB162_4 Depth=1
                                        ; =>  This Inner Loop Header: Depth=2
	v_lshlrev_b64 v[17:18], 1, v[8:9]
	v_mov_b32_e32 v9, s43
	v_add_co_u32_e32 v8, vcc, s42, v17
	v_addc_co_u32_e32 v9, vcc, v9, v18, vcc
	global_load_ushort v19, v[8:9], off
	v_mov_b32_e32 v9, s45
	v_add_co_u32_e32 v8, vcc, s44, v17
	v_addc_co_u32_e32 v9, vcc, v9, v18, vcc
	global_load_ushort v20, v[8:9], off
	v_mov_b32_e32 v8, s41
	v_add_co_u32_e32 v6, vcc, s40, v6
	v_addc_co_u32_e32 v7, vcc, v7, v8, vcc
	v_cmp_le_i64_e64 s[10:11], s[18:19], v[6:7]
	v_mov_b32_e32 v21, s47
	v_add_co_u32_e32 v17, vcc, s46, v17
	v_ashrrev_i32_e32 v9, 31, v6
	v_mov_b32_e32 v8, v6
	v_addc_co_u32_e32 v18, vcc, v21, v18, vcc
	s_or_b64 s[36:37], s[10:11], s[36:37]
	s_waitcnt vmcnt(1)
	v_cvt_f32_f16_e32 v19, v19
	v_mul_f32_e32 v19, s15, v19
	v_mul_f32_e32 v19, v15, v19
	s_waitcnt vmcnt(0)
	v_fma_mix_f32 v19, v10, v20, -v19 op_sel_hi:[0,1,0]
	v_fma_mixlo_f16 v19, v16, v19, 0
	global_store_short v[17:18], v19, off
	s_andn2_b64 exec, exec, s[36:37]
	s_cbranch_execnz .LBB162_48
	s_branch .LBB162_2
.LBB162_49:
	s_endpgm
	.section	.rodata,"a",@progbits
	.p2align	6, 0x0
	.amdhsa_kernel _ZN2at6native12_GLOBAL__N_118cuComputeGradInputIN3c104HalfEfLb1EEEvPKT_S7_llPKT0_SA_S7_PS5_
		.amdhsa_group_segment_fixed_size 0
		.amdhsa_private_segment_fixed_size 0
		.amdhsa_kernarg_size 320
		.amdhsa_user_sgpr_count 6
		.amdhsa_user_sgpr_private_segment_buffer 1
		.amdhsa_user_sgpr_dispatch_ptr 0
		.amdhsa_user_sgpr_queue_ptr 0
		.amdhsa_user_sgpr_kernarg_segment_ptr 1
		.amdhsa_user_sgpr_dispatch_id 0
		.amdhsa_user_sgpr_flat_scratch_init 0
		.amdhsa_user_sgpr_private_segment_size 0
		.amdhsa_uses_dynamic_stack 0
		.amdhsa_system_sgpr_private_segment_wavefront_offset 0
		.amdhsa_system_sgpr_workgroup_id_x 1
		.amdhsa_system_sgpr_workgroup_id_y 1
		.amdhsa_system_sgpr_workgroup_id_z 0
		.amdhsa_system_sgpr_workgroup_info 0
		.amdhsa_system_vgpr_workitem_id 1
		.amdhsa_next_free_vgpr 24
		.amdhsa_next_free_sgpr 48
		.amdhsa_reserve_vcc 1
		.amdhsa_reserve_flat_scratch 0
		.amdhsa_float_round_mode_32 0
		.amdhsa_float_round_mode_16_64 0
		.amdhsa_float_denorm_mode_32 3
		.amdhsa_float_denorm_mode_16_64 3
		.amdhsa_dx10_clamp 1
		.amdhsa_ieee_mode 1
		.amdhsa_fp16_overflow 0
		.amdhsa_exception_fp_ieee_invalid_op 0
		.amdhsa_exception_fp_denorm_src 0
		.amdhsa_exception_fp_ieee_div_zero 0
		.amdhsa_exception_fp_ieee_overflow 0
		.amdhsa_exception_fp_ieee_underflow 0
		.amdhsa_exception_fp_ieee_inexact 0
		.amdhsa_exception_int_div_zero 0
	.end_amdhsa_kernel
	.section	.text._ZN2at6native12_GLOBAL__N_118cuComputeGradInputIN3c104HalfEfLb1EEEvPKT_S7_llPKT0_SA_S7_PS5_,"axG",@progbits,_ZN2at6native12_GLOBAL__N_118cuComputeGradInputIN3c104HalfEfLb1EEEvPKT_S7_llPKT0_SA_S7_PS5_,comdat
.Lfunc_end162:
	.size	_ZN2at6native12_GLOBAL__N_118cuComputeGradInputIN3c104HalfEfLb1EEEvPKT_S7_llPKT0_SA_S7_PS5_, .Lfunc_end162-_ZN2at6native12_GLOBAL__N_118cuComputeGradInputIN3c104HalfEfLb1EEEvPKT_S7_llPKT0_SA_S7_PS5_
                                        ; -- End function
	.set _ZN2at6native12_GLOBAL__N_118cuComputeGradInputIN3c104HalfEfLb1EEEvPKT_S7_llPKT0_SA_S7_PS5_.num_vgpr, 24
	.set _ZN2at6native12_GLOBAL__N_118cuComputeGradInputIN3c104HalfEfLb1EEEvPKT_S7_llPKT0_SA_S7_PS5_.num_agpr, 0
	.set _ZN2at6native12_GLOBAL__N_118cuComputeGradInputIN3c104HalfEfLb1EEEvPKT_S7_llPKT0_SA_S7_PS5_.numbered_sgpr, 48
	.set _ZN2at6native12_GLOBAL__N_118cuComputeGradInputIN3c104HalfEfLb1EEEvPKT_S7_llPKT0_SA_S7_PS5_.num_named_barrier, 0
	.set _ZN2at6native12_GLOBAL__N_118cuComputeGradInputIN3c104HalfEfLb1EEEvPKT_S7_llPKT0_SA_S7_PS5_.private_seg_size, 0
	.set _ZN2at6native12_GLOBAL__N_118cuComputeGradInputIN3c104HalfEfLb1EEEvPKT_S7_llPKT0_SA_S7_PS5_.uses_vcc, 1
	.set _ZN2at6native12_GLOBAL__N_118cuComputeGradInputIN3c104HalfEfLb1EEEvPKT_S7_llPKT0_SA_S7_PS5_.uses_flat_scratch, 0
	.set _ZN2at6native12_GLOBAL__N_118cuComputeGradInputIN3c104HalfEfLb1EEEvPKT_S7_llPKT0_SA_S7_PS5_.has_dyn_sized_stack, 0
	.set _ZN2at6native12_GLOBAL__N_118cuComputeGradInputIN3c104HalfEfLb1EEEvPKT_S7_llPKT0_SA_S7_PS5_.has_recursion, 0
	.set _ZN2at6native12_GLOBAL__N_118cuComputeGradInputIN3c104HalfEfLb1EEEvPKT_S7_llPKT0_SA_S7_PS5_.has_indirect_call, 0
	.section	.AMDGPU.csdata,"",@progbits
; Kernel info:
; codeLenInByte = 1576
; TotalNumSgprs: 52
; NumVgprs: 24
; ScratchSize: 0
; MemoryBound: 0
; FloatMode: 240
; IeeeMode: 1
; LDSByteSize: 0 bytes/workgroup (compile time only)
; SGPRBlocks: 6
; VGPRBlocks: 5
; NumSGPRsForWavesPerEU: 52
; NumVGPRsForWavesPerEU: 24
; Occupancy: 10
; WaveLimiterHint : 0
; COMPUTE_PGM_RSRC2:SCRATCH_EN: 0
; COMPUTE_PGM_RSRC2:USER_SGPR: 6
; COMPUTE_PGM_RSRC2:TRAP_HANDLER: 0
; COMPUTE_PGM_RSRC2:TGID_X_EN: 1
; COMPUTE_PGM_RSRC2:TGID_Y_EN: 1
; COMPUTE_PGM_RSRC2:TGID_Z_EN: 0
; COMPUTE_PGM_RSRC2:TIDIG_COMP_CNT: 1
	.section	.text._ZN2at6native12_GLOBAL__N_128layer_norm_grad_input_kernelIN3c104HalfEfLb1EEEvPKT_S7_PKT0_SA_S7_PS5_i,"axG",@progbits,_ZN2at6native12_GLOBAL__N_128layer_norm_grad_input_kernelIN3c104HalfEfLb1EEEvPKT_S7_PKT0_SA_S7_PS5_i,comdat
	.globl	_ZN2at6native12_GLOBAL__N_128layer_norm_grad_input_kernelIN3c104HalfEfLb1EEEvPKT_S7_PKT0_SA_S7_PS5_i ; -- Begin function _ZN2at6native12_GLOBAL__N_128layer_norm_grad_input_kernelIN3c104HalfEfLb1EEEvPKT_S7_PKT0_SA_S7_PS5_i
	.p2align	8
	.type	_ZN2at6native12_GLOBAL__N_128layer_norm_grad_input_kernelIN3c104HalfEfLb1EEEvPKT_S7_PKT0_SA_S7_PS5_i,@function
_ZN2at6native12_GLOBAL__N_128layer_norm_grad_input_kernelIN3c104HalfEfLb1EEEvPKT_S7_PKT0_SA_S7_PS5_i: ; @_ZN2at6native12_GLOBAL__N_128layer_norm_grad_input_kernelIN3c104HalfEfLb1EEEvPKT_S7_PKT0_SA_S7_PS5_i
; %bb.0:
	s_load_dword s18, s[4:5], 0x30
	s_load_dwordx4 s[8:11], s[4:5], 0x0
	s_load_dwordx4 s[0:3], s[4:5], 0x18
	s_mov_b32 s7, 0
	v_lshlrev_b32_e32 v1, 2, v0
	s_waitcnt lgkmcnt(0)
	s_ashr_i32 s12, s18, 31
	s_mul_hi_u32 s13, s18, s6
	s_mul_i32 s12, s12, s6
	s_add_i32 s13, s13, s12
	s_mul_i32 s12, s18, s6
	s_lshl_b64 s[6:7], s[6:7], 2
	s_add_u32 s0, s0, s6
	s_addc_u32 s1, s1, s7
	s_load_dword s19, s[0:1], 0x0
	s_lshl_b64 s[6:7], s[12:13], 1
	s_add_u32 s20, s10, s6
	s_addc_u32 s22, s11, s7
	s_add_u32 s21, s8, s6
	v_or_b32_e32 v2, 3, v1
	s_addc_u32 s23, s9, s7
	v_cmp_gt_u32_e32 vcc, s18, v2
	v_mov_b32_e32 v9, 0
	s_and_saveexec_b64 s[12:13], vcc
	s_cbranch_execz .LBB163_12
; %bb.1:
	s_load_dword s0, s[4:5], 0x44
	s_cmp_lg_u64 s[2:3], 0
	s_cselect_b64 s[16:17], -1, 0
	v_cndmask_b32_e64 v3, 0, 1, s[16:17]
	s_mov_b64 s[14:15], 0
	s_waitcnt lgkmcnt(0)
	s_and_b32 s0, s0, 0xffff
	v_mov_b32_e32 v2, 0
	s_lshl_b32 s24, s0, 2
	v_mov_b32_e32 v10, s22
	v_mov_b32_e32 v11, s23
	v_cmp_ne_u32_e64 s[0:1], 1, v3
	v_mov_b32_e32 v9, 0
	s_branch .LBB163_3
.LBB163_2:                              ;   in Loop: Header=BB163_3 Depth=1
	global_load_ushort v7, v[5:6], off offset:6
	global_load_ushort v8, v[3:4], off offset:6
	s_waitcnt vmcnt(6)
	v_cvt_f32_f16_e32 v4, v15
	v_cvt_f32_f16_e32 v3, v14
	s_waitcnt vmcnt(4)
	v_cvt_f32_f16_e32 v6, v19
	v_cvt_f32_f16_e32 v5, v18
	v_mul_f32_e32 v4, v13, v4
	s_waitcnt vmcnt(2)
	v_cvt_f32_f16_e32 v15, v21
	v_mul_f32_e32 v3, v4, v3
	v_cvt_f32_f16_e32 v14, v20
	v_mul_f32_e32 v6, v12, v6
	v_fmac_f32_e32 v9, s19, v3
	v_mul_f32_e32 v4, v6, v5
	v_add_u32_e32 v1, s24, v1
	v_mul_f32_e32 v12, v17, v15
	v_add_u32_e32 v18, 3, v1
	v_mul_f32_e32 v5, v12, v14
	v_fmac_f32_e32 v9, s19, v4
	v_cmp_le_u32_e32 vcc, s18, v18
	v_fmac_f32_e32 v9, s19, v5
	s_or_b64 s[14:15], vcc, s[14:15]
	s_waitcnt vmcnt(1)
	v_cvt_f32_f16_e32 v3, v7
	s_waitcnt vmcnt(0)
	v_cvt_f32_f16_e32 v6, v8
	v_mul_f32_e32 v3, v16, v3
	v_mul_f32_e32 v3, v3, v6
	v_fmac_f32_e32 v9, s19, v3
	s_andn2_b64 exec, exec, s[14:15]
	s_cbranch_execz .LBB163_11
.LBB163_3:                              ; =>This Inner Loop Header: Depth=1
	v_lshlrev_b64 v[7:8], 1, v[1:2]
	v_mov_b32_e32 v12, 1.0
	s_and_b64 vcc, exec, s[16:17]
	v_mov_b32_e32 v13, 1.0
	s_cbranch_vccz .LBB163_5
; %bb.4:                                ;   in Loop: Header=BB163_3 Depth=1
	v_mov_b32_e32 v4, s3
	v_add_co_u32_e32 v3, vcc, s2, v7
	v_addc_co_u32_e32 v4, vcc, v4, v8, vcc
	global_load_ushort v3, v[3:4], off
	s_waitcnt vmcnt(0)
	v_cvt_f32_f16_e32 v13, v3
.LBB163_5:                              ;   in Loop: Header=BB163_3 Depth=1
	v_add_co_u32_e32 v3, vcc, s20, v7
	v_addc_co_u32_e32 v4, vcc, v10, v8, vcc
	v_add_co_u32_e32 v5, vcc, s21, v7
	v_addc_co_u32_e32 v6, vcc, v11, v8, vcc
	global_load_ushort v14, v[3:4], off
	global_load_ushort v15, v[5:6], off
	s_and_b64 vcc, exec, s[0:1]
	s_cbranch_vccnz .LBB163_7
; %bb.6:                                ;   in Loop: Header=BB163_3 Depth=1
	v_mov_b32_e32 v12, s3
	v_add_co_u32_e32 v16, vcc, s2, v7
	v_addc_co_u32_e32 v17, vcc, v12, v8, vcc
	global_load_ushort v12, v[16:17], off offset:2
	s_waitcnt vmcnt(0)
	v_cvt_f32_f16_e32 v12, v12
.LBB163_7:                              ;   in Loop: Header=BB163_3 Depth=1
	global_load_ushort v18, v[3:4], off offset:2
	global_load_ushort v19, v[5:6], off offset:2
	v_mov_b32_e32 v16, 1.0
	s_and_b64 vcc, exec, s[0:1]
	v_mov_b32_e32 v17, 1.0
	s_cbranch_vccnz .LBB163_9
; %bb.8:                                ;   in Loop: Header=BB163_3 Depth=1
	v_mov_b32_e32 v17, s3
	v_add_co_u32_e32 v20, vcc, s2, v7
	v_addc_co_u32_e32 v21, vcc, v17, v8, vcc
	global_load_ushort v17, v[20:21], off offset:4
	s_waitcnt vmcnt(0)
	v_cvt_f32_f16_e32 v17, v17
.LBB163_9:                              ;   in Loop: Header=BB163_3 Depth=1
	global_load_ushort v20, v[3:4], off offset:4
	global_load_ushort v21, v[5:6], off offset:4
	s_and_b64 vcc, exec, s[0:1]
	s_cbranch_vccnz .LBB163_2
; %bb.10:                               ;   in Loop: Header=BB163_3 Depth=1
	v_mov_b32_e32 v16, s3
	v_add_co_u32_e32 v7, vcc, s2, v7
	v_addc_co_u32_e32 v8, vcc, v16, v8, vcc
	global_load_ushort v7, v[7:8], off offset:6
	s_waitcnt vmcnt(0)
	v_cvt_f32_f16_e32 v16, v7
	s_branch .LBB163_2
.LBB163_11:
	s_or_b64 exec, exec, s[14:15]
.LBB163_12:
	s_or_b64 exec, exec, s[12:13]
	v_cmp_gt_u32_e32 vcc, s18, v1
	s_and_saveexec_b64 s[12:13], vcc
	s_cbranch_execz .LBB163_19
; %bb.13:
	v_mov_b32_e32 v2, 0
	v_lshlrev_b64 v[4:5], 1, v[1:2]
	v_mov_b32_e32 v3, s3
	v_add_co_u32_e32 v2, vcc, s2, v4
	v_addc_co_u32_e32 v3, vcc, v3, v5, vcc
	v_mov_b32_e32 v6, s7
	v_add_co_u32_e32 v7, vcc, s6, v4
	v_addc_co_u32_e32 v8, vcc, v6, v5, vcc
	v_mov_b32_e32 v5, s11
	v_add_co_u32_e32 v4, vcc, s10, v7
	s_cmp_lg_u64 s[2:3], 0
	v_addc_co_u32_e32 v5, vcc, v5, v8, vcc
	v_mov_b32_e32 v10, s9
	v_add_co_u32_e32 v6, vcc, s8, v7
	s_cselect_b64 s[0:1], -1, 0
	v_addc_co_u32_e32 v7, vcc, v10, v8, vcc
	v_cndmask_b32_e64 v8, 0, 1, s[0:1]
	s_mov_b64 s[14:15], 0
	v_cmp_ne_u32_e64 s[0:1], 1, v8
	s_branch .LBB163_16
.LBB163_14:                             ;   in Loop: Header=BB163_16 Depth=1
	global_load_ushort v8, v[2:3], off
	s_waitcnt vmcnt(0)
	v_cvt_f32_f16_e32 v8, v8
.LBB163_15:                             ;   in Loop: Header=BB163_16 Depth=1
	global_load_ushort v10, v[6:7], off
	global_load_ushort v11, v[4:5], off
	v_add_co_u32_e32 v2, vcc, 2, v2
	v_addc_co_u32_e32 v3, vcc, 0, v3, vcc
	v_add_co_u32_e32 v4, vcc, 2, v4
	v_add_u32_e32 v1, 1, v1
	v_addc_co_u32_e32 v5, vcc, 0, v5, vcc
	v_cmp_le_u32_e32 vcc, s18, v1
	s_or_b64 s[14:15], vcc, s[14:15]
	v_add_co_u32_e32 v6, vcc, 2, v6
	v_addc_co_u32_e32 v7, vcc, 0, v7, vcc
	s_waitcnt vmcnt(1)
	v_cvt_f32_f16_e32 v10, v10
	s_waitcnt vmcnt(0)
	v_cvt_f32_f16_e32 v11, v11
	v_mul_f32_e32 v8, v8, v10
	v_mul_f32_e32 v8, v8, v11
	s_waitcnt lgkmcnt(0)
	v_fmac_f32_e32 v9, s19, v8
	s_andn2_b64 exec, exec, s[14:15]
	s_cbranch_execz .LBB163_18
.LBB163_16:                             ; =>This Inner Loop Header: Depth=1
	s_and_b64 vcc, exec, s[0:1]
	s_cbranch_vccz .LBB163_14
; %bb.17:                               ;   in Loop: Header=BB163_16 Depth=1
	v_mov_b32_e32 v8, 1.0
	s_branch .LBB163_15
.LBB163_18:
	s_or_b64 exec, exec, s[14:15]
.LBB163_19:
	s_or_b64 exec, exec, s[12:13]
	v_mbcnt_lo_u32_b32 v1, -1, 0
	v_mbcnt_hi_u32_b32 v6, -1, v1
	v_mov_b32_e32 v1, 0x80
	v_lshl_or_b32 v1, v6, 2, v1
	ds_bpermute_b32 v2, v1, v9
	v_and_b32_e32 v8, 63, v6
	v_cmp_gt_u32_e32 vcc, 48, v8
	v_cndmask_b32_e64 v3, 0, 16, vcc
	v_cmp_gt_u32_e32 vcc, 56, v8
	s_waitcnt lgkmcnt(0)
	v_add_f32_e32 v4, v9, v2
	v_add_lshl_u32 v2, v3, v6, 2
	ds_bpermute_b32 v5, v2, v4
	v_cndmask_b32_e64 v3, 0, 8, vcc
	v_add_lshl_u32 v3, v3, v6, 2
	v_cmp_gt_u32_e32 vcc, 60, v8
	s_waitcnt lgkmcnt(0)
	v_add_f32_e32 v5, v4, v5
	ds_bpermute_b32 v7, v3, v5
	v_cndmask_b32_e64 v4, 0, 4, vcc
	v_add_lshl_u32 v4, v4, v6, 2
	v_cmp_gt_u32_e32 vcc, 62, v8
	s_waitcnt lgkmcnt(0)
	s_barrier
	v_add_f32_e32 v7, v5, v7
	ds_bpermute_b32 v9, v4, v7
	v_cndmask_b32_e64 v5, 0, 2, vcc
	v_add_lshl_u32 v5, v5, v6, 2
	v_cmp_ne_u32_e32 vcc, 63, v8
	v_addc_co_u32_e32 v6, vcc, 0, v6, vcc
	s_waitcnt lgkmcnt(0)
	v_add_f32_e32 v9, v7, v9
	ds_bpermute_b32 v10, v5, v9
	v_lshlrev_b32_e32 v6, 2, v6
	v_and_b32_e32 v7, 63, v0
	v_cmp_eq_u32_e32 vcc, 0, v7
	s_waitcnt lgkmcnt(0)
	v_add_f32_e32 v8, v9, v10
	ds_bpermute_b32 v9, v6, v8
	s_and_saveexec_b64 s[0:1], vcc
	s_cbranch_execz .LBB163_21
; %bb.20:
	v_lshrrev_b32_e32 v10, 4, v0
	v_add_u32_e32 v10, 0, v10
	s_waitcnt lgkmcnt(0)
	v_add_f32_e32 v8, v8, v9
	ds_write_b32 v10, v8
.LBB163_21:
	s_or_b64 exec, exec, s[0:1]
	s_waitcnt lgkmcnt(0)
	s_barrier
	s_load_dword s8, s[4:5], 0x44
	v_mov_b32_e32 v8, 0
	s_waitcnt lgkmcnt(0)
	s_bfe_u32 s0, s8, 0xa0006
	v_cmp_gt_u32_e32 vcc, s0, v0
	s_and_saveexec_b64 s[0:1], vcc
	s_cbranch_execnz .LBB163_32
; %bb.22:
	s_or_b64 exec, exec, s[0:1]
	v_cmp_gt_u32_e32 vcc, 64, v0
	s_and_saveexec_b64 s[0:1], vcc
	s_cbranch_execnz .LBB163_33
.LBB163_23:
	s_or_b64 exec, exec, s[0:1]
	v_cmp_eq_u32_e32 vcc, 0, v0
	s_and_saveexec_b64 s[0:1], vcc
	s_cbranch_execz .LBB163_25
.LBB163_24:
	v_mov_b32_e32 v1, 0
	s_waitcnt lgkmcnt(0)
	ds_write_b32 v1, v8 offset:4
.LBB163_25:
	s_or_b64 exec, exec, s[0:1]
	v_cmp_gt_i32_e32 vcc, s18, v0
	s_waitcnt lgkmcnt(0)
	s_barrier
	s_and_saveexec_b64 s[0:1], vcc
	s_cbranch_execz .LBB163_31
; %bb.26:
	v_cvt_f32_i32_e32 v3, s18
	s_and_b32 s8, 0xffff, s8
	v_div_scale_f32 v1, s[0:1], v3, v3, 1.0
	v_div_scale_f32 v2, vcc, 1.0, v3, 1.0
	s_load_dwordx2 s[0:1], s[4:5], 0x28
	s_mov_b64 s[4:5], 0
	s_waitcnt lgkmcnt(0)
	s_add_u32 s6, s0, s6
	s_addc_u32 s7, s1, s7
	s_cmp_lg_u64 s[2:3], 0
	s_cselect_b64 s[0:1], -1, 0
	v_mov_b32_e32 v8, s7
	v_rcp_f32_e32 v4, v1
	v_fma_f32 v5, -v1, v4, 1.0
	v_fmac_f32_e32 v4, v5, v4
	v_mul_f32_e32 v5, v2, v4
	v_fma_f32 v6, -v1, v5, v2
	v_fmac_f32_e32 v5, v6, v4
	v_fma_f32 v1, -v1, v5, v2
	v_div_fmas_f32 v1, v1, v4, v5
	v_mov_b32_e32 v2, 0
	ds_read_b32 v6, v2 offset:4
	v_cndmask_b32_e64 v2, 0, 1, s[0:1]
	v_mov_b32_e32 v4, s22
	v_mov_b32_e32 v5, s23
	v_cmp_ne_u32_e64 s[0:1], 1, v2
	v_div_fixup_f32 v1, v1, v3, 1.0
	v_mul_f32_e32 v7, s19, v1
	s_branch .LBB163_29
.LBB163_27:                             ;   in Loop: Header=BB163_29 Depth=1
	v_mov_b32_e32 v12, s3
	v_add_co_u32_e32 v11, vcc, s2, v1
	v_addc_co_u32_e32 v12, vcc, v12, v2, vcc
	global_load_ushort v11, v[11:12], off
	s_waitcnt vmcnt(0)
	v_cvt_f32_f16_e32 v11, v11
.LBB163_28:                             ;   in Loop: Header=BB163_29 Depth=1
	s_waitcnt vmcnt(1)
	v_cvt_f32_f16_e32 v9, v9
	v_add_co_u32_e32 v1, vcc, s6, v1
	v_mul_f32_e32 v11, v11, v3
	v_mul_f32_e32 v9, s19, v9
	s_waitcnt lgkmcnt(0)
	v_mul_f32_e32 v9, v6, v9
	v_addc_co_u32_e32 v2, vcc, v8, v2, vcc
	v_add_u32_e32 v0, s8, v0
	s_waitcnt vmcnt(0)
	v_fma_mix_f32 v9, v11, v10, -v9 op_sel_hi:[0,1,0]
	v_cmp_le_i32_e32 vcc, s18, v0
	v_fma_mixlo_f16 v9, v7, v9, 0
	s_or_b64 s[4:5], vcc, s[4:5]
	global_store_short v[1:2], v9, off
	s_andn2_b64 exec, exec, s[4:5]
	s_cbranch_execz .LBB163_31
.LBB163_29:                             ; =>This Inner Loop Header: Depth=1
	v_ashrrev_i32_e32 v1, 31, v0
	v_lshlrev_b64 v[1:2], 1, v[0:1]
	v_add_co_u32_e32 v9, vcc, s20, v1
	v_addc_co_u32_e32 v10, vcc, v4, v2, vcc
	global_load_ushort v9, v[9:10], off
	v_add_co_u32_e32 v10, vcc, s21, v1
	v_addc_co_u32_e32 v11, vcc, v5, v2, vcc
	global_load_ushort v10, v[10:11], off
	s_and_b64 vcc, exec, s[0:1]
	s_cbranch_vccz .LBB163_27
; %bb.30:                               ;   in Loop: Header=BB163_29 Depth=1
	v_mov_b32_e32 v11, 1.0
	s_branch .LBB163_28
.LBB163_31:
	s_endpgm
.LBB163_32:
	v_lshl_add_u32 v7, v7, 2, 0
	ds_read_b32 v8, v7
	s_or_b64 exec, exec, s[0:1]
	v_cmp_gt_u32_e32 vcc, 64, v0
	s_and_saveexec_b64 s[0:1], vcc
	s_cbranch_execz .LBB163_23
.LBB163_33:
	s_waitcnt lgkmcnt(0)
	ds_bpermute_b32 v1, v1, v8
	s_waitcnt lgkmcnt(0)
	v_add_f32_e32 v1, v8, v1
	ds_bpermute_b32 v2, v2, v1
	s_waitcnt lgkmcnt(0)
	v_add_f32_e32 v1, v1, v2
	;; [unrolled: 3-line block ×6, first 2 shown]
	s_or_b64 exec, exec, s[0:1]
	v_cmp_eq_u32_e32 vcc, 0, v0
	s_and_saveexec_b64 s[0:1], vcc
	s_cbranch_execnz .LBB163_24
	s_branch .LBB163_25
	.section	.rodata,"a",@progbits
	.p2align	6, 0x0
	.amdhsa_kernel _ZN2at6native12_GLOBAL__N_128layer_norm_grad_input_kernelIN3c104HalfEfLb1EEEvPKT_S7_PKT0_SA_S7_PS5_i
		.amdhsa_group_segment_fixed_size 0
		.amdhsa_private_segment_fixed_size 0
		.amdhsa_kernarg_size 312
		.amdhsa_user_sgpr_count 6
		.amdhsa_user_sgpr_private_segment_buffer 1
		.amdhsa_user_sgpr_dispatch_ptr 0
		.amdhsa_user_sgpr_queue_ptr 0
		.amdhsa_user_sgpr_kernarg_segment_ptr 1
		.amdhsa_user_sgpr_dispatch_id 0
		.amdhsa_user_sgpr_flat_scratch_init 0
		.amdhsa_user_sgpr_private_segment_size 0
		.amdhsa_uses_dynamic_stack 0
		.amdhsa_system_sgpr_private_segment_wavefront_offset 0
		.amdhsa_system_sgpr_workgroup_id_x 1
		.amdhsa_system_sgpr_workgroup_id_y 0
		.amdhsa_system_sgpr_workgroup_id_z 0
		.amdhsa_system_sgpr_workgroup_info 0
		.amdhsa_system_vgpr_workitem_id 0
		.amdhsa_next_free_vgpr 22
		.amdhsa_next_free_sgpr 25
		.amdhsa_reserve_vcc 1
		.amdhsa_reserve_flat_scratch 0
		.amdhsa_float_round_mode_32 0
		.amdhsa_float_round_mode_16_64 0
		.amdhsa_float_denorm_mode_32 3
		.amdhsa_float_denorm_mode_16_64 3
		.amdhsa_dx10_clamp 1
		.amdhsa_ieee_mode 1
		.amdhsa_fp16_overflow 0
		.amdhsa_exception_fp_ieee_invalid_op 0
		.amdhsa_exception_fp_denorm_src 0
		.amdhsa_exception_fp_ieee_div_zero 0
		.amdhsa_exception_fp_ieee_overflow 0
		.amdhsa_exception_fp_ieee_underflow 0
		.amdhsa_exception_fp_ieee_inexact 0
		.amdhsa_exception_int_div_zero 0
	.end_amdhsa_kernel
	.section	.text._ZN2at6native12_GLOBAL__N_128layer_norm_grad_input_kernelIN3c104HalfEfLb1EEEvPKT_S7_PKT0_SA_S7_PS5_i,"axG",@progbits,_ZN2at6native12_GLOBAL__N_128layer_norm_grad_input_kernelIN3c104HalfEfLb1EEEvPKT_S7_PKT0_SA_S7_PS5_i,comdat
.Lfunc_end163:
	.size	_ZN2at6native12_GLOBAL__N_128layer_norm_grad_input_kernelIN3c104HalfEfLb1EEEvPKT_S7_PKT0_SA_S7_PS5_i, .Lfunc_end163-_ZN2at6native12_GLOBAL__N_128layer_norm_grad_input_kernelIN3c104HalfEfLb1EEEvPKT_S7_PKT0_SA_S7_PS5_i
                                        ; -- End function
	.set _ZN2at6native12_GLOBAL__N_128layer_norm_grad_input_kernelIN3c104HalfEfLb1EEEvPKT_S7_PKT0_SA_S7_PS5_i.num_vgpr, 22
	.set _ZN2at6native12_GLOBAL__N_128layer_norm_grad_input_kernelIN3c104HalfEfLb1EEEvPKT_S7_PKT0_SA_S7_PS5_i.num_agpr, 0
	.set _ZN2at6native12_GLOBAL__N_128layer_norm_grad_input_kernelIN3c104HalfEfLb1EEEvPKT_S7_PKT0_SA_S7_PS5_i.numbered_sgpr, 25
	.set _ZN2at6native12_GLOBAL__N_128layer_norm_grad_input_kernelIN3c104HalfEfLb1EEEvPKT_S7_PKT0_SA_S7_PS5_i.num_named_barrier, 0
	.set _ZN2at6native12_GLOBAL__N_128layer_norm_grad_input_kernelIN3c104HalfEfLb1EEEvPKT_S7_PKT0_SA_S7_PS5_i.private_seg_size, 0
	.set _ZN2at6native12_GLOBAL__N_128layer_norm_grad_input_kernelIN3c104HalfEfLb1EEEvPKT_S7_PKT0_SA_S7_PS5_i.uses_vcc, 1
	.set _ZN2at6native12_GLOBAL__N_128layer_norm_grad_input_kernelIN3c104HalfEfLb1EEEvPKT_S7_PKT0_SA_S7_PS5_i.uses_flat_scratch, 0
	.set _ZN2at6native12_GLOBAL__N_128layer_norm_grad_input_kernelIN3c104HalfEfLb1EEEvPKT_S7_PKT0_SA_S7_PS5_i.has_dyn_sized_stack, 0
	.set _ZN2at6native12_GLOBAL__N_128layer_norm_grad_input_kernelIN3c104HalfEfLb1EEEvPKT_S7_PKT0_SA_S7_PS5_i.has_recursion, 0
	.set _ZN2at6native12_GLOBAL__N_128layer_norm_grad_input_kernelIN3c104HalfEfLb1EEEvPKT_S7_PKT0_SA_S7_PS5_i.has_indirect_call, 0
	.section	.AMDGPU.csdata,"",@progbits
; Kernel info:
; codeLenInByte = 1676
; TotalNumSgprs: 29
; NumVgprs: 22
; ScratchSize: 0
; MemoryBound: 0
; FloatMode: 240
; IeeeMode: 1
; LDSByteSize: 0 bytes/workgroup (compile time only)
; SGPRBlocks: 3
; VGPRBlocks: 5
; NumSGPRsForWavesPerEU: 29
; NumVGPRsForWavesPerEU: 22
; Occupancy: 10
; WaveLimiterHint : 0
; COMPUTE_PGM_RSRC2:SCRATCH_EN: 0
; COMPUTE_PGM_RSRC2:USER_SGPR: 6
; COMPUTE_PGM_RSRC2:TRAP_HANDLER: 0
; COMPUTE_PGM_RSRC2:TGID_X_EN: 1
; COMPUTE_PGM_RSRC2:TGID_Y_EN: 0
; COMPUTE_PGM_RSRC2:TGID_Z_EN: 0
; COMPUTE_PGM_RSRC2:TIDIG_COMP_CNT: 0
	.section	.text._ZN2at6native12_GLOBAL__N_133GammaBetaBackwardSimpleCUDAKernelIN3c104HalfEfLb1EEEvllPKT_S7_PKT0_SA_PS5_SB_,"axG",@progbits,_ZN2at6native12_GLOBAL__N_133GammaBetaBackwardSimpleCUDAKernelIN3c104HalfEfLb1EEEvllPKT_S7_PKT0_SA_PS5_SB_,comdat
	.globl	_ZN2at6native12_GLOBAL__N_133GammaBetaBackwardSimpleCUDAKernelIN3c104HalfEfLb1EEEvllPKT_S7_PKT0_SA_PS5_SB_ ; -- Begin function _ZN2at6native12_GLOBAL__N_133GammaBetaBackwardSimpleCUDAKernelIN3c104HalfEfLb1EEEvllPKT_S7_PKT0_SA_PS5_SB_
	.p2align	8
	.type	_ZN2at6native12_GLOBAL__N_133GammaBetaBackwardSimpleCUDAKernelIN3c104HalfEfLb1EEEvllPKT_S7_PKT0_SA_PS5_SB_,@function
_ZN2at6native12_GLOBAL__N_133GammaBetaBackwardSimpleCUDAKernelIN3c104HalfEfLb1EEEvllPKT_S7_PKT0_SA_PS5_SB_: ; @_ZN2at6native12_GLOBAL__N_133GammaBetaBackwardSimpleCUDAKernelIN3c104HalfEfLb1EEEvllPKT_S7_PKT0_SA_PS5_SB_
; %bb.0:
	s_load_dword s0, s[4:5], 0x4c
	v_mov_b32_e32 v1, 0
	s_load_dwordx8 s[8:15], s[4:5], 0x0
	v_mov_b32_e32 v2, s6
	s_waitcnt lgkmcnt(0)
	s_and_b32 s0, s0, 0xffff
	v_mad_u64_u32 v[2:3], s[0:1], s0, v2, v[0:1]
	v_cmp_gt_i64_e32 vcc, s[10:11], v[2:3]
	s_and_saveexec_b64 s[0:1], vcc
	s_cbranch_execz .LBB164_9
; %bb.1:
	s_load_dwordx4 s[16:19], s[4:5], 0x28
	v_cmp_lt_i64_e64 s[0:1], s[8:9], 1
	v_lshlrev_b64 v[2:3], 1, v[2:3]
	s_and_b64 vcc, exec, s[0:1]
	s_cbranch_vccnz .LBB164_7
; %bb.2:
	s_waitcnt lgkmcnt(0)
	s_cmp_lg_u64 s[18:19], 0
	s_cselect_b64 s[0:1], -1, 0
	v_cndmask_b32_e64 v0, 0, 1, s[0:1]
	s_lshl_b64 s[2:3], s[10:11], 1
	v_cmp_ne_u32_e64 s[0:1], 1, v0
	v_mov_b32_e32 v0, v2
	v_mov_b32_e32 v4, 0
	;; [unrolled: 1-line block ×4, first 2 shown]
	s_branch .LBB164_4
.LBB164_3:                              ;   in Loop: Header=BB164_4 Depth=1
	s_add_u32 s8, s8, -1
	s_addc_u32 s9, s9, -1
	s_add_u32 s16, s16, 4
	s_addc_u32 s17, s17, 0
	v_add_co_u32_e32 v0, vcc, s2, v0
	v_add_f32_e32 v4, v4, v6
	s_cmp_eq_u64 s[8:9], 0
	v_addc_co_u32_e32 v1, vcc, v1, v5, vcc
	s_cbranch_scc1 .LBB164_6
.LBB164_4:                              ; =>This Inner Loop Header: Depth=1
	s_and_b64 vcc, exec, s[0:1]
	v_mov_b32_e32 v6, 0
	s_cbranch_vccnz .LBB164_3
; %bb.5:                                ;   in Loop: Header=BB164_4 Depth=1
	v_mov_b32_e32 v7, s13
	v_add_co_u32_e32 v6, vcc, s12, v0
	v_addc_co_u32_e32 v7, vcc, v7, v1, vcc
	global_load_ushort v8, v[6:7], off
	v_mov_b32_e32 v7, s15
	v_add_co_u32_e32 v6, vcc, s14, v0
	v_addc_co_u32_e32 v7, vcc, v7, v1, vcc
	global_load_ushort v6, v[6:7], off
	s_load_dword s3, s[16:17], 0x0
	s_waitcnt vmcnt(1)
	v_cvt_f32_f16_e32 v7, v8
	s_waitcnt vmcnt(0)
	v_cvt_f32_f16_e32 v6, v6
	v_mul_f32_e32 v6, v7, v6
	s_waitcnt lgkmcnt(0)
	v_mul_f32_e32 v6, s3, v6
	s_branch .LBB164_3
.LBB164_6:
	v_cvt_f16_f32_e32 v1, v4
.LBB164_7:
	s_waitcnt lgkmcnt(0)
	s_cmp_lg_u64 s[18:19], 0
	s_cbranch_scc0 .LBB164_9
; %bb.8:
	v_mov_b32_e32 v0, s19
	v_add_co_u32_e32 v2, vcc, s18, v2
	v_addc_co_u32_e32 v3, vcc, v0, v3, vcc
	global_store_short v[2:3], v1, off
.LBB164_9:
	s_endpgm
	.section	.rodata,"a",@progbits
	.p2align	6, 0x0
	.amdhsa_kernel _ZN2at6native12_GLOBAL__N_133GammaBetaBackwardSimpleCUDAKernelIN3c104HalfEfLb1EEEvllPKT_S7_PKT0_SA_PS5_SB_
		.amdhsa_group_segment_fixed_size 0
		.amdhsa_private_segment_fixed_size 0
		.amdhsa_kernarg_size 320
		.amdhsa_user_sgpr_count 6
		.amdhsa_user_sgpr_private_segment_buffer 1
		.amdhsa_user_sgpr_dispatch_ptr 0
		.amdhsa_user_sgpr_queue_ptr 0
		.amdhsa_user_sgpr_kernarg_segment_ptr 1
		.amdhsa_user_sgpr_dispatch_id 0
		.amdhsa_user_sgpr_flat_scratch_init 0
		.amdhsa_user_sgpr_private_segment_size 0
		.amdhsa_uses_dynamic_stack 0
		.amdhsa_system_sgpr_private_segment_wavefront_offset 0
		.amdhsa_system_sgpr_workgroup_id_x 1
		.amdhsa_system_sgpr_workgroup_id_y 0
		.amdhsa_system_sgpr_workgroup_id_z 0
		.amdhsa_system_sgpr_workgroup_info 0
		.amdhsa_system_vgpr_workitem_id 0
		.amdhsa_next_free_vgpr 9
		.amdhsa_next_free_sgpr 20
		.amdhsa_reserve_vcc 1
		.amdhsa_reserve_flat_scratch 0
		.amdhsa_float_round_mode_32 0
		.amdhsa_float_round_mode_16_64 0
		.amdhsa_float_denorm_mode_32 3
		.amdhsa_float_denorm_mode_16_64 3
		.amdhsa_dx10_clamp 1
		.amdhsa_ieee_mode 1
		.amdhsa_fp16_overflow 0
		.amdhsa_exception_fp_ieee_invalid_op 0
		.amdhsa_exception_fp_denorm_src 0
		.amdhsa_exception_fp_ieee_div_zero 0
		.amdhsa_exception_fp_ieee_overflow 0
		.amdhsa_exception_fp_ieee_underflow 0
		.amdhsa_exception_fp_ieee_inexact 0
		.amdhsa_exception_int_div_zero 0
	.end_amdhsa_kernel
	.section	.text._ZN2at6native12_GLOBAL__N_133GammaBetaBackwardSimpleCUDAKernelIN3c104HalfEfLb1EEEvllPKT_S7_PKT0_SA_PS5_SB_,"axG",@progbits,_ZN2at6native12_GLOBAL__N_133GammaBetaBackwardSimpleCUDAKernelIN3c104HalfEfLb1EEEvllPKT_S7_PKT0_SA_PS5_SB_,comdat
.Lfunc_end164:
	.size	_ZN2at6native12_GLOBAL__N_133GammaBetaBackwardSimpleCUDAKernelIN3c104HalfEfLb1EEEvllPKT_S7_PKT0_SA_PS5_SB_, .Lfunc_end164-_ZN2at6native12_GLOBAL__N_133GammaBetaBackwardSimpleCUDAKernelIN3c104HalfEfLb1EEEvllPKT_S7_PKT0_SA_PS5_SB_
                                        ; -- End function
	.set _ZN2at6native12_GLOBAL__N_133GammaBetaBackwardSimpleCUDAKernelIN3c104HalfEfLb1EEEvllPKT_S7_PKT0_SA_PS5_SB_.num_vgpr, 9
	.set _ZN2at6native12_GLOBAL__N_133GammaBetaBackwardSimpleCUDAKernelIN3c104HalfEfLb1EEEvllPKT_S7_PKT0_SA_PS5_SB_.num_agpr, 0
	.set _ZN2at6native12_GLOBAL__N_133GammaBetaBackwardSimpleCUDAKernelIN3c104HalfEfLb1EEEvllPKT_S7_PKT0_SA_PS5_SB_.numbered_sgpr, 20
	.set _ZN2at6native12_GLOBAL__N_133GammaBetaBackwardSimpleCUDAKernelIN3c104HalfEfLb1EEEvllPKT_S7_PKT0_SA_PS5_SB_.num_named_barrier, 0
	.set _ZN2at6native12_GLOBAL__N_133GammaBetaBackwardSimpleCUDAKernelIN3c104HalfEfLb1EEEvllPKT_S7_PKT0_SA_PS5_SB_.private_seg_size, 0
	.set _ZN2at6native12_GLOBAL__N_133GammaBetaBackwardSimpleCUDAKernelIN3c104HalfEfLb1EEEvllPKT_S7_PKT0_SA_PS5_SB_.uses_vcc, 1
	.set _ZN2at6native12_GLOBAL__N_133GammaBetaBackwardSimpleCUDAKernelIN3c104HalfEfLb1EEEvllPKT_S7_PKT0_SA_PS5_SB_.uses_flat_scratch, 0
	.set _ZN2at6native12_GLOBAL__N_133GammaBetaBackwardSimpleCUDAKernelIN3c104HalfEfLb1EEEvllPKT_S7_PKT0_SA_PS5_SB_.has_dyn_sized_stack, 0
	.set _ZN2at6native12_GLOBAL__N_133GammaBetaBackwardSimpleCUDAKernelIN3c104HalfEfLb1EEEvllPKT_S7_PKT0_SA_PS5_SB_.has_recursion, 0
	.set _ZN2at6native12_GLOBAL__N_133GammaBetaBackwardSimpleCUDAKernelIN3c104HalfEfLb1EEEvllPKT_S7_PKT0_SA_PS5_SB_.has_indirect_call, 0
	.section	.AMDGPU.csdata,"",@progbits
; Kernel info:
; codeLenInByte = 308
; TotalNumSgprs: 24
; NumVgprs: 9
; ScratchSize: 0
; MemoryBound: 0
; FloatMode: 240
; IeeeMode: 1
; LDSByteSize: 0 bytes/workgroup (compile time only)
; SGPRBlocks: 2
; VGPRBlocks: 2
; NumSGPRsForWavesPerEU: 24
; NumVGPRsForWavesPerEU: 9
; Occupancy: 10
; WaveLimiterHint : 0
; COMPUTE_PGM_RSRC2:SCRATCH_EN: 0
; COMPUTE_PGM_RSRC2:USER_SGPR: 6
; COMPUTE_PGM_RSRC2:TRAP_HANDLER: 0
; COMPUTE_PGM_RSRC2:TGID_X_EN: 1
; COMPUTE_PGM_RSRC2:TGID_Y_EN: 0
; COMPUTE_PGM_RSRC2:TGID_Z_EN: 0
; COMPUTE_PGM_RSRC2:TIDIG_COMP_CNT: 0
	.section	.text._ZN2at6native12_GLOBAL__N_135GammaBetaBackwardCUDAKernelTemplateIN3c104HalfEfLj64ELj1ELj32ELb1ELb1ELb1EEEvllPKT_S7_PKT0_SA_PS5_SB_,"axG",@progbits,_ZN2at6native12_GLOBAL__N_135GammaBetaBackwardCUDAKernelTemplateIN3c104HalfEfLj64ELj1ELj32ELb1ELb1ELb1EEEvllPKT_S7_PKT0_SA_PS5_SB_,comdat
	.globl	_ZN2at6native12_GLOBAL__N_135GammaBetaBackwardCUDAKernelTemplateIN3c104HalfEfLj64ELj1ELj32ELb1ELb1ELb1EEEvllPKT_S7_PKT0_SA_PS5_SB_ ; -- Begin function _ZN2at6native12_GLOBAL__N_135GammaBetaBackwardCUDAKernelTemplateIN3c104HalfEfLj64ELj1ELj32ELb1ELb1ELb1EEEvllPKT_S7_PKT0_SA_PS5_SB_
	.p2align	8
	.type	_ZN2at6native12_GLOBAL__N_135GammaBetaBackwardCUDAKernelTemplateIN3c104HalfEfLj64ELj1ELj32ELb1ELb1ELb1EEEvllPKT_S7_PKT0_SA_PS5_SB_,@function
_ZN2at6native12_GLOBAL__N_135GammaBetaBackwardCUDAKernelTemplateIN3c104HalfEfLj64ELj1ELj32ELb1ELb1ELb1EEEvllPKT_S7_PKT0_SA_PS5_SB_: ; @_ZN2at6native12_GLOBAL__N_135GammaBetaBackwardCUDAKernelTemplateIN3c104HalfEfLj64ELj1ELj32ELb1ELb1ELb1EEEvllPKT_S7_PKT0_SA_PS5_SB_
; %bb.0:
	s_load_dwordx4 s[8:11], s[4:5], 0x0
	s_load_dwordx2 s[16:17], s[4:5], 0x30
	s_lshl_b32 s18, s7, 5
	s_mov_b32 s19, 0
	v_mov_b32_e32 v2, s18
	v_mov_b32_e32 v3, s19
	s_waitcnt lgkmcnt(0)
	v_cmp_le_i64_e32 vcc, s[8:9], v[2:3]
	v_mov_b32_e32 v3, 0
	s_cbranch_vccnz .LBB165_8
; %bb.1:
	s_load_dword s0, s[4:5], 0x4c
	s_load_dword s22, s[4:5], 0x44
	s_load_dwordx4 s[12:15], s[4:5], 0x10
	s_load_dwordx2 s[2:3], s[4:5], 0x28
	v_lshlrev_b32_e32 v4, 5, v1
	s_waitcnt lgkmcnt(0)
	s_and_b32 s0, s0, 0xffff
	v_mad_u32_u24 v2, v1, s0, v0
	v_and_b32_e32 v5, 63, v2
	v_add_co_u32_e32 v9, vcc, s18, v4
	v_mbcnt_lo_u32_b32 v6, -1, 0
	v_addc_co_u32_e64 v10, s[20:21], 0, 0, vcc
	v_add_co_u32_e32 v4, vcc, v9, v5
	v_cmp_gt_u32_e64 s[0:1], 32, v5
	v_mbcnt_hi_u32_b32 v6, -1, v6
	v_addc_co_u32_e32 v5, vcc, 0, v10, vcc
	v_mul_lo_u32 v12, s11, v9
	v_mul_lo_u32 v13, s10, v10
	v_mad_u64_u32 v[9:10], s[20:21], s10, v9, 0
	v_lshlrev_b32_e32 v6, 2, v6
	v_and_b32_e32 v8, 0x100, v6
	v_lshlrev_b64 v[6:7], 2, v[4:5]
	v_mov_b32_e32 v3, 0
	v_lshl_or_b32 v2, s6, 6, v0
	v_mov_b32_e32 v11, s3
	v_add_co_u32_e32 v6, vcc, s2, v6
	v_add3_u32 v10, v10, v13, v12
	v_addc_co_u32_e32 v7, vcc, v11, v7, vcc
	v_lshlrev_b64 v[9:10], 1, v[9:10]
	v_lshlrev_b64 v[11:12], 1, v[2:3]
	s_lshl_b32 s20, s22, 5
	s_mul_i32 s2, s11, s20
	s_mul_hi_u32 s3, s10, s20
	v_add_co_u32_e32 v2, vcc, v9, v11
	s_mov_b32 s21, s19
	s_add_i32 s3, s3, s2
	s_mul_i32 s2, s10, s20
	v_addc_co_u32_e32 v9, vcc, v10, v12, vcc
	s_lshl_b64 s[22:23], s[20:21], 2
	s_lshl_b64 s[24:25], s[2:3], 1
	;; [unrolled: 1-line block ×3, first 2 shown]
	v_or_b32_e32 v10, 0x44, v8
	v_or_b32_e32 v11, 0x48, v8
	v_or_b32_e32 v12, 0x4c, v8
	v_or_b32_e32 v13, 0x50, v8
	v_or_b32_e32 v14, 0x54, v8
	v_or_b32_e32 v15, 0x58, v8
	v_or_b32_e32 v16, 0x5c, v8
	v_or_b32_e32 v17, 0x60, v8
	v_or_b32_e32 v18, 0x64, v8
	v_or_b32_e32 v19, 0x68, v8
	v_or_b32_e32 v20, 0x6c, v8
	v_or_b32_e32 v21, 0x70, v8
	v_or_b32_e32 v22, 0x74, v8
	v_or_b32_e32 v23, 0x78, v8
	v_or_b32_e32 v24, 0x7c, v8
	s_branch .LBB165_4
.LBB165_2:                              ;   in Loop: Header=BB165_4 Depth=1
	s_or_b64 exec, exec, s[28:29]
.LBB165_3:                              ;   in Loop: Header=BB165_4 Depth=1
	s_or_b64 exec, exec, s[2:3]
	v_mov_b32_e32 v26, s13
	v_add_co_u32_e32 v27, vcc, s12, v2
	v_addc_co_u32_e32 v28, vcc, v26, v9, vcc
	v_mov_b32_e32 v30, s15
	v_add_co_u32_e32 v29, vcc, s14, v2
	v_addc_co_u32_e32 v30, vcc, v30, v9, vcc
	v_mov_b32_e32 v26, s27
	global_load_ushort v33, v[27:28], off
	v_add_co_u32_e32 v27, vcc, s26, v27
	global_load_ushort v34, v[29:30], off
	v_addc_co_u32_e32 v28, vcc, v28, v26, vcc
	v_add_co_u32_e32 v29, vcc, s26, v29
	v_addc_co_u32_e32 v30, vcc, v30, v26, vcc
	global_load_ushort v35, v[27:28], off
	global_load_ushort v36, v[29:30], off
	v_add_co_u32_e32 v27, vcc, s26, v27
	v_addc_co_u32_e32 v28, vcc, v28, v26, vcc
	v_add_co_u32_e32 v29, vcc, s26, v29
	v_addc_co_u32_e32 v30, vcc, v30, v26, vcc
	;; [unrolled: 2-line block ×3, first 2 shown]
	global_load_ushort v37, v[27:28], off
	v_add_co_u32_e32 v27, vcc, s26, v29
	v_addc_co_u32_e32 v28, vcc, v30, v26, vcc
	global_load_ushort v38, v[29:30], off
	global_load_ushort v40, v[27:28], off
	v_add_co_u32_e32 v29, vcc, s26, v31
	v_addc_co_u32_e32 v30, vcc, v32, v26, vcc
	global_load_ushort v39, v[31:32], off
	global_load_ushort v41, v[29:30], off
	v_add_co_u32_e32 v31, vcc, s26, v27
	v_addc_co_u32_e32 v32, vcc, v28, v26, vcc
	v_add_co_u32_e32 v27, vcc, s26, v29
	v_addc_co_u32_e32 v28, vcc, v30, v26, vcc
	global_load_ushort v43, v[27:28], off
	v_add_co_u32_e32 v29, vcc, s26, v31
	v_addc_co_u32_e32 v30, vcc, v32, v26, vcc
	global_load_ushort v42, v[31:32], off
	global_load_ushort v44, v[29:30], off
	v_add_co_u32_e32 v31, vcc, s26, v27
	v_addc_co_u32_e32 v32, vcc, v28, v26, vcc
	v_add_co_u32_e32 v27, vcc, s26, v29
	v_addc_co_u32_e32 v28, vcc, v30, v26, vcc
	;; [unrolled: 2-line block ×3, first 2 shown]
	global_load_ushort v31, v[31:32], off
	s_waitcnt vmcnt(13)
	ds_bpermute_b32 v32, v8, v25
	s_add_u32 s18, s18, s20
	s_addc_u32 s19, s19, 0
	v_add_co_u32_e64 v6, s[2:3], s22, v6
	s_waitcnt vmcnt(12)
	v_cvt_f32_f16_e32 v33, v33
	s_waitcnt vmcnt(11)
	v_cvt_f32_f16_e32 v34, v34
	v_mul_f32_e32 v33, v33, v34
	v_or_b32_e32 v34, 4, v8
	s_waitcnt vmcnt(10)
	v_cvt_f32_f16_e32 v35, v35
	s_waitcnt vmcnt(9)
	v_cvt_f32_f16_e32 v36, v36
	s_waitcnt lgkmcnt(0)
	v_fmac_f32_e32 v3, v33, v32
	global_load_ushort v32, v[27:28], off
	v_add_co_u32_e32 v27, vcc, s26, v27
	ds_bpermute_b32 v34, v34, v25
	v_mul_f32_e32 v33, v35, v36
	v_addc_co_u32_e32 v28, vcc, v28, v26, vcc
	global_load_ushort v35, v[29:30], off
	global_load_ushort v36, v[27:28], off
	v_add_co_u32_e32 v29, vcc, s26, v29
	v_addc_co_u32_e32 v30, vcc, v30, v26, vcc
	v_add_co_u32_e32 v27, vcc, s26, v27
	s_waitcnt lgkmcnt(0)
	v_fmac_f32_e32 v3, v33, v34
	v_addc_co_u32_e32 v28, vcc, v28, v26, vcc
	global_load_ushort v33, v[29:30], off
	global_load_ushort v34, v[27:28], off
	s_waitcnt vmcnt(13)
	v_cvt_f32_f16_e32 v37, v37
	s_waitcnt vmcnt(12)
	v_cvt_f32_f16_e32 v38, v38
	;; [unrolled: 2-line block ×3, first 2 shown]
	v_add_co_u32_e32 v29, vcc, s26, v29
	v_mul_f32_e32 v37, v37, v38
	v_or_b32_e32 v38, 8, v8
	ds_bpermute_b32 v38, v38, v25
	s_waitcnt vmcnt(10)
	v_cvt_f32_f16_e32 v39, v39
	v_addc_co_u32_e32 v30, vcc, v30, v26, vcc
	v_add_co_u32_e32 v27, vcc, s26, v27
	s_waitcnt lgkmcnt(0)
	v_fmac_f32_e32 v3, v37, v38
	v_or_b32_e32 v38, 12, v8
	ds_bpermute_b32 v38, v38, v25
	v_mul_f32_e32 v37, v39, v40
	s_waitcnt vmcnt(9)
	v_cvt_f32_f16_e32 v39, v41
	v_or_b32_e32 v41, 16, v8
	s_waitcnt vmcnt(7)
	v_cvt_f32_f16_e32 v40, v42
	ds_bpermute_b32 v41, v41, v25
	s_waitcnt lgkmcnt(1)
	v_fmac_f32_e32 v3, v37, v38
	v_or_b32_e32 v38, 20, v8
	v_cvt_f32_f16_e32 v42, v43
	s_waitcnt vmcnt(6)
	v_cvt_f32_f16_e32 v43, v44
	v_mul_f32_e32 v37, v39, v40
	ds_bpermute_b32 v38, v38, v25
	v_or_b32_e32 v39, 24, v8
	ds_bpermute_b32 v39, v39, v25
	v_or_b32_e32 v40, 28, v8
	ds_bpermute_b32 v40, v40, v25
	s_waitcnt lgkmcnt(3)
	v_fmac_f32_e32 v3, v37, v41
	v_mul_f32_e32 v37, v42, v43
	s_waitcnt vmcnt(5)
	v_cvt_f32_f16_e32 v31, v31
	s_waitcnt lgkmcnt(2)
	v_fmac_f32_e32 v3, v37, v38
	v_addc_co_u32_e32 v28, vcc, v28, v26, vcc
	s_waitcnt vmcnt(4)
	v_cvt_f32_f16_e32 v32, v32
	v_mul_f32_e32 v31, v31, v32
	s_waitcnt lgkmcnt(1)
	v_fmac_f32_e32 v3, v31, v39
	s_waitcnt vmcnt(3)
	v_cvt_f32_f16_e32 v35, v35
	s_waitcnt vmcnt(2)
	v_cvt_f32_f16_e32 v36, v36
	v_mul_f32_e32 v31, v35, v36
	s_waitcnt lgkmcnt(0)
	v_fmac_f32_e32 v3, v31, v40
	global_load_ushort v35, v[29:30], off
	global_load_ushort v36, v[27:28], off
	s_waitcnt vmcnt(3)
	v_cvt_f32_f16_e32 v31, v33
	s_waitcnt vmcnt(2)
	v_cvt_f32_f16_e32 v32, v34
	v_mul_f32_e32 v33, v31, v32
	v_or_b32_e32 v31, 32, v8
	ds_bpermute_b32 v34, v31, v25
	v_add_co_u32_e32 v31, vcc, s26, v29
	v_addc_co_u32_e32 v32, vcc, v30, v26, vcc
	v_add_co_u32_e32 v29, vcc, s26, v27
	v_addc_co_u32_e32 v30, vcc, v28, v26, vcc
	;; [unrolled: 2-line block ×3, first 2 shown]
	global_load_ushort v37, v[31:32], off
	v_add_co_u32_e32 v31, vcc, s26, v29
	v_addc_co_u32_e32 v32, vcc, v30, v26, vcc
	global_load_ushort v38, v[29:30], off
	v_add_co_u32_e32 v29, vcc, s26, v27
	v_addc_co_u32_e32 v30, vcc, v28, v26, vcc
	;; [unrolled: 3-line block ×4, first 2 shown]
	global_load_ushort v41, v[29:30], off
	v_add_co_u32_e32 v29, vcc, s26, v27
	global_load_ushort v42, v[27:28], off
	v_addc_co_u32_e32 v30, vcc, v28, v26, vcc
	v_add_co_u32_e32 v27, vcc, s26, v31
	v_addc_co_u32_e32 v28, vcc, v32, v26, vcc
	global_load_ushort v43, v[31:32], off
	global_load_ushort v44, v[29:30], off
	v_add_co_u32_e32 v29, vcc, s26, v29
	v_addc_co_u32_e32 v30, vcc, v30, v26, vcc
	global_load_ushort v31, v[27:28], off
	global_load_ushort v32, v[29:30], off
	v_add_co_u32_e32 v27, vcc, s26, v27
	v_addc_co_u32_e32 v28, vcc, v28, v26, vcc
	v_add_co_u32_e32 v29, vcc, s26, v29
	s_waitcnt lgkmcnt(0)
	v_fmac_f32_e32 v3, v33, v34
	v_addc_co_u32_e32 v30, vcc, v30, v26, vcc
	global_load_ushort v33, v[27:28], off
	global_load_ushort v34, v[29:30], off
	v_add_co_u32_e32 v27, vcc, s26, v27
	v_addc_co_u32_e32 v28, vcc, v28, v26, vcc
	v_add_co_u32_e32 v29, vcc, s26, v29
	v_addc_co_u32_e32 v30, vcc, v30, v26, vcc
	s_waitcnt vmcnt(13)
	v_cvt_f32_f16_e32 v35, v35
	s_waitcnt vmcnt(12)
	v_cvt_f32_f16_e32 v36, v36
	v_mul_f32_e32 v35, v35, v36
	v_or_b32_e32 v36, 36, v8
	ds_bpermute_b32 v36, v36, v25
	s_waitcnt lgkmcnt(0)
	v_fmac_f32_e32 v3, v35, v36
	v_or_b32_e32 v36, 40, v8
	ds_bpermute_b32 v36, v36, v25
	s_waitcnt vmcnt(11)
	v_cvt_f32_f16_e32 v37, v37
	s_waitcnt vmcnt(10)
	v_cvt_f32_f16_e32 v38, v38
	v_mul_f32_e32 v35, v37, v38
	s_waitcnt vmcnt(9)
	v_cvt_f32_f16_e32 v37, v39
	v_or_b32_e32 v39, 44, v8
	ds_bpermute_b32 v39, v39, v25
	s_waitcnt lgkmcnt(1)
	v_fmac_f32_e32 v3, v35, v36
	v_or_b32_e32 v36, 48, v8
	s_waitcnt vmcnt(8)
	v_cvt_f32_f16_e32 v38, v40
	ds_bpermute_b32 v36, v36, v25
	v_mul_f32_e32 v35, v37, v38
	s_waitcnt vmcnt(7)
	v_cvt_f32_f16_e32 v40, v41
	s_waitcnt lgkmcnt(1)
	v_fmac_f32_e32 v3, v35, v39
	v_or_b32_e32 v39, 52, v8
	s_waitcnt vmcnt(6)
	v_cvt_f32_f16_e32 v41, v42
	ds_bpermute_b32 v39, v39, v25
	v_mul_f32_e32 v35, v40, v41
	v_or_b32_e32 v40, 56, v8
	s_waitcnt vmcnt(5)
	v_cvt_f32_f16_e32 v37, v43
	s_waitcnt vmcnt(4)
	v_cvt_f32_f16_e32 v38, v44
	ds_bpermute_b32 v40, v40, v25
	s_waitcnt lgkmcnt(2)
	v_fmac_f32_e32 v3, v35, v36
	global_load_ushort v36, v[29:30], off
	s_waitcnt vmcnt(4)
	v_cvt_f32_f16_e32 v31, v31
	s_waitcnt vmcnt(3)
	v_cvt_f32_f16_e32 v32, v32
	v_mul_f32_e32 v35, v37, v38
	s_waitcnt lgkmcnt(1)
	v_fmac_f32_e32 v3, v35, v39
	global_load_ushort v35, v[27:28], off
	v_mul_f32_e32 v31, v31, v32
	s_waitcnt lgkmcnt(0)
	v_fmac_f32_e32 v3, v31, v40
	s_waitcnt vmcnt(3)
	v_cvt_f32_f16_e32 v31, v33
	s_waitcnt vmcnt(2)
	v_cvt_f32_f16_e32 v32, v34
	v_mul_f32_e32 v33, v31, v32
	v_or_b32_e32 v31, 60, v8
	ds_bpermute_b32 v34, v31, v25
	v_add_co_u32_e32 v31, vcc, s26, v27
	v_addc_co_u32_e32 v32, vcc, v28, v26, vcc
	v_add_co_u32_e32 v27, vcc, s26, v29
	v_addc_co_u32_e32 v28, vcc, v30, v26, vcc
	;; [unrolled: 2-line block ×3, first 2 shown]
	global_load_ushort v37, v[31:32], off
	v_add_co_u32_e32 v31, vcc, s26, v27
	v_addc_co_u32_e32 v32, vcc, v28, v26, vcc
	global_load_ushort v38, v[27:28], off
	v_add_co_u32_e32 v27, vcc, s26, v29
	v_addc_co_u32_e32 v28, vcc, v30, v26, vcc
	;; [unrolled: 3-line block ×6, first 2 shown]
	global_load_ushort v43, v[31:32], off
	global_load_ushort v44, v[27:28], off
	v_add_co_u32_e32 v27, vcc, s26, v27
	v_addc_co_u32_e32 v28, vcc, v28, v26, vcc
	global_load_ushort v31, v[29:30], off
	global_load_ushort v32, v[27:28], off
	v_add_co_u32_e32 v29, vcc, s26, v29
	v_addc_co_u32_e32 v30, vcc, v30, v26, vcc
	v_add_co_u32_e32 v27, vcc, s26, v27
	s_waitcnt lgkmcnt(0)
	v_fmac_f32_e32 v3, v33, v34
	v_addc_co_u32_e32 v28, vcc, v28, v26, vcc
	global_load_ushort v33, v[29:30], off
	global_load_ushort v34, v[27:28], off
	v_add_co_u32_e32 v29, vcc, s26, v29
	v_addc_co_u32_e32 v30, vcc, v30, v26, vcc
	s_waitcnt vmcnt(13)
	v_cvt_f32_f16_e32 v36, v36
	v_add_co_u32_e32 v27, vcc, s26, v27
	v_addc_co_u32_e32 v28, vcc, v28, v26, vcc
	s_waitcnt vmcnt(12)
	v_cvt_f32_f16_e32 v35, v35
	v_mul_f32_e32 v35, v35, v36
	v_or_b32_e32 v36, 64, v8
	ds_bpermute_b32 v36, v36, v25
	s_waitcnt lgkmcnt(0)
	v_fmac_f32_e32 v3, v35, v36
	ds_bpermute_b32 v36, v10, v25
	s_waitcnt vmcnt(11)
	v_cvt_f32_f16_e32 v37, v37
	s_waitcnt vmcnt(10)
	v_cvt_f32_f16_e32 v38, v38
	v_mul_f32_e32 v35, v37, v38
	s_waitcnt vmcnt(9)
	v_cvt_f32_f16_e32 v37, v39
	ds_bpermute_b32 v39, v11, v25
	s_waitcnt lgkmcnt(1)
	v_fmac_f32_e32 v3, v35, v36
	ds_bpermute_b32 v36, v12, v25
	s_waitcnt vmcnt(8)
	v_cvt_f32_f16_e32 v38, v40
	v_mul_f32_e32 v35, v37, v38
	s_waitcnt vmcnt(7)
	v_cvt_f32_f16_e32 v40, v41
	s_waitcnt lgkmcnt(1)
	v_fmac_f32_e32 v3, v35, v39
	ds_bpermute_b32 v39, v13, v25
	s_waitcnt vmcnt(6)
	v_cvt_f32_f16_e32 v41, v42
	s_waitcnt vmcnt(5)
	v_cvt_f32_f16_e32 v37, v43
	;; [unrolled: 2-line block ×3, first 2 shown]
	v_mul_f32_e32 v35, v40, v41
	ds_bpermute_b32 v40, v14, v25
	s_waitcnt lgkmcnt(2)
	v_fmac_f32_e32 v3, v35, v36
	s_waitcnt vmcnt(3)
	v_cvt_f32_f16_e32 v31, v31
	s_waitcnt vmcnt(2)
	v_cvt_f32_f16_e32 v32, v32
	v_mul_f32_e32 v35, v37, v38
	s_waitcnt lgkmcnt(1)
	v_fmac_f32_e32 v3, v35, v39
	v_mul_f32_e32 v31, v31, v32
	s_waitcnt lgkmcnt(0)
	v_fmac_f32_e32 v3, v31, v40
	s_waitcnt vmcnt(1)
	v_cvt_f32_f16_e32 v31, v33
	s_waitcnt vmcnt(0)
	v_cvt_f32_f16_e32 v32, v34
	ds_bpermute_b32 v33, v15, v25
	global_load_ushort v34, v[27:28], off
	v_mul_f32_e32 v31, v31, v32
	s_waitcnt lgkmcnt(0)
	v_fmac_f32_e32 v3, v31, v33
	v_add_co_u32_e32 v31, vcc, s26, v29
	v_addc_co_u32_e32 v32, vcc, v30, v26, vcc
	global_load_ushort v33, v[29:30], off
	v_add_co_u32_e32 v29, vcc, s26, v27
	v_addc_co_u32_e32 v30, vcc, v28, v26, vcc
	v_add_co_u32_e32 v27, vcc, s26, v31
	v_addc_co_u32_e32 v28, vcc, v32, v26, vcc
	global_load_ushort v35, v[31:32], off
	v_add_co_u32_e32 v31, vcc, s26, v29
	v_addc_co_u32_e32 v32, vcc, v30, v26, vcc
	global_load_ushort v36, v[29:30], off
	;; [unrolled: 3-line block ×14, first 2 shown]
	s_nop 0
	global_load_ushort v29, v[27:28], off
	global_load_ushort v30, v[31:32], off
	s_waitcnt vmcnt(17)
	v_cvt_f32_f16_e32 v28, v34
	s_waitcnt vmcnt(16)
	v_cvt_f32_f16_e32 v27, v33
	ds_bpermute_b32 v33, v17, v25
	v_mul_f32_e32 v27, v27, v28
	ds_bpermute_b32 v28, v16, v25
	s_waitcnt vmcnt(15)
	v_cvt_f32_f16_e32 v31, v35
	s_waitcnt lgkmcnt(0)
	v_fmac_f32_e32 v3, v27, v28
	ds_bpermute_b32 v28, v18, v25
	s_waitcnt vmcnt(14)
	v_cvt_f32_f16_e32 v32, v36
	v_mul_f32_e32 v27, v31, v32
	s_waitcnt vmcnt(13)
	v_cvt_f32_f16_e32 v34, v37
	v_fmac_f32_e32 v3, v27, v33
	ds_bpermute_b32 v33, v19, v25
	s_waitcnt vmcnt(12)
	v_cvt_f32_f16_e32 v35, v38
	v_mul_f32_e32 v27, v34, v35
	s_waitcnt vmcnt(11)
	v_cvt_f32_f16_e32 v31, v39
	s_waitcnt lgkmcnt(1)
	v_fmac_f32_e32 v3, v27, v28
	ds_bpermute_b32 v28, v20, v25
	s_waitcnt vmcnt(10)
	v_cvt_f32_f16_e32 v32, v40
	v_mul_f32_e32 v27, v31, v32
	s_waitcnt vmcnt(9)
	v_cvt_f32_f16_e32 v34, v41
	s_waitcnt lgkmcnt(1)
	;; [unrolled: 8-line block ×3, first 2 shown]
	v_fmac_f32_e32 v3, v27, v28
	ds_bpermute_b32 v28, v22, v25
	s_waitcnt vmcnt(6)
	v_cvt_f32_f16_e32 v32, v44
	v_mul_f32_e32 v27, v31, v32
	s_waitcnt vmcnt(5)
	v_cvt_f32_f16_e32 v34, v45
	ds_bpermute_b32 v32, v23, v25
	ds_bpermute_b32 v25, v24, v25
	s_waitcnt lgkmcnt(3)
	v_fmac_f32_e32 v3, v27, v33
	s_waitcnt vmcnt(4)
	v_cvt_f32_f16_e32 v35, v46
	v_mul_f32_e32 v27, v34, v35
	s_waitcnt vmcnt(3)
	v_cvt_f32_f16_e32 v31, v47
	s_waitcnt lgkmcnt(2)
	v_fmac_f32_e32 v3, v27, v28
	s_waitcnt vmcnt(2)
	v_cvt_f32_f16_e32 v26, v26
	s_waitcnt vmcnt(1)
	v_cvt_f32_f16_e32 v29, v29
	;; [unrolled: 2-line block ×3, first 2 shown]
	v_mul_f32_e32 v26, v31, v26
	s_waitcnt lgkmcnt(1)
	v_fmac_f32_e32 v3, v26, v32
	v_mul_f32_e32 v26, v29, v30
	s_waitcnt lgkmcnt(0)
	v_fmac_f32_e32 v3, v26, v25
	v_mov_b32_e32 v26, s9
	v_mov_b32_e32 v25, s8
	v_cmp_lt_i64_e32 vcc, s[18:19], v[25:26]
	v_mov_b32_e32 v25, s23
	v_addc_co_u32_e64 v7, s[2:3], v7, v25, s[2:3]
	v_mov_b32_e32 v25, s25
	v_add_co_u32_e64 v2, s[2:3], s24, v2
	v_addc_co_u32_e64 v9, s[2:3], v9, v25, s[2:3]
	v_add_co_u32_e64 v4, s[2:3], s20, v4
	v_addc_co_u32_e64 v5, s[2:3], 0, v5, s[2:3]
	s_cbranch_vccz .LBB165_7
.LBB165_4:                              ; =>This Inner Loop Header: Depth=1
	v_mov_b32_e32 v25, 0
	s_and_saveexec_b64 s[2:3], s[0:1]
	s_cbranch_execz .LBB165_3
; %bb.5:                                ;   in Loop: Header=BB165_4 Depth=1
	v_cmp_gt_i64_e32 vcc, s[8:9], v[4:5]
	v_mov_b32_e32 v25, 0
	s_and_saveexec_b64 s[28:29], vcc
	s_cbranch_execz .LBB165_2
; %bb.6:                                ;   in Loop: Header=BB165_4 Depth=1
	global_load_dword v25, v[6:7], off
	s_branch .LBB165_2
.LBB165_7:
	v_cvt_f16_f32_e32 v3, v3
.LBB165_8:
	s_cmp_eq_u64 s[16:17], 0
	s_cbranch_scc1 .LBB165_10
; %bb.9:
	s_load_dword s0, s[4:5], 0x4c
	v_mov_b32_e32 v2, 0
	v_mov_b32_e32 v4, s7
	s_mov_b32 s7, 0
	v_mov_b32_e32 v6, s17
	s_waitcnt lgkmcnt(0)
	s_lshr_b32 s0, s0, 16
	v_mad_u64_u32 v[1:2], s[0:1], s0, v4, v[1:2]
	v_lshlrev_b32_e32 v0, 1, v0
	v_mul_lo_u32 v4, v2, s10
	v_mul_lo_u32 v5, v1, s11
	v_mad_u64_u32 v[1:2], s[0:1], v1, s10, 0
	s_lshl_b64 s[0:1], s[6:7], 7
	v_add3_u32 v2, v2, v5, v4
	v_lshlrev_b64 v[1:2], 1, v[1:2]
	v_mov_b32_e32 v4, s1
	v_add_co_u32_e32 v1, vcc, s16, v1
	v_addc_co_u32_e32 v2, vcc, v6, v2, vcc
	v_add_co_u32_e32 v1, vcc, s0, v1
	v_addc_co_u32_e32 v2, vcc, v2, v4, vcc
	;; [unrolled: 2-line block ×3, first 2 shown]
	global_store_short v[0:1], v3, off
.LBB165_10:
	s_endpgm
	.section	.rodata,"a",@progbits
	.p2align	6, 0x0
	.amdhsa_kernel _ZN2at6native12_GLOBAL__N_135GammaBetaBackwardCUDAKernelTemplateIN3c104HalfEfLj64ELj1ELj32ELb1ELb1ELb1EEEvllPKT_S7_PKT0_SA_PS5_SB_
		.amdhsa_group_segment_fixed_size 0
		.amdhsa_private_segment_fixed_size 0
		.amdhsa_kernarg_size 320
		.amdhsa_user_sgpr_count 6
		.amdhsa_user_sgpr_private_segment_buffer 1
		.amdhsa_user_sgpr_dispatch_ptr 0
		.amdhsa_user_sgpr_queue_ptr 0
		.amdhsa_user_sgpr_kernarg_segment_ptr 1
		.amdhsa_user_sgpr_dispatch_id 0
		.amdhsa_user_sgpr_flat_scratch_init 0
		.amdhsa_user_sgpr_private_segment_size 0
		.amdhsa_uses_dynamic_stack 0
		.amdhsa_system_sgpr_private_segment_wavefront_offset 0
		.amdhsa_system_sgpr_workgroup_id_x 1
		.amdhsa_system_sgpr_workgroup_id_y 1
		.amdhsa_system_sgpr_workgroup_id_z 0
		.amdhsa_system_sgpr_workgroup_info 0
		.amdhsa_system_vgpr_workitem_id 1
		.amdhsa_next_free_vgpr 48
		.amdhsa_next_free_sgpr 30
		.amdhsa_reserve_vcc 1
		.amdhsa_reserve_flat_scratch 0
		.amdhsa_float_round_mode_32 0
		.amdhsa_float_round_mode_16_64 0
		.amdhsa_float_denorm_mode_32 3
		.amdhsa_float_denorm_mode_16_64 3
		.amdhsa_dx10_clamp 1
		.amdhsa_ieee_mode 1
		.amdhsa_fp16_overflow 0
		.amdhsa_exception_fp_ieee_invalid_op 0
		.amdhsa_exception_fp_denorm_src 0
		.amdhsa_exception_fp_ieee_div_zero 0
		.amdhsa_exception_fp_ieee_overflow 0
		.amdhsa_exception_fp_ieee_underflow 0
		.amdhsa_exception_fp_ieee_inexact 0
		.amdhsa_exception_int_div_zero 0
	.end_amdhsa_kernel
	.section	.text._ZN2at6native12_GLOBAL__N_135GammaBetaBackwardCUDAKernelTemplateIN3c104HalfEfLj64ELj1ELj32ELb1ELb1ELb1EEEvllPKT_S7_PKT0_SA_PS5_SB_,"axG",@progbits,_ZN2at6native12_GLOBAL__N_135GammaBetaBackwardCUDAKernelTemplateIN3c104HalfEfLj64ELj1ELj32ELb1ELb1ELb1EEEvllPKT_S7_PKT0_SA_PS5_SB_,comdat
.Lfunc_end165:
	.size	_ZN2at6native12_GLOBAL__N_135GammaBetaBackwardCUDAKernelTemplateIN3c104HalfEfLj64ELj1ELj32ELb1ELb1ELb1EEEvllPKT_S7_PKT0_SA_PS5_SB_, .Lfunc_end165-_ZN2at6native12_GLOBAL__N_135GammaBetaBackwardCUDAKernelTemplateIN3c104HalfEfLj64ELj1ELj32ELb1ELb1ELb1EEEvllPKT_S7_PKT0_SA_PS5_SB_
                                        ; -- End function
	.set _ZN2at6native12_GLOBAL__N_135GammaBetaBackwardCUDAKernelTemplateIN3c104HalfEfLj64ELj1ELj32ELb1ELb1ELb1EEEvllPKT_S7_PKT0_SA_PS5_SB_.num_vgpr, 48
	.set _ZN2at6native12_GLOBAL__N_135GammaBetaBackwardCUDAKernelTemplateIN3c104HalfEfLj64ELj1ELj32ELb1ELb1ELb1EEEvllPKT_S7_PKT0_SA_PS5_SB_.num_agpr, 0
	.set _ZN2at6native12_GLOBAL__N_135GammaBetaBackwardCUDAKernelTemplateIN3c104HalfEfLj64ELj1ELj32ELb1ELb1ELb1EEEvllPKT_S7_PKT0_SA_PS5_SB_.numbered_sgpr, 30
	.set _ZN2at6native12_GLOBAL__N_135GammaBetaBackwardCUDAKernelTemplateIN3c104HalfEfLj64ELj1ELj32ELb1ELb1ELb1EEEvllPKT_S7_PKT0_SA_PS5_SB_.num_named_barrier, 0
	.set _ZN2at6native12_GLOBAL__N_135GammaBetaBackwardCUDAKernelTemplateIN3c104HalfEfLj64ELj1ELj32ELb1ELb1ELb1EEEvllPKT_S7_PKT0_SA_PS5_SB_.private_seg_size, 0
	.set _ZN2at6native12_GLOBAL__N_135GammaBetaBackwardCUDAKernelTemplateIN3c104HalfEfLj64ELj1ELj32ELb1ELb1ELb1EEEvllPKT_S7_PKT0_SA_PS5_SB_.uses_vcc, 1
	.set _ZN2at6native12_GLOBAL__N_135GammaBetaBackwardCUDAKernelTemplateIN3c104HalfEfLj64ELj1ELj32ELb1ELb1ELb1EEEvllPKT_S7_PKT0_SA_PS5_SB_.uses_flat_scratch, 0
	.set _ZN2at6native12_GLOBAL__N_135GammaBetaBackwardCUDAKernelTemplateIN3c104HalfEfLj64ELj1ELj32ELb1ELb1ELb1EEEvllPKT_S7_PKT0_SA_PS5_SB_.has_dyn_sized_stack, 0
	.set _ZN2at6native12_GLOBAL__N_135GammaBetaBackwardCUDAKernelTemplateIN3c104HalfEfLj64ELj1ELj32ELb1ELb1ELb1EEEvllPKT_S7_PKT0_SA_PS5_SB_.has_recursion, 0
	.set _ZN2at6native12_GLOBAL__N_135GammaBetaBackwardCUDAKernelTemplateIN3c104HalfEfLj64ELj1ELj32ELb1ELb1ELb1EEEvllPKT_S7_PKT0_SA_PS5_SB_.has_indirect_call, 0
	.section	.AMDGPU.csdata,"",@progbits
; Kernel info:
; codeLenInByte = 2932
; TotalNumSgprs: 34
; NumVgprs: 48
; ScratchSize: 0
; MemoryBound: 0
; FloatMode: 240
; IeeeMode: 1
; LDSByteSize: 0 bytes/workgroup (compile time only)
; SGPRBlocks: 4
; VGPRBlocks: 11
; NumSGPRsForWavesPerEU: 34
; NumVGPRsForWavesPerEU: 48
; Occupancy: 5
; WaveLimiterHint : 0
; COMPUTE_PGM_RSRC2:SCRATCH_EN: 0
; COMPUTE_PGM_RSRC2:USER_SGPR: 6
; COMPUTE_PGM_RSRC2:TRAP_HANDLER: 0
; COMPUTE_PGM_RSRC2:TGID_X_EN: 1
; COMPUTE_PGM_RSRC2:TGID_Y_EN: 1
; COMPUTE_PGM_RSRC2:TGID_Z_EN: 0
; COMPUTE_PGM_RSRC2:TIDIG_COMP_CNT: 1
	.section	.text._ZN2at6native12_GLOBAL__N_135GammaBetaBackwardCUDAKernelTemplateIN3c104HalfEfLj64ELj1ELj32ELb1ELb0ELb1EEEvllPKT_S7_PKT0_SA_PS5_SB_,"axG",@progbits,_ZN2at6native12_GLOBAL__N_135GammaBetaBackwardCUDAKernelTemplateIN3c104HalfEfLj64ELj1ELj32ELb1ELb0ELb1EEEvllPKT_S7_PKT0_SA_PS5_SB_,comdat
	.globl	_ZN2at6native12_GLOBAL__N_135GammaBetaBackwardCUDAKernelTemplateIN3c104HalfEfLj64ELj1ELj32ELb1ELb0ELb1EEEvllPKT_S7_PKT0_SA_PS5_SB_ ; -- Begin function _ZN2at6native12_GLOBAL__N_135GammaBetaBackwardCUDAKernelTemplateIN3c104HalfEfLj64ELj1ELj32ELb1ELb0ELb1EEEvllPKT_S7_PKT0_SA_PS5_SB_
	.p2align	8
	.type	_ZN2at6native12_GLOBAL__N_135GammaBetaBackwardCUDAKernelTemplateIN3c104HalfEfLj64ELj1ELj32ELb1ELb0ELb1EEEvllPKT_S7_PKT0_SA_PS5_SB_,@function
_ZN2at6native12_GLOBAL__N_135GammaBetaBackwardCUDAKernelTemplateIN3c104HalfEfLj64ELj1ELj32ELb1ELb0ELb1EEEvllPKT_S7_PKT0_SA_PS5_SB_: ; @_ZN2at6native12_GLOBAL__N_135GammaBetaBackwardCUDAKernelTemplateIN3c104HalfEfLj64ELj1ELj32ELb1ELb0ELb1EEEvllPKT_S7_PKT0_SA_PS5_SB_
; %bb.0:
	s_mov_b64 s[38:39], s[2:3]
	s_mov_b64 s[36:37], s[0:1]
	s_add_u32 s36, s36, s8
	s_mov_b32 s8, s7
	s_load_dwordx8 s[12:19], s[4:5], 0x0
	s_load_dwordx2 s[20:21], s[4:5], 0x28
	s_addc_u32 s37, s37, 0
	s_lshl_b32 s22, s8, 5
	s_lshl_b32 s7, s6, 6
	s_mov_b32 s23, 0
	v_mov_b32_e32 v2, s22
	s_or_b32 s0, s7, 63
	v_mov_b32_e32 v3, s23
	v_mov_b32_e32 v129, s0
	;; [unrolled: 1-line block ×3, first 2 shown]
	s_waitcnt lgkmcnt(0)
	v_cmp_gt_i64_e64 s[0:1], s[12:13], v[2:3]
	v_cmp_le_i64_e32 vcc, s[14:15], v[129:130]
	v_cndmask_b32_e64 v2, 0, 1, s[0:1]
	v_cmp_ne_u32_e64 s[0:1], 1, v2
	s_cbranch_vccz .LBB166_145
; %bb.1:
	s_and_b64 vcc, exec, s[0:1]
	s_cbranch_vccnz .LBB166_146
; %bb.2:
	v_lshlrev_b32_e32 v204, 5, v1
	v_add_co_u32_e32 v8, vcc, s22, v204
	v_addc_co_u32_e64 v9, s[2:3], 0, 0, vcc
	v_mul_lo_u32 v10, s15, v8
	v_mul_lo_u32 v11, s14, v9
	v_mad_u64_u32 v[6:7], s[2:3], s14, v8, 0
	s_load_dword s9, s[4:5], 0x44
	v_add_u32_e32 v2, s7, v0
	v_add3_u32 v7, v7, v11, v10
	v_lshlrev_b64 v[11:12], 1, v[6:7]
	v_mov_b32_e32 v3, 0
	s_add_u32 s24, s4, 64
	v_cmp_gt_i64_e64 s[2:3], s[14:15], v[2:3]
	v_lshlrev_b64 v[4:5], 1, v[2:3]
	v_mov_b32_e32 v10, s17
	v_add_co_u32_e32 v2, vcc, s16, v11
	s_addc_u32 s25, s5, 0
	s_waitcnt lgkmcnt(0)
	s_lshl_b32 s9, s9, 5
	v_addc_co_u32_e32 v10, vcc, v10, v12, vcc
	s_mul_i32 s10, s15, s9
	s_mul_hi_u32 s11, s14, s9
	v_add_co_u32_e32 v13, vcc, 31, v8
	s_add_i32 s11, s11, s10
	s_mul_i32 s10, s14, s9
	v_addc_co_u32_e32 v14, vcc, 0, v9, vcc
	s_lshl_b64 s[26:27], s[10:11], 1
	v_mul_lo_u32 v16, s15, v13
	v_mul_lo_u32 v17, s14, v14
	v_mad_u64_u32 v[13:14], s[10:11], s14, v13, 0
	v_mov_b32_e32 v15, s19
	v_add_co_u32_e32 v11, vcc, s18, v11
	v_add3_u32 v14, v14, v17, v16
	v_addc_co_u32_e32 v12, vcc, v15, v12, vcc
	v_lshlrev_b64 v[15:16], 1, v[13:14]
	v_mov_b32_e32 v14, s17
	v_add_co_u32_e32 v13, vcc, s16, v15
	v_addc_co_u32_e32 v14, vcc, v14, v16, vcc
	v_add_co_u32_e32 v17, vcc, 30, v8
	v_addc_co_u32_e32 v18, vcc, 0, v9, vcc
	v_mul_lo_u32 v20, s15, v17
	v_mul_lo_u32 v21, s14, v18
	v_mad_u64_u32 v[17:18], s[10:11], s14, v17, 0
	v_mov_b32_e32 v19, s19
	v_add_co_u32_e32 v15, vcc, s18, v15
	v_add3_u32 v18, v18, v21, v20
	v_addc_co_u32_e32 v16, vcc, v19, v16, vcc
	v_lshlrev_b64 v[19:20], 1, v[17:18]
	v_mov_b32_e32 v18, s17
	v_add_co_u32_e32 v17, vcc, s16, v19
	v_addc_co_u32_e32 v18, vcc, v18, v20, vcc
	v_add_co_u32_e32 v21, vcc, 29, v8
	v_addc_co_u32_e32 v22, vcc, 0, v9, vcc
	;; [unrolled: 13-line block ×29, first 2 shown]
	v_mul_lo_u32 v130, s15, v8
	v_mul_lo_u32 v131, s14, v9
	v_mad_u64_u32 v[8:9], s[10:11], s14, v8, 0
	v_mov_b32_e32 v129, s19
	v_add_co_u32_e32 v127, vcc, s18, v127
	v_add3_u32 v9, v9, v131, v130
	v_lshlrev_b64 v[8:9], 1, v[8:9]
	v_addc_co_u32_e32 v128, vcc, v129, v128, vcc
	v_mov_b32_e32 v130, s17
	v_add_co_u32_e32 v129, vcc, s16, v8
	v_addc_co_u32_e32 v131, vcc, v130, v9, vcc
	v_mov_b32_e32 v130, s19
	v_add_co_u32_e32 v132, vcc, s18, v8
	;; [unrolled: 3-line block ×3, first 2 shown]
	v_addc_co_u32_e32 v7, vcc, v7, v8, vcc
	v_lshlrev_b64 v[6:7], 1, v[6:7]
	v_mov_b32_e32 v8, s17
	v_add_co_u32_e32 v134, vcc, s16, v6
	v_addc_co_u32_e32 v135, vcc, v8, v7, vcc
	v_add_co_u32_e32 v136, vcc, s18, v6
	v_mbcnt_lo_u32_b32 v6, -1, 0
	v_mbcnt_hi_u32_b32 v6, -1, v6
	v_mov_b32_e32 v8, s19
	v_lshlrev_b32_e32 v6, 2, v6
	v_mov_b32_e32 v203, v3
	s_mov_b64 s[28:29], 31
	v_addc_co_u32_e32 v137, vcc, v8, v7, vcc
	v_and_b32_e32 v138, 0x100, v6
	s_mov_b64 s[30:31], s[22:23]
	v_mov_b32_e32 v139, 0
.LBB166_3:                              ; =>This Inner Loop Header: Depth=1
	s_add_u32 s10, s22, s28
	v_mov_b32_e32 v6, s12
	s_addc_u32 s11, 0, s29
	v_mov_b32_e32 v7, s13
	v_cmp_ge_i64_e32 vcc, s[10:11], v[6:7]
	v_add_co_u32_e64 v6, s[10:11], s22, v204
	v_addc_co_u32_e64 v7, s[10:11], 0, v203, s[10:11]
	s_mov_b64 s[10:11], -1
                                        ; implicit-def: $vgpr130
                                        ; implicit-def: $vgpr183
                                        ; implicit-def: $vgpr8
	s_cbranch_vccz .LBB166_73
; %bb.4:                                ;   in Loop: Header=BB166_3 Depth=1
	s_load_dword s10, s[24:25], 0xc
	v_mov_b32_e32 v130, 0
	v_mov_b32_e32 v140, 0
	s_waitcnt lgkmcnt(0)
	s_and_b32 s10, s10, 0xffff
	v_mad_u32_u24 v8, v1, s10, v0
	v_and_b32_e32 v8, 63, v8
	v_cmp_gt_u32_e32 vcc, 32, v8
	s_and_saveexec_b64 s[10:11], vcc
	s_cbranch_execz .LBB166_8
; %bb.5:                                ;   in Loop: Header=BB166_3 Depth=1
	v_add_co_u32_e32 v8, vcc, v6, v8
	v_addc_co_u32_e32 v9, vcc, 0, v7, vcc
	v_cmp_gt_i64_e32 vcc, s[12:13], v[8:9]
	v_mov_b32_e32 v140, 0
	s_and_saveexec_b64 s[34:35], vcc
	s_cbranch_execz .LBB166_7
; %bb.6:                                ;   in Loop: Header=BB166_3 Depth=1
	v_lshlrev_b64 v[8:9], 2, v[8:9]
	v_mov_b32_e32 v140, s21
	v_add_co_u32_e32 v8, vcc, s20, v8
	v_addc_co_u32_e32 v9, vcc, v140, v9, vcc
	global_load_dword v140, v[8:9], off
.LBB166_7:                              ;   in Loop: Header=BB166_3 Depth=1
	s_or_b64 exec, exec, s[34:35]
.LBB166_8:                              ;   in Loop: Header=BB166_3 Depth=1
	s_or_b64 exec, exec, s[10:11]
	v_cmp_gt_i64_e32 vcc, s[12:13], v[6:7]
	v_mov_b32_e32 v8, 0
	s_and_b64 s[34:35], s[2:3], vcc
	s_and_saveexec_b64 s[10:11], s[34:35]
	s_cbranch_execz .LBB166_10
; %bb.9:                                ;   in Loop: Header=BB166_3 Depth=1
	v_add_co_u32_e32 v8, vcc, v2, v4
	v_addc_co_u32_e32 v9, vcc, v10, v5, vcc
	global_load_ushort v130, v[8:9], off
	v_add_co_u32_e32 v8, vcc, v11, v4
	v_addc_co_u32_e32 v9, vcc, v12, v5, vcc
	global_load_ushort v8, v[8:9], off
	s_waitcnt vmcnt(1)
	v_cvt_f32_f16_e32 v130, v130
	s_waitcnt vmcnt(0)
	v_cvt_f32_f16_e32 v8, v8
.LBB166_10:                             ;   in Loop: Header=BB166_3 Depth=1
	s_or_b64 exec, exec, s[10:11]
	v_add_co_u32_e32 v141, vcc, 1, v6
	v_addc_co_u32_e32 v142, vcc, 0, v7, vcc
	v_cmp_gt_i64_e32 vcc, s[12:13], v[141:142]
	v_mov_b32_e32 v9, 0
	s_and_b64 s[34:35], s[2:3], vcc
	v_mov_b32_e32 v141, 0
	v_mov_b32_e32 v142, 0
	s_and_saveexec_b64 s[10:11], s[34:35]
	s_cbranch_execz .LBB166_12
; %bb.11:                               ;   in Loop: Header=BB166_3 Depth=1
	v_add_co_u32_e32 v141, vcc, v134, v4
	v_addc_co_u32_e32 v142, vcc, v135, v5, vcc
	global_load_ushort v143, v[141:142], off
	v_add_co_u32_e32 v141, vcc, v136, v4
	v_addc_co_u32_e32 v142, vcc, v137, v5, vcc
	global_load_ushort v142, v[141:142], off
	s_waitcnt vmcnt(1)
	v_cvt_f32_f16_e32 v141, v143
	s_waitcnt vmcnt(0)
	v_cvt_f32_f16_e32 v142, v142
.LBB166_12:                             ;   in Loop: Header=BB166_3 Depth=1
	s_or_b64 exec, exec, s[10:11]
	v_add_co_u32_e32 v143, vcc, 2, v6
	v_addc_co_u32_e32 v144, vcc, 0, v7, vcc
	v_cmp_gt_i64_e32 vcc, s[12:13], v[143:144]
	v_mov_b32_e32 v143, 0
	s_and_b64 s[34:35], s[2:3], vcc
	s_and_saveexec_b64 s[10:11], s[34:35]
	s_cbranch_execz .LBB166_14
; %bb.13:                               ;   in Loop: Header=BB166_3 Depth=1
	v_add_co_u32_e32 v143, vcc, v129, v4
	v_addc_co_u32_e32 v144, vcc, v131, v5, vcc
	global_load_ushort v9, v[143:144], off
	v_add_co_u32_e32 v143, vcc, v132, v4
	v_addc_co_u32_e32 v144, vcc, v133, v5, vcc
	global_load_ushort v143, v[143:144], off
	s_waitcnt vmcnt(1)
	v_cvt_f32_f16_e32 v9, v9
	s_waitcnt vmcnt(0)
	v_cvt_f32_f16_e32 v143, v143
.LBB166_14:                             ;   in Loop: Header=BB166_3 Depth=1
	s_or_b64 exec, exec, s[10:11]
	v_add_co_u32_e32 v144, vcc, 3, v6
	v_addc_co_u32_e32 v145, vcc, 0, v7, vcc
	v_cmp_gt_i64_e32 vcc, s[12:13], v[144:145]
	v_mov_b32_e32 v144, 0
	s_and_b64 s[34:35], s[2:3], vcc
	v_mov_b32_e32 v145, 0
	v_mov_b32_e32 v146, 0
	s_and_saveexec_b64 s[10:11], s[34:35]
	s_cbranch_execz .LBB166_16
; %bb.15:                               ;   in Loop: Header=BB166_3 Depth=1
	v_add_co_u32_e32 v145, vcc, v125, v4
	v_addc_co_u32_e32 v146, vcc, v126, v5, vcc
	global_load_ushort v147, v[145:146], off
	v_add_co_u32_e32 v145, vcc, v127, v4
	v_addc_co_u32_e32 v146, vcc, v128, v5, vcc
	global_load_ushort v146, v[145:146], off
	s_waitcnt vmcnt(1)
	v_cvt_f32_f16_e32 v145, v147
	s_waitcnt vmcnt(0)
	v_cvt_f32_f16_e32 v146, v146
.LBB166_16:                             ;   in Loop: Header=BB166_3 Depth=1
	s_or_b64 exec, exec, s[10:11]
	v_add_co_u32_e32 v147, vcc, 4, v6
	v_addc_co_u32_e32 v148, vcc, 0, v7, vcc
	v_cmp_gt_i64_e32 vcc, s[12:13], v[147:148]
	v_mov_b32_e32 v147, 0
	s_and_b64 s[34:35], s[2:3], vcc
	s_and_saveexec_b64 s[10:11], s[34:35]
	s_cbranch_execz .LBB166_18
; %bb.17:                               ;   in Loop: Header=BB166_3 Depth=1
	v_add_co_u32_e32 v147, vcc, v121, v4
	v_addc_co_u32_e32 v148, vcc, v122, v5, vcc
	global_load_ushort v144, v[147:148], off
	v_add_co_u32_e32 v147, vcc, v123, v4
	v_addc_co_u32_e32 v148, vcc, v124, v5, vcc
	global_load_ushort v147, v[147:148], off
	s_waitcnt vmcnt(1)
	v_cvt_f32_f16_e32 v144, v144
	s_waitcnt vmcnt(0)
	v_cvt_f32_f16_e32 v147, v147
.LBB166_18:                             ;   in Loop: Header=BB166_3 Depth=1
	;; [unrolled: 42-line block ×15, first 2 shown]
	s_or_b64 exec, exec, s[10:11]
	v_add_co_u32_e32 v201, vcc, 31, v6
	v_addc_co_u32_e32 v202, vcc, 0, v7, vcc
	v_cmp_gt_i64_e32 vcc, s[12:13], v[201:202]
	v_mov_b32_e32 v183, 0
	s_and_b64 s[34:35], s[2:3], vcc
	s_and_saveexec_b64 s[10:11], s[34:35]
	s_cbranch_execz .LBB166_72
; %bb.71:                               ;   in Loop: Header=BB166_3 Depth=1
	v_add_co_u32_e32 v201, vcc, v13, v4
	v_addc_co_u32_e32 v202, vcc, v14, v5, vcc
	global_load_ushort v183, v[201:202], off
	v_add_co_u32_e32 v201, vcc, v15, v4
	v_addc_co_u32_e32 v202, vcc, v16, v5, vcc
	global_load_ushort v201, v[201:202], off
	s_waitcnt vmcnt(1)
	v_cvt_f32_f16_e32 v183, v183
	s_waitcnt vmcnt(0)
	v_cvt_f32_f16_e32 v201, v201
	v_mul_f32_e32 v183, v183, v201
.LBB166_72:                             ;   in Loop: Header=BB166_3 Depth=1
	s_or_b64 exec, exec, s[10:11]
	s_waitcnt vmcnt(0)
	ds_bpermute_b32 v201, v138, v140
	ds_bpermute_b32 v202, v138, v140 offset:4
	v_mul_f32_e32 v141, v141, v142
	ds_bpermute_b32 v142, v138, v140 offset:8
	v_mul_f32_e32 v8, v130, v8
	s_waitcnt lgkmcnt(2)
	v_fma_f32 v130, v8, v201, v139
	s_waitcnt lgkmcnt(1)
	v_fmac_f32_e32 v130, v141, v202
	ds_bpermute_b32 v8, v138, v140 offset:12
	v_mul_f32_e32 v9, v9, v143
	s_waitcnt lgkmcnt(1)
	v_fmac_f32_e32 v130, v9, v142
	ds_bpermute_b32 v9, v138, v140 offset:16
	v_mul_f32_e32 v141, v145, v146
	s_waitcnt lgkmcnt(1)
	v_fmac_f32_e32 v130, v141, v8
	ds_bpermute_b32 v8, v138, v140 offset:20
	v_mul_f32_e32 v141, v144, v147
	s_waitcnt lgkmcnt(1)
	v_fmac_f32_e32 v130, v141, v9
	ds_bpermute_b32 v9, v138, v140 offset:24
	v_mul_f32_e32 v141, v149, v150
	s_waitcnt lgkmcnt(1)
	v_fmac_f32_e32 v130, v141, v8
	ds_bpermute_b32 v8, v138, v140 offset:28
	v_mul_f32_e32 v141, v148, v151
	s_waitcnt lgkmcnt(1)
	v_fmac_f32_e32 v130, v141, v9
	ds_bpermute_b32 v9, v138, v140 offset:32
	v_mul_f32_e32 v141, v153, v154
	s_waitcnt lgkmcnt(1)
	v_fmac_f32_e32 v130, v141, v8
	ds_bpermute_b32 v8, v138, v140 offset:36
	v_mul_f32_e32 v141, v152, v155
	s_waitcnt lgkmcnt(1)
	v_fmac_f32_e32 v130, v141, v9
	ds_bpermute_b32 v9, v138, v140 offset:40
	v_mul_f32_e32 v141, v157, v158
	s_waitcnt lgkmcnt(1)
	v_fmac_f32_e32 v130, v141, v8
	ds_bpermute_b32 v8, v138, v140 offset:44
	v_mul_f32_e32 v141, v156, v159
	s_waitcnt lgkmcnt(1)
	v_fmac_f32_e32 v130, v141, v9
	ds_bpermute_b32 v9, v138, v140 offset:48
	v_mul_f32_e32 v141, v161, v162
	s_waitcnt lgkmcnt(1)
	v_fmac_f32_e32 v130, v141, v8
	ds_bpermute_b32 v8, v138, v140 offset:52
	v_mul_f32_e32 v141, v160, v163
	s_waitcnt lgkmcnt(1)
	v_fmac_f32_e32 v130, v141, v9
	ds_bpermute_b32 v9, v138, v140 offset:56
	v_mul_f32_e32 v141, v165, v166
	s_waitcnt lgkmcnt(1)
	v_fmac_f32_e32 v130, v141, v8
	ds_bpermute_b32 v8, v138, v140 offset:60
	v_mul_f32_e32 v141, v164, v167
	s_waitcnt lgkmcnt(1)
	v_fmac_f32_e32 v130, v141, v9
	ds_bpermute_b32 v9, v138, v140 offset:64
	v_mul_f32_e32 v141, v169, v170
	s_waitcnt lgkmcnt(1)
	v_fmac_f32_e32 v130, v141, v8
	ds_bpermute_b32 v8, v138, v140 offset:68
	v_mul_f32_e32 v141, v168, v171
	s_waitcnt lgkmcnt(1)
	v_fmac_f32_e32 v130, v141, v9
	ds_bpermute_b32 v9, v138, v140 offset:72
	v_mul_f32_e32 v141, v173, v174
	s_waitcnt lgkmcnt(1)
	v_fmac_f32_e32 v130, v141, v8
	ds_bpermute_b32 v8, v138, v140 offset:76
	v_mul_f32_e32 v141, v172, v175
	s_waitcnt lgkmcnt(1)
	v_fmac_f32_e32 v130, v141, v9
	ds_bpermute_b32 v9, v138, v140 offset:80
	v_mul_f32_e32 v141, v177, v178
	s_waitcnt lgkmcnt(1)
	v_fmac_f32_e32 v130, v141, v8
	ds_bpermute_b32 v8, v138, v140 offset:84
	v_mul_f32_e32 v141, v176, v179
	s_waitcnt lgkmcnt(1)
	v_fmac_f32_e32 v130, v141, v9
	ds_bpermute_b32 v9, v138, v140 offset:88
	v_mul_f32_e32 v141, v181, v182
	s_waitcnt lgkmcnt(1)
	v_fmac_f32_e32 v130, v141, v8
	ds_bpermute_b32 v8, v138, v140 offset:92
	v_mul_f32_e32 v141, v180, v184
	s_waitcnt lgkmcnt(1)
	v_fmac_f32_e32 v130, v141, v9
	ds_bpermute_b32 v9, v138, v140 offset:96
	v_mul_f32_e32 v141, v186, v187
	s_waitcnt lgkmcnt(1)
	v_fmac_f32_e32 v130, v141, v8
	ds_bpermute_b32 v8, v138, v140 offset:100
	v_mul_f32_e32 v141, v185, v188
	s_waitcnt lgkmcnt(1)
	v_fmac_f32_e32 v130, v141, v9
	ds_bpermute_b32 v9, v138, v140 offset:104
	v_mul_f32_e32 v141, v190, v191
	s_waitcnt lgkmcnt(1)
	v_fmac_f32_e32 v130, v141, v8
	ds_bpermute_b32 v8, v138, v140 offset:108
	v_mul_f32_e32 v141, v189, v192
	s_waitcnt lgkmcnt(1)
	v_fmac_f32_e32 v130, v141, v9
	ds_bpermute_b32 v9, v138, v140 offset:112
	v_mul_f32_e32 v141, v194, v195
	s_waitcnt lgkmcnt(1)
	v_fmac_f32_e32 v130, v141, v8
	v_mul_f32_e32 v8, v193, v196
	ds_bpermute_b32 v141, v138, v140 offset:116
	s_waitcnt lgkmcnt(1)
	v_fmac_f32_e32 v130, v8, v9
	ds_bpermute_b32 v9, v138, v140 offset:120
	ds_bpermute_b32 v8, v138, v140 offset:124
	v_mul_f32_e32 v142, v198, v199
	s_waitcnt lgkmcnt(2)
	v_fmac_f32_e32 v130, v142, v141
	v_mul_f32_e32 v140, v197, v200
	s_waitcnt lgkmcnt(1)
	v_fmac_f32_e32 v130, v140, v9
	s_mov_b64 s[10:11], 0
.LBB166_73:                             ;   in Loop: Header=BB166_3 Depth=1
	s_and_b64 vcc, exec, s[10:11]
	s_cbranch_vccz .LBB166_143
; %bb.74:                               ;   in Loop: Header=BB166_3 Depth=1
	s_load_dword s10, s[24:25], 0x0
	v_mov_b32_e32 v9, 0
	s_waitcnt lgkmcnt(0)
	s_cmp_lt_u32 s6, s10
	s_cselect_b32 s10, 12, 18
	s_add_u32 s10, s24, s10
	s_addc_u32 s11, s25, 0
	global_load_ushort v8, v3, s[10:11]
	s_waitcnt vmcnt(0)
	v_mad_u32_u24 v8, v1, v8, v0
	v_and_b32_e32 v130, 63, v8
	v_cmp_gt_u32_e32 vcc, 32, v130
	v_mov_b32_e32 v8, 0
	s_and_saveexec_b64 s[10:11], vcc
	s_cbranch_execz .LBB166_78
; %bb.75:                               ;   in Loop: Header=BB166_3 Depth=1
	v_add_co_u32_e32 v6, vcc, v6, v130
	v_addc_co_u32_e32 v7, vcc, 0, v7, vcc
	v_cmp_gt_i64_e32 vcc, s[12:13], v[6:7]
	v_mov_b32_e32 v8, 0
	s_and_saveexec_b64 s[34:35], vcc
	s_cbranch_execz .LBB166_77
; %bb.76:                               ;   in Loop: Header=BB166_3 Depth=1
	v_lshlrev_b64 v[6:7], 2, v[6:7]
	v_mov_b32_e32 v8, s21
	v_add_co_u32_e32 v6, vcc, s20, v6
	v_addc_co_u32_e32 v7, vcc, v8, v7, vcc
	global_load_dword v8, v[6:7], off
.LBB166_77:                             ;   in Loop: Header=BB166_3 Depth=1
	s_or_b64 exec, exec, s[34:35]
.LBB166_78:                             ;   in Loop: Header=BB166_3 Depth=1
	s_or_b64 exec, exec, s[10:11]
	v_mov_b32_e32 v6, 0
	v_mov_b32_e32 v7, 0
	s_and_saveexec_b64 s[10:11], s[2:3]
	s_cbranch_execz .LBB166_80
; %bb.79:                               ;   in Loop: Header=BB166_3 Depth=1
	v_add_co_u32_e32 v6, vcc, v2, v4
	v_addc_co_u32_e32 v7, vcc, v10, v5, vcc
	global_load_ushort v130, v[6:7], off
	v_add_co_u32_e32 v6, vcc, v11, v4
	v_addc_co_u32_e32 v7, vcc, v12, v5, vcc
	global_load_ushort v7, v[6:7], off
	s_waitcnt vmcnt(1)
	v_cvt_f32_f16_e32 v6, v130
	s_waitcnt vmcnt(0)
	v_cvt_f32_f16_e32 v7, v7
.LBB166_80:                             ;   in Loop: Header=BB166_3 Depth=1
	s_or_b64 exec, exec, s[10:11]
	v_mov_b32_e32 v130, 0
	s_and_saveexec_b64 s[10:11], s[2:3]
	s_cbranch_execz .LBB166_82
; %bb.81:                               ;   in Loop: Header=BB166_3 Depth=1
	v_add_co_u32_e32 v140, vcc, v134, v4
	v_addc_co_u32_e32 v141, vcc, v135, v5, vcc
	global_load_ushort v9, v[140:141], off
	v_add_co_u32_e32 v140, vcc, v136, v4
	v_addc_co_u32_e32 v141, vcc, v137, v5, vcc
	global_load_ushort v130, v[140:141], off
	s_waitcnt vmcnt(1)
	v_cvt_f32_f16_e32 v9, v9
	s_waitcnt vmcnt(0)
	v_cvt_f32_f16_e32 v130, v130
.LBB166_82:                             ;   in Loop: Header=BB166_3 Depth=1
	s_or_b64 exec, exec, s[10:11]
	v_mov_b32_e32 v140, 0
	v_mov_b32_e32 v141, 0
	v_mov_b32_e32 v142, 0
	s_and_saveexec_b64 s[10:11], s[2:3]
	s_cbranch_execz .LBB166_84
; %bb.83:                               ;   in Loop: Header=BB166_3 Depth=1
	v_add_co_u32_e32 v141, vcc, v129, v4
	v_addc_co_u32_e32 v142, vcc, v131, v5, vcc
	global_load_ushort v143, v[141:142], off
	v_add_co_u32_e32 v141, vcc, v132, v4
	v_addc_co_u32_e32 v142, vcc, v133, v5, vcc
	global_load_ushort v142, v[141:142], off
	s_waitcnt vmcnt(1)
	v_cvt_f32_f16_e32 v141, v143
	s_waitcnt vmcnt(0)
	v_cvt_f32_f16_e32 v142, v142
.LBB166_84:                             ;   in Loop: Header=BB166_3 Depth=1
	s_or_b64 exec, exec, s[10:11]
	v_mov_b32_e32 v143, 0
	s_and_saveexec_b64 s[10:11], s[2:3]
	s_cbranch_execz .LBB166_86
; %bb.85:                               ;   in Loop: Header=BB166_3 Depth=1
	v_add_co_u32_e32 v143, vcc, v125, v4
	v_addc_co_u32_e32 v144, vcc, v126, v5, vcc
	global_load_ushort v140, v[143:144], off
	v_add_co_u32_e32 v143, vcc, v127, v4
	v_addc_co_u32_e32 v144, vcc, v128, v5, vcc
	global_load_ushort v143, v[143:144], off
	s_waitcnt vmcnt(1)
	v_cvt_f32_f16_e32 v140, v140
	s_waitcnt vmcnt(0)
	v_cvt_f32_f16_e32 v143, v143
.LBB166_86:                             ;   in Loop: Header=BB166_3 Depth=1
	s_or_b64 exec, exec, s[10:11]
	v_mov_b32_e32 v144, 0
	;; [unrolled: 34-line block ×5, first 2 shown]
	v_mov_b32_e32 v157, 0
	v_mov_b32_e32 v158, 0
	s_and_saveexec_b64 s[10:11], s[2:3]
	s_cbranch_execz .LBB166_100
; %bb.99:                               ;   in Loop: Header=BB166_3 Depth=1
	v_add_co_u32_e32 v157, vcc, v97, v4
	v_addc_co_u32_e32 v158, vcc, v98, v5, vcc
	global_load_ushort v159, v[157:158], off
	v_add_co_u32_e32 v157, vcc, v99, v4
	v_addc_co_u32_e32 v158, vcc, v100, v5, vcc
	global_load_ushort v158, v[157:158], off
	s_waitcnt vmcnt(1)
	v_cvt_f32_f16_e32 v157, v159
	s_waitcnt vmcnt(0)
	v_cvt_f32_f16_e32 v158, v158
.LBB166_100:                            ;   in Loop: Header=BB166_3 Depth=1
	s_or_b64 exec, exec, s[10:11]
	v_mov_b32_e32 v159, 0
	s_and_saveexec_b64 s[10:11], s[2:3]
	s_cbranch_execz .LBB166_102
; %bb.101:                              ;   in Loop: Header=BB166_3 Depth=1
	v_add_co_u32_e32 v159, vcc, v93, v4
	v_addc_co_u32_e32 v160, vcc, v94, v5, vcc
	global_load_ushort v156, v[159:160], off
	v_add_co_u32_e32 v159, vcc, v95, v4
	v_addc_co_u32_e32 v160, vcc, v96, v5, vcc
	global_load_ushort v159, v[159:160], off
	s_waitcnt vmcnt(1)
	v_cvt_f32_f16_e32 v156, v156
	s_waitcnt vmcnt(0)
	v_cvt_f32_f16_e32 v159, v159
.LBB166_102:                            ;   in Loop: Header=BB166_3 Depth=1
	s_or_b64 exec, exec, s[10:11]
	v_mov_b32_e32 v160, 0
	v_mov_b32_e32 v161, 0
	v_mov_b32_e32 v162, 0
	s_and_saveexec_b64 s[10:11], s[2:3]
	s_cbranch_execz .LBB166_104
; %bb.103:                              ;   in Loop: Header=BB166_3 Depth=1
	v_add_co_u32_e32 v161, vcc, v89, v4
	v_addc_co_u32_e32 v162, vcc, v90, v5, vcc
	global_load_ushort v163, v[161:162], off
	v_add_co_u32_e32 v161, vcc, v91, v4
	v_addc_co_u32_e32 v162, vcc, v92, v5, vcc
	global_load_ushort v162, v[161:162], off
	s_waitcnt vmcnt(1)
	v_cvt_f32_f16_e32 v161, v163
	s_waitcnt vmcnt(0)
	v_cvt_f32_f16_e32 v162, v162
.LBB166_104:                            ;   in Loop: Header=BB166_3 Depth=1
	s_or_b64 exec, exec, s[10:11]
	v_mov_b32_e32 v163, 0
	s_and_saveexec_b64 s[10:11], s[2:3]
	s_cbranch_execz .LBB166_106
; %bb.105:                              ;   in Loop: Header=BB166_3 Depth=1
	v_add_co_u32_e32 v163, vcc, v85, v4
	v_addc_co_u32_e32 v164, vcc, v86, v5, vcc
	global_load_ushort v160, v[163:164], off
	v_add_co_u32_e32 v163, vcc, v87, v4
	v_addc_co_u32_e32 v164, vcc, v88, v5, vcc
	global_load_ushort v163, v[163:164], off
	s_waitcnt vmcnt(1)
	v_cvt_f32_f16_e32 v160, v160
	s_waitcnt vmcnt(0)
	v_cvt_f32_f16_e32 v163, v163
.LBB166_106:                            ;   in Loop: Header=BB166_3 Depth=1
	s_or_b64 exec, exec, s[10:11]
	v_mov_b32_e32 v164, 0
	v_mov_b32_e32 v165, 0
	v_mov_b32_e32 v166, 0
	s_and_saveexec_b64 s[10:11], s[2:3]
	s_cbranch_execz .LBB166_108
; %bb.107:                              ;   in Loop: Header=BB166_3 Depth=1
	v_add_co_u32_e32 v165, vcc, v81, v4
	v_addc_co_u32_e32 v166, vcc, v82, v5, vcc
	global_load_ushort v167, v[165:166], off
	v_add_co_u32_e32 v165, vcc, v83, v4
	v_addc_co_u32_e32 v166, vcc, v84, v5, vcc
	global_load_ushort v166, v[165:166], off
	s_waitcnt vmcnt(1)
	v_cvt_f32_f16_e32 v165, v167
	s_waitcnt vmcnt(0)
	v_cvt_f32_f16_e32 v166, v166
.LBB166_108:                            ;   in Loop: Header=BB166_3 Depth=1
	;; [unrolled: 34-line block ×10, first 2 shown]
	s_or_b64 exec, exec, s[10:11]
	s_and_saveexec_b64 s[10:11], s[2:3]
	s_cbranch_execz .LBB166_142
; %bb.141:                              ;   in Loop: Header=BB166_3 Depth=1
	v_add_co_u32_e32 v199, vcc, v13, v4
	v_addc_co_u32_e32 v200, vcc, v14, v5, vcc
	global_load_ushort v183, v[199:200], off
	v_add_co_u32_e32 v199, vcc, v15, v4
	v_addc_co_u32_e32 v200, vcc, v16, v5, vcc
	global_load_ushort v199, v[199:200], off
	s_waitcnt vmcnt(1)
	v_cvt_f32_f16_e32 v183, v183
	s_waitcnt vmcnt(0)
	v_cvt_f32_f16_e32 v199, v199
	v_mul_f32_e32 v183, v183, v199
.LBB166_142:                            ;   in Loop: Header=BB166_3 Depth=1
	s_or_b64 exec, exec, s[10:11]
	s_waitcnt vmcnt(0)
	ds_bpermute_b32 v199, v138, v8
	ds_bpermute_b32 v200, v138, v8 offset:4
	v_mul_f32_e32 v6, v6, v7
	v_mul_f32_e32 v7, v9, v130
	ds_bpermute_b32 v9, v138, v8 offset:8
	s_waitcnt lgkmcnt(2)
	v_fmac_f32_e32 v139, v6, v199
	s_waitcnt lgkmcnt(1)
	v_fmac_f32_e32 v139, v7, v200
	ds_bpermute_b32 v6, v138, v8 offset:12
	v_mul_f32_e32 v7, v141, v142
	s_waitcnt lgkmcnt(1)
	v_fmac_f32_e32 v139, v7, v9
	ds_bpermute_b32 v7, v138, v8 offset:16
	v_mul_f32_e32 v9, v140, v143
	;; [unrolled: 4-line block ×26, first 2 shown]
	s_waitcnt lgkmcnt(1)
	v_fmac_f32_e32 v139, v9, v6
	v_mul_f32_e32 v6, v194, v195
	ds_bpermute_b32 v9, v138, v8 offset:116
	s_waitcnt lgkmcnt(1)
	v_fmac_f32_e32 v139, v6, v7
	ds_bpermute_b32 v6, v138, v8 offset:120
	ds_bpermute_b32 v8, v138, v8 offset:124
	v_mul_f32_e32 v7, v193, v196
	s_waitcnt lgkmcnt(2)
	v_fmac_f32_e32 v139, v7, v9
	v_mul_f32_e32 v7, v197, v198
	s_waitcnt lgkmcnt(1)
	v_fmac_f32_e32 v139, v7, v6
	v_mov_b32_e32 v130, v139
.LBB166_143:                            ;   in Loop: Header=BB166_3 Depth=1
	v_mov_b32_e32 v6, s27
	v_add_co_u32_e32 v2, vcc, s26, v2
	v_addc_co_u32_e32 v10, vcc, v10, v6, vcc
	v_add_co_u32_e32 v11, vcc, s26, v11
	v_addc_co_u32_e32 v12, vcc, v12, v6, vcc
	;; [unrolled: 2-line block ×64, first 2 shown]
	s_add_u32 s30, s30, s9
	v_add_co_u32_e32 v204, vcc, s9, v204
	v_mov_b32_e32 v6, s12
	s_addc_u32 s31, s31, 0
	v_addc_co_u32_e32 v203, vcc, 0, v203, vcc
	v_mov_b32_e32 v7, s13
	v_cmp_lt_i64_e32 vcc, s[30:31], v[6:7]
	s_add_u32 s28, s28, s9
	s_waitcnt lgkmcnt(0)
	v_fmac_f32_e32 v130, v183, v8
	s_addc_u32 s29, 0, s29
	s_cbranch_vccz .LBB166_146
; %bb.144:                              ;   in Loop: Header=BB166_3 Depth=1
	v_mov_b32_e32 v139, v130
	s_branch .LBB166_3
.LBB166_145:
                                        ; implicit-def: $vgpr130
	s_load_dwordx2 s[2:3], s[4:5], 0x30
	s_branch .LBB166_147
.LBB166_146:
	s_load_dwordx2 s[2:3], s[4:5], 0x30
	s_cbranch_execnz .LBB166_228
.LBB166_147:
	s_and_b64 vcc, exec, s[0:1]
	v_mov_b32_e32 v130, 0
	s_cbranch_vccnz .LBB166_228
; %bb.148:
	v_mov_b32_e32 v4, 0
	v_mov_b32_e32 v2, v4
	v_lshlrev_b32_e32 v135, 5, v1
	s_load_dword s0, s[4:5], 0x44
	buffer_store_dword v1, off, s[36:39], 0 offset:292 ; 4-byte Folded Spill
	s_nop 0
	buffer_store_dword v2, off, s[36:39], 0 offset:296 ; 4-byte Folded Spill
	s_add_u32 s10, s4, 64
	v_add_co_u32_e32 v167, vcc, s22, v135
	v_add_u32_e32 v3, s7, v0
	s_addc_u32 s11, s5, 0
	s_waitcnt lgkmcnt(0)
	s_lshl_b32 s7, s0, 5
	v_addc_co_u32_e64 v166, s[0:1], 0, 0, vcc
	v_mov_b32_e32 v136, v4
	v_lshlrev_b64 v[4:5], 1, v[3:4]
	v_mul_lo_u32 v2, s15, v167
	v_mul_lo_u32 v3, s14, v166
	v_mad_u64_u32 v[130:131], s[0:1], s14, v167, 0
	v_mov_b32_e32 v6, s17
	s_mul_i32 s0, s15, s7
	v_add3_u32 v131, v131, v3, v2
	v_lshlrev_b64 v[2:3], 1, v[130:131]
	s_mul_hi_u32 s1, s14, s7
	v_add_co_u32_e32 v205, vcc, s16, v2
	v_addc_co_u32_e32 v207, vcc, v6, v3, vcc
	v_add_co_u32_e32 v208, vcc, s18, v2
	v_mov_b32_e32 v2, s19
	v_addc_co_u32_e32 v209, vcc, v2, v3, vcc
	s_add_i32 s1, s1, s0
	s_mul_i32 s0, s14, s7
	s_lshl_b64 s[24:25], s[0:1], 1
	s_lshl_b64 s[0:1], s[22:23], 1
	s_mov_b64 s[26:27], 31
	v_mov_b32_e32 v2, v1
	buffer_store_dword v2, off, s[36:39], 0 offset:284 ; 4-byte Folded Spill
	s_nop 0
	buffer_store_dword v3, off, s[36:39], 0 offset:288 ; 4-byte Folded Spill
	v_lshlrev_b32_e32 v2, 6, v1
	v_add_co_u32_e32 v66, vcc, s0, v2
	v_mov_b32_e32 v2, s1
	v_addc_co_u32_e32 v67, vcc, 0, v2, vcc
	v_add_co_u32_e32 v68, vcc, 2, v66
	v_addc_co_u32_e32 v8, vcc, 0, v67, vcc
	v_add_co_u32_e32 v72, vcc, 4, v66
	;; [unrolled: 2-line block ×30, first 2 shown]
	v_mov_b32_e32 v2, s16
	v_addc_co_u32_e32 v69, vcc, 0, v67, vcc
	v_mov_b32_e32 v3, s17
	v_add_co_u32_e32 v163, vcc, 62, v66
	v_mad_u64_u32 v[6:7], s[0:1], s14, v68, v[2:3]
	v_mul_lo_u32 v70, s14, v8
	v_mad_u64_u32 v[8:9], s[0:1], s14, v72, v[2:3]
	v_mul_lo_u32 v73, s14, v10
	;; [unrolled: 2-line block ×30, first 2 shown]
	v_addc_co_u32_e32 v69, vcc, 0, v67, vcc
	v_mad_u64_u32 v[66:67], s[0:1], s14, v163, v[2:3]
	v_mov_b32_e32 v2, s18
	v_mov_b32_e32 v3, s19
	v_mul_lo_u32 v71, s15, v68
	v_mul_lo_u32 v164, s14, v69
	v_mad_u64_u32 v[68:69], s[0:1], s14, v68, v[2:3]
	v_add3_u32 v7, v71, v7, v70
	v_mul_lo_u32 v74, s15, v72
	v_add3_u32 v69, v71, v69, v70
	v_mad_u64_u32 v[70:71], s[0:1], s14, v72, v[2:3]
	v_add3_u32 v9, v74, v9, v73
	v_mul_lo_u32 v77, s15, v75
	v_add3_u32 v71, v74, v71, v73
	v_mad_u64_u32 v[72:73], s[0:1], s14, v75, v[2:3]
	v_mul_lo_u32 v80, s15, v78
	v_mad_u64_u32 v[74:75], s[0:1], s14, v78, v[2:3]
	v_add3_u32 v11, v77, v11, v76
	v_mul_lo_u32 v83, s15, v81
	v_add3_u32 v73, v77, v73, v76
	v_mad_u64_u32 v[76:77], s[0:1], s14, v81, v[2:3]
	v_add3_u32 v13, v80, v13, v79
	v_mul_lo_u32 v86, s15, v84
	v_add3_u32 v75, v80, v75, v79
	v_mad_u64_u32 v[78:79], s[0:1], s14, v84, v[2:3]
	v_add3_u32 v15, v83, v15, v82
	v_mul_lo_u32 v89, s15, v87
	v_mul_lo_u32 v92, s15, v90
	v_add3_u32 v77, v83, v77, v82
	v_mad_u64_u32 v[80:81], s[0:1], s14, v87, v[2:3]
	v_mad_u64_u32 v[82:83], s[0:1], s14, v90, v[2:3]
	v_add3_u32 v17, v86, v17, v85
	v_mul_lo_u32 v95, s15, v93
	v_add3_u32 v79, v86, v79, v85
	v_mad_u64_u32 v[84:85], s[0:1], s14, v93, v[2:3]
	v_add3_u32 v19, v89, v19, v88
	v_add3_u32 v21, v92, v21, v91
	v_mul_lo_u32 v98, s15, v96
	v_mul_lo_u32 v101, s15, v99
	;; [unrolled: 1-line block ×4, first 2 shown]
	v_add3_u32 v81, v89, v81, v88
	v_add3_u32 v83, v92, v83, v91
	v_mad_u64_u32 v[86:87], s[0:1], s14, v96, v[2:3]
	v_mad_u64_u32 v[88:89], s[0:1], s14, v99, v[2:3]
	;; [unrolled: 1-line block ×4, first 2 shown]
	v_add3_u32 v23, v95, v23, v94
	v_mul_lo_u32 v110, s15, v108
	v_add3_u32 v85, v95, v85, v94
	v_mad_u64_u32 v[94:95], s[0:1], s14, v108, v[2:3]
	v_add3_u32 v25, v98, v25, v97
	v_add3_u32 v27, v101, v27, v100
	;; [unrolled: 1-line block ×4, first 2 shown]
	v_mul_lo_u32 v113, s15, v111
	v_mul_lo_u32 v116, s15, v114
	;; [unrolled: 1-line block ×6, first 2 shown]
	v_add3_u32 v87, v98, v87, v97
	v_add3_u32 v89, v101, v89, v100
	;; [unrolled: 1-line block ×4, first 2 shown]
	v_mad_u64_u32 v[96:97], s[0:1], s14, v111, v[2:3]
	v_mad_u64_u32 v[98:99], s[0:1], s14, v114, v[2:3]
	v_mad_u64_u32 v[100:101], s[0:1], s14, v117, v[2:3]
	v_mad_u64_u32 v[102:103], s[0:1], s14, v120, v[2:3]
	v_mad_u64_u32 v[104:105], s[0:1], s14, v123, v[2:3]
	v_mad_u64_u32 v[106:107], s[0:1], s14, v126, v[2:3]
	v_add3_u32 v33, v110, v33, v109
	v_mul_lo_u32 v133, s15, v129
	v_add3_u32 v95, v110, v95, v109
	v_mad_u64_u32 v[108:109], s[0:1], s14, v129, v[2:3]
	v_add3_u32 v35, v113, v35, v112
	v_add3_u32 v37, v116, v37, v115
	;; [unrolled: 1-line block ×12, first 2 shown]
	v_mad_u64_u32 v[110:111], s[0:1], s14, v134, v[2:3]
	v_mad_u64_u32 v[112:113], s[0:1], s14, v139, v[2:3]
	;; [unrolled: 1-line block ×10, first 2 shown]
	v_add_co_u32_e32 v2, vcc, 31, v167
	v_addc_co_u32_e32 v3, vcc, 0, v166, vcc
	v_add3_u32 v47, v133, v47, v132
	v_add3_u32 v109, v133, v109, v132
	v_mul_lo_u32 v132, s15, v2
	v_mul_lo_u32 v133, s14, v3
	v_mad_u64_u32 v[2:3], s[0:1], s14, v2, 0
	v_mul_lo_u32 v141, s15, v139
	v_mul_lo_u32 v138, s15, v134
	v_add3_u32 v3, v3, v133, v132
	v_lshlrev_b64 v[2:3], 1, v[2:3]
	v_mov_b32_e32 v132, s17
	v_add_co_u32_e32 v210, vcc, s16, v2
	v_addc_co_u32_e32 v211, vcc, v132, v3, vcc
	v_add_co_u32_e32 v212, vcc, s18, v2
	v_mov_b32_e32 v2, s19
	v_addc_co_u32_e32 v213, vcc, v2, v3, vcc
	v_add_co_u32_e32 v2, vcc, 30, v167
	v_addc_co_u32_e32 v3, vcc, 0, v166, vcc
	v_mul_lo_u32 v132, s15, v2
	v_mul_lo_u32 v133, s14, v3
	v_mad_u64_u32 v[2:3], s[0:1], s14, v2, 0
	v_add3_u32 v51, v141, v51, v140
	v_add3_u32 v113, v141, v113, v140
	;; [unrolled: 1-line block ×3, first 2 shown]
	v_lshlrev_b64 v[2:3], 1, v[2:3]
	v_mov_b32_e32 v132, s17
	v_add_co_u32_e32 v214, vcc, s16, v2
	v_addc_co_u32_e32 v215, vcc, v132, v3, vcc
	v_add_co_u32_e32 v216, vcc, s18, v2
	v_mov_b32_e32 v2, s19
	v_addc_co_u32_e32 v217, vcc, v2, v3, vcc
	v_add_co_u32_e32 v2, vcc, 29, v167
	v_addc_co_u32_e32 v3, vcc, 0, v166, vcc
	v_mul_lo_u32 v132, s15, v2
	v_mul_lo_u32 v133, s14, v3
	v_mad_u64_u32 v[2:3], s[0:1], s14, v2, 0
	v_add3_u32 v49, v138, v49, v137
	v_add3_u32 v111, v138, v111, v137
	;; [unrolled: 1-line block ×3, first 2 shown]
	v_lshlrev_b64 v[2:3], 1, v[2:3]
	v_mov_b32_e32 v132, s17
	v_add_co_u32_e32 v218, vcc, s16, v2
	v_addc_co_u32_e32 v219, vcc, v132, v3, vcc
	v_add_co_u32_e32 v220, vcc, s18, v2
	v_mov_b32_e32 v2, s19
	v_addc_co_u32_e32 v221, vcc, v2, v3, vcc
	v_add_co_u32_e32 v2, vcc, 28, v167
	v_addc_co_u32_e32 v3, vcc, 0, v166, vcc
	v_mul_lo_u32 v132, s15, v2
	v_mul_lo_u32 v133, s14, v3
	v_mad_u64_u32 v[2:3], s[0:1], s14, v2, 0
	v_mul_lo_u32 v144, s15, v142
	v_mul_lo_u32 v147, s15, v145
	v_add3_u32 v3, v3, v133, v132
	v_lshlrev_b64 v[2:3], 1, v[2:3]
	v_mov_b32_e32 v132, s17
	v_add_co_u32_e32 v222, vcc, s16, v2
	v_addc_co_u32_e32 v223, vcc, v132, v3, vcc
	v_add_co_u32_e32 v224, vcc, s18, v2
	v_mov_b32_e32 v2, s19
	v_addc_co_u32_e32 v225, vcc, v2, v3, vcc
	v_add_co_u32_e32 v2, vcc, 27, v167
	v_addc_co_u32_e32 v3, vcc, 0, v166, vcc
	v_mul_lo_u32 v132, s15, v2
	v_mul_lo_u32 v133, s14, v3
	v_mad_u64_u32 v[2:3], s[0:1], s14, v2, 0
	v_add3_u32 v53, v144, v53, v143
	v_mul_lo_u32 v150, s15, v148
	v_add3_u32 v3, v3, v133, v132
	v_lshlrev_b64 v[2:3], 1, v[2:3]
	v_mov_b32_e32 v132, s17
	v_add_co_u32_e32 v226, vcc, s16, v2
	v_addc_co_u32_e32 v227, vcc, v132, v3, vcc
	v_add_co_u32_e32 v228, vcc, s18, v2
	v_mov_b32_e32 v2, s19
	v_addc_co_u32_e32 v229, vcc, v2, v3, vcc
	v_add_co_u32_e32 v2, vcc, 26, v167
	v_addc_co_u32_e32 v3, vcc, 0, v166, vcc
	v_mul_lo_u32 v132, s15, v2
	v_mul_lo_u32 v133, s14, v3
	v_mad_u64_u32 v[2:3], s[0:1], s14, v2, 0
	v_mul_lo_u32 v153, s15, v151
	v_mul_lo_u32 v156, s15, v154
	v_add3_u32 v3, v3, v133, v132
	v_lshlrev_b64 v[2:3], 1, v[2:3]
	v_mov_b32_e32 v132, s17
	v_add_co_u32_e32 v230, vcc, s16, v2
	v_addc_co_u32_e32 v231, vcc, v132, v3, vcc
	v_add_co_u32_e32 v232, vcc, s18, v2
	v_mov_b32_e32 v2, s19
	v_addc_co_u32_e32 v233, vcc, v2, v3, vcc
	v_add_co_u32_e32 v2, vcc, 25, v167
	v_addc_co_u32_e32 v3, vcc, 0, v166, vcc
	v_mul_lo_u32 v132, s15, v2
	v_mul_lo_u32 v133, s14, v3
	v_mad_u64_u32 v[2:3], s[0:1], s14, v2, 0
	v_mul_lo_u32 v159, s15, v157
	;; [unrolled: 15-line block ×3, first 2 shown]
	v_add3_u32 v115, v144, v115, v143
	v_add3_u32 v3, v3, v133, v132
	v_lshlrev_b64 v[2:3], 1, v[2:3]
	v_mov_b32_e32 v132, s17
	v_add_co_u32_e32 v238, vcc, s16, v2
	v_addc_co_u32_e32 v239, vcc, v132, v3, vcc
	v_add_co_u32_e32 v240, vcc, s18, v2
	v_mov_b32_e32 v2, s19
	v_addc_co_u32_e32 v241, vcc, v2, v3, vcc
	v_add_co_u32_e32 v2, vcc, 23, v167
	v_addc_co_u32_e32 v3, vcc, 0, v166, vcc
	v_mul_lo_u32 v132, s15, v2
	v_mul_lo_u32 v133, s14, v3
	v_mad_u64_u32 v[2:3], s[0:1], s14, v2, 0
	v_add3_u32 v55, v147, v55, v146
	v_add3_u32 v57, v150, v57, v149
	v_add3_u32 v3, v3, v133, v132
	v_lshlrev_b64 v[2:3], 1, v[2:3]
	v_mov_b32_e32 v132, s17
	v_add_co_u32_e32 v242, vcc, s16, v2
	v_addc_co_u32_e32 v243, vcc, v132, v3, vcc
	v_add_co_u32_e32 v244, vcc, s18, v2
	v_mov_b32_e32 v2, s19
	v_addc_co_u32_e32 v245, vcc, v2, v3, vcc
	v_add_co_u32_e32 v2, vcc, 22, v167
	v_addc_co_u32_e32 v3, vcc, 0, v166, vcc
	v_mul_lo_u32 v132, s15, v2
	v_mul_lo_u32 v133, s14, v3
	v_mad_u64_u32 v[2:3], s[0:1], s14, v2, 0
	v_add3_u32 v59, v153, v59, v152
	;; [unrolled: 15-line block ×5, first 2 shown]
	v_add3_u32 v121, v153, v121, v152
	v_add3_u32 v3, v3, v133, v132
	v_lshlrev_b64 v[2:3], 1, v[2:3]
	v_mov_b32_e32 v132, s17
	v_add_co_u32_e32 v206, vcc, s16, v2
	v_addc_co_u32_e32 v137, vcc, v132, v3, vcc
	v_add_co_u32_e32 v1, vcc, s18, v2
	v_mov_b32_e32 v2, s19
	buffer_store_dword v1, off, s[36:39], 0 ; 4-byte Folded Spill
	v_addc_co_u32_e32 v1, vcc, v2, v3, vcc
	v_add_co_u32_e32 v2, vcc, 18, v167
	v_addc_co_u32_e32 v3, vcc, 0, v166, vcc
	v_mul_lo_u32 v132, s15, v2
	v_mul_lo_u32 v133, s14, v3
	v_mad_u64_u32 v[2:3], s[0:1], s14, v2, 0
	buffer_store_dword v1, off, s[36:39], 0 offset:4 ; 4-byte Folded Spill
	v_add3_u32 v123, v156, v123, v155
	v_add3_u32 v3, v3, v133, v132
	v_lshlrev_b64 v[2:3], 1, v[2:3]
	v_mov_b32_e32 v132, s17
	v_add_co_u32_e32 v1, vcc, s16, v2
	buffer_store_dword v1, off, s[36:39], 0 offset:8 ; 4-byte Folded Spill
	v_addc_co_u32_e32 v1, vcc, v132, v3, vcc
	buffer_store_dword v1, off, s[36:39], 0 offset:12 ; 4-byte Folded Spill
	v_add_co_u32_e32 v1, vcc, s18, v2
	v_mov_b32_e32 v2, s19
	buffer_store_dword v1, off, s[36:39], 0 offset:16 ; 4-byte Folded Spill
	v_addc_co_u32_e32 v1, vcc, v2, v3, vcc
	v_add_co_u32_e32 v2, vcc, 17, v167
	v_addc_co_u32_e32 v3, vcc, 0, v166, vcc
	v_mul_lo_u32 v132, s15, v2
	v_mul_lo_u32 v133, s14, v3
	v_mad_u64_u32 v[2:3], s[0:1], s14, v2, 0
	buffer_store_dword v1, off, s[36:39], 0 offset:20 ; 4-byte Folded Spill
	v_add3_u32 v125, v159, v125, v158
	v_add3_u32 v3, v3, v133, v132
	v_lshlrev_b64 v[2:3], 1, v[2:3]
	v_mov_b32_e32 v132, s17
	v_add_co_u32_e32 v1, vcc, s16, v2
	buffer_store_dword v1, off, s[36:39], 0 offset:24 ; 4-byte Folded Spill
	v_addc_co_u32_e32 v1, vcc, v132, v3, vcc
	buffer_store_dword v1, off, s[36:39], 0 offset:28 ; 4-byte Folded Spill
	v_add_co_u32_e32 v1, vcc, s18, v2
	v_mov_b32_e32 v2, s19
	buffer_store_dword v1, off, s[36:39], 0 offset:32 ; 4-byte Folded Spill
	;; [unrolled: 18-line block ×4, first 2 shown]
	v_addc_co_u32_e32 v1, vcc, v2, v3, vcc
	v_add_co_u32_e32 v2, vcc, 14, v167
	v_addc_co_u32_e32 v3, vcc, 0, v166, vcc
	v_mul_lo_u32 v132, s15, v2
	v_mul_lo_u32 v133, s14, v3
	v_mad_u64_u32 v[2:3], s[0:1], s14, v2, 0
	buffer_store_dword v1, off, s[36:39], 0 offset:68 ; 4-byte Folded Spill
	v_mov_b32_e32 v146, 0
	v_add3_u32 v3, v3, v133, v132
	v_lshlrev_b64 v[2:3], 1, v[2:3]
	v_mov_b32_e32 v132, s17
	v_add_co_u32_e32 v1, vcc, s16, v2
	buffer_store_dword v1, off, s[36:39], 0 offset:72 ; 4-byte Folded Spill
	v_addc_co_u32_e32 v1, vcc, v132, v3, vcc
	buffer_store_dword v1, off, s[36:39], 0 offset:76 ; 4-byte Folded Spill
	v_add_co_u32_e32 v1, vcc, s18, v2
	v_mov_b32_e32 v2, s19
	buffer_store_dword v1, off, s[36:39], 0 offset:80 ; 4-byte Folded Spill
	v_addc_co_u32_e32 v1, vcc, v2, v3, vcc
	v_add_co_u32_e32 v2, vcc, 13, v167
	v_addc_co_u32_e32 v3, vcc, 0, v166, vcc
	v_mul_lo_u32 v132, s15, v2
	v_mul_lo_u32 v133, s14, v3
	v_mad_u64_u32 v[2:3], s[0:1], s14, v2, 0
	buffer_store_dword v1, off, s[36:39], 0 offset:84 ; 4-byte Folded Spill
	v_add3_u32 v3, v3, v133, v132
	v_lshlrev_b64 v[2:3], 1, v[2:3]
	v_mov_b32_e32 v132, s17
	v_add_co_u32_e32 v1, vcc, s16, v2
	buffer_store_dword v1, off, s[36:39], 0 offset:88 ; 4-byte Folded Spill
	v_addc_co_u32_e32 v1, vcc, v132, v3, vcc
	buffer_store_dword v1, off, s[36:39], 0 offset:92 ; 4-byte Folded Spill
	v_add_co_u32_e32 v1, vcc, s18, v2
	v_mov_b32_e32 v2, s19
	buffer_store_dword v1, off, s[36:39], 0 offset:96 ; 4-byte Folded Spill
	v_addc_co_u32_e32 v1, vcc, v2, v3, vcc
	v_add_co_u32_e32 v2, vcc, 12, v167
	v_addc_co_u32_e32 v3, vcc, 0, v166, vcc
	v_mul_lo_u32 v132, s15, v2
	v_mul_lo_u32 v133, s14, v3
	v_mad_u64_u32 v[2:3], s[0:1], s14, v2, 0
	buffer_store_dword v1, off, s[36:39], 0 offset:100 ; 4-byte Folded Spill
	;; [unrolled: 17-line block ×11, first 2 shown]
	v_add3_u32 v3, v3, v133, v132
	v_lshlrev_b64 v[2:3], 1, v[2:3]
	v_mov_b32_e32 v132, s17
	v_add_co_u32_e32 v1, vcc, s16, v2
	buffer_store_dword v1, off, s[36:39], 0 offset:248 ; 4-byte Folded Spill
	v_addc_co_u32_e32 v1, vcc, v132, v3, vcc
	buffer_store_dword v1, off, s[36:39], 0 offset:252 ; 4-byte Folded Spill
	v_add_co_u32_e32 v1, vcc, s18, v2
	v_mov_b32_e32 v2, s19
	buffer_store_dword v1, off, s[36:39], 0 offset:256 ; 4-byte Folded Spill
	v_addc_co_u32_e32 v1, vcc, v2, v3, vcc
	v_add_co_u32_e32 v132, vcc, 2, v167
	buffer_store_dword v1, off, s[36:39], 0 offset:260 ; 4-byte Folded Spill
	v_addc_co_u32_e32 v1, vcc, 0, v166, vcc
	v_mul_lo_u32 v2, s15, v132
	v_mul_lo_u32 v3, s14, v1
	v_mad_u64_u32 v[132:133], s[0:1], s14, v132, 0
	v_mov_b32_e32 v1, v137
	v_add3_u32 v133, v133, v3, v2
	v_lshlrev_b64 v[132:133], 1, v[132:133]
	v_mov_b32_e32 v3, v134
	v_add_co_u32_e32 v2, vcc, s16, v132
	buffer_store_dword v2, off, s[36:39], 0 offset:264 ; 4-byte Folded Spill
	v_mov_b32_e32 v2, s17
	v_addc_co_u32_e32 v2, vcc, v2, v133, vcc
	buffer_store_dword v2, off, s[36:39], 0 offset:268 ; 4-byte Folded Spill
	v_add_co_u32_e32 v2, vcc, s18, v132
	buffer_store_dword v2, off, s[36:39], 0 offset:272 ; 4-byte Folded Spill
	v_mov_b32_e32 v2, s19
	v_addc_co_u32_e32 v2, vcc, v2, v133, vcc
	buffer_store_dword v2, off, s[36:39], 0 offset:276 ; 4-byte Folded Spill
	v_add_co_u32_e32 v130, vcc, s14, v130
	v_mov_b32_e32 v2, s15
	v_addc_co_u32_e32 v131, vcc, v131, v2, vcc
	v_lshlrev_b64 v[130:131], 1, v[130:131]
	v_mov_b32_e32 v2, s17
	v_add_co_u32_e32 v141, vcc, s16, v130
	v_addc_co_u32_e32 v142, vcc, v2, v131, vcc
	v_add_co_u32_e32 v143, vcc, s18, v130
	v_mov_b32_e32 v2, s19
	v_addc_co_u32_e32 v144, vcc, v2, v131, vcc
	v_mbcnt_lo_u32_b32 v2, -1, 0
	v_mbcnt_hi_u32_b32 v2, -1, v2
	v_lshlrev_b32_e32 v2, 2, v2
	v_and_b32_e32 v145, 0x100, v2
	s_mov_b64 s[16:17], s[22:23]
.LBB166_149:                            ; =>This Inner Loop Header: Depth=1
	s_add_u32 s0, s22, s26
	v_mov_b32_e32 v131, s13
	s_addc_u32 s1, 0, s27
	v_mov_b32_e32 v130, s12
	v_cmp_ge_i64_e32 vcc, s[0:1], v[130:131]
	v_add_co_u32_e64 v131, s[0:1], s22, v135
	v_addc_co_u32_e64 v132, s[0:1], 0, v136, s[0:1]
	s_mov_b64 s[0:1], -1
                                        ; implicit-def: $vgpr130
	s_cbranch_vccz .LBB166_219
; %bb.150:                              ;   in Loop: Header=BB166_149 Depth=1
	v_mov_b32_e32 v2, 0
	buffer_store_dword v2, off, s[36:39], 0 offset:280 ; 4-byte Folded Spill
	s_load_dword s0, s[10:11], 0xc
	buffer_load_dword v133, off, s[36:39], 0 offset:284 ; 4-byte Folded Reload
	buffer_load_dword v134, off, s[36:39], 0 offset:288 ; 4-byte Folded Reload
	v_mov_b32_e32 v147, 0
	s_waitcnt lgkmcnt(0)
	s_and_b32 s0, s0, 0xffff
	s_waitcnt vmcnt(1)
	v_mad_u32_u24 v2, v133, s0, v0
	v_and_b32_e32 v2, 63, v2
	v_cmp_gt_u32_e32 vcc, 32, v2
	s_and_saveexec_b64 s[0:1], vcc
	s_cbranch_execz .LBB166_154
; %bb.151:                              ;   in Loop: Header=BB166_149 Depth=1
	v_add_co_u32_e32 v133, vcc, v131, v2
	s_waitcnt vmcnt(0)
	v_addc_co_u32_e32 v134, vcc, 0, v132, vcc
	v_cmp_gt_i64_e32 vcc, s[12:13], v[133:134]
	v_mov_b32_e32 v147, 0
	s_and_saveexec_b64 s[18:19], vcc
	s_cbranch_execz .LBB166_153
; %bb.152:                              ;   in Loop: Header=BB166_149 Depth=1
	v_lshlrev_b64 v[133:134], 2, v[133:134]
	v_mov_b32_e32 v2, s21
	v_add_co_u32_e32 v133, vcc, s20, v133
	v_addc_co_u32_e32 v134, vcc, v2, v134, vcc
	global_load_dword v147, v[133:134], off
.LBB166_153:                            ;   in Loop: Header=BB166_149 Depth=1
	s_or_b64 exec, exec, s[18:19]
.LBB166_154:                            ;   in Loop: Header=BB166_149 Depth=1
	s_or_b64 exec, exec, s[0:1]
	v_cmp_gt_i64_e32 vcc, s[12:13], v[131:132]
	v_mov_b32_e32 v133, 0
	s_and_saveexec_b64 s[0:1], vcc
	s_cbranch_execz .LBB166_156
; %bb.155:                              ;   in Loop: Header=BB166_149 Depth=1
	v_add_co_u32_e32 v133, vcc, v205, v4
	s_waitcnt vmcnt(0)
	v_addc_co_u32_e32 v134, vcc, v207, v5, vcc
	global_load_ushort v2, v[133:134], off
	v_add_co_u32_e32 v133, vcc, v208, v4
	v_addc_co_u32_e32 v134, vcc, v209, v5, vcc
	global_load_ushort v133, v[133:134], off
	s_waitcnt vmcnt(1)
	v_cvt_f32_f16_e32 v2, v2
	buffer_store_dword v2, off, s[36:39], 0 offset:280 ; 4-byte Folded Spill
	s_waitcnt vmcnt(1)
	v_cvt_f32_f16_e32 v133, v133
.LBB166_156:                            ;   in Loop: Header=BB166_149 Depth=1
	s_or_b64 exec, exec, s[0:1]
	v_add_co_u32_e32 v137, vcc, 1, v131
	v_addc_co_u32_e32 v138, vcc, 0, v132, vcc
	v_cmp_gt_i64_e32 vcc, s[12:13], v[137:138]
	s_waitcnt vmcnt(0)
	v_mov_b32_e32 v134, 0
	v_mov_b32_e32 v148, 0
	v_mov_b32_e32 v149, 0
	s_and_saveexec_b64 s[0:1], vcc
	s_cbranch_execz .LBB166_158
; %bb.157:                              ;   in Loop: Header=BB166_149 Depth=1
	v_add_co_u32_e32 v137, vcc, v141, v4
	v_addc_co_u32_e32 v138, vcc, v142, v5, vcc
	global_load_ushort v2, v[137:138], off
	v_add_co_u32_e32 v137, vcc, v143, v4
	v_addc_co_u32_e32 v138, vcc, v144, v5, vcc
	global_load_ushort v137, v[137:138], off
	s_waitcnt vmcnt(1)
	v_cvt_f32_f16_e32 v148, v2
	s_waitcnt vmcnt(0)
	v_cvt_f32_f16_e32 v149, v137
.LBB166_158:                            ;   in Loop: Header=BB166_149 Depth=1
	s_or_b64 exec, exec, s[0:1]
	v_add_co_u32_e32 v137, vcc, 2, v131
	v_addc_co_u32_e32 v138, vcc, 0, v132, vcc
	v_cmp_gt_i64_e32 vcc, s[12:13], v[137:138]
	v_mov_b32_e32 v151, 0
	s_and_saveexec_b64 s[0:1], vcc
	s_cbranch_execz .LBB166_160
; %bb.159:                              ;   in Loop: Header=BB166_149 Depth=1
	buffer_load_dword v2, off, s[36:39], 0 offset:264 ; 4-byte Folded Reload
	buffer_load_dword v130, off, s[36:39], 0 offset:272 ; 4-byte Folded Reload
	s_waitcnt vmcnt(1)
	v_add_co_u32_e32 v137, vcc, v2, v4
	buffer_load_dword v2, off, s[36:39], 0 offset:268 ; 4-byte Folded Reload
	s_waitcnt vmcnt(0)
	v_addc_co_u32_e32 v138, vcc, v2, v5, vcc
	global_load_ushort v2, v[137:138], off
	v_add_co_u32_e32 v137, vcc, v130, v4
	buffer_load_dword v130, off, s[36:39], 0 offset:276 ; 4-byte Folded Reload
	s_waitcnt vmcnt(1)
	v_cvt_f32_f16_e32 v134, v2
	s_waitcnt vmcnt(0)
	v_addc_co_u32_e32 v138, vcc, v130, v5, vcc
	global_load_ushort v137, v[137:138], off
	s_waitcnt vmcnt(0)
	v_cvt_f32_f16_e32 v151, v137
.LBB166_160:                            ;   in Loop: Header=BB166_149 Depth=1
	s_or_b64 exec, exec, s[0:1]
	v_add_co_u32_e32 v137, vcc, 3, v131
	v_addc_co_u32_e32 v138, vcc, 0, v132, vcc
	v_cmp_gt_i64_e32 vcc, s[12:13], v[137:138]
	v_mov_b32_e32 v150, 0
	v_mov_b32_e32 v152, 0
	v_mov_b32_e32 v153, 0
	s_and_saveexec_b64 s[0:1], vcc
	s_cbranch_execz .LBB166_162
; %bb.161:                              ;   in Loop: Header=BB166_149 Depth=1
	buffer_load_dword v2, off, s[36:39], 0 offset:248 ; 4-byte Folded Reload
	buffer_load_dword v130, off, s[36:39], 0 offset:256 ; 4-byte Folded Reload
	s_waitcnt vmcnt(1)
	v_add_co_u32_e32 v137, vcc, v2, v4
	buffer_load_dword v2, off, s[36:39], 0 offset:252 ; 4-byte Folded Reload
	s_waitcnt vmcnt(0)
	v_addc_co_u32_e32 v138, vcc, v2, v5, vcc
	global_load_ushort v2, v[137:138], off
	v_add_co_u32_e32 v137, vcc, v130, v4
	buffer_load_dword v130, off, s[36:39], 0 offset:260 ; 4-byte Folded Reload
	s_waitcnt vmcnt(1)
	v_cvt_f32_f16_e32 v152, v2
	s_waitcnt vmcnt(0)
	v_addc_co_u32_e32 v138, vcc, v130, v5, vcc
	global_load_ushort v137, v[137:138], off
	s_waitcnt vmcnt(0)
	v_cvt_f32_f16_e32 v153, v137
.LBB166_162:                            ;   in Loop: Header=BB166_149 Depth=1
	s_or_b64 exec, exec, s[0:1]
	v_add_co_u32_e32 v137, vcc, 4, v131
	v_addc_co_u32_e32 v138, vcc, 0, v132, vcc
	v_cmp_gt_i64_e32 vcc, s[12:13], v[137:138]
	v_mov_b32_e32 v155, 0
	s_and_saveexec_b64 s[0:1], vcc
	s_cbranch_execz .LBB166_164
; %bb.163:                              ;   in Loop: Header=BB166_149 Depth=1
	buffer_load_dword v2, off, s[36:39], 0 offset:232 ; 4-byte Folded Reload
	buffer_load_dword v130, off, s[36:39], 0 offset:240 ; 4-byte Folded Reload
	s_waitcnt vmcnt(1)
	v_add_co_u32_e32 v137, vcc, v2, v4
	buffer_load_dword v2, off, s[36:39], 0 offset:236 ; 4-byte Folded Reload
	s_waitcnt vmcnt(0)
	v_addc_co_u32_e32 v138, vcc, v2, v5, vcc
	global_load_ushort v2, v[137:138], off
	v_add_co_u32_e32 v137, vcc, v130, v4
	buffer_load_dword v130, off, s[36:39], 0 offset:244 ; 4-byte Folded Reload
	s_waitcnt vmcnt(1)
	v_cvt_f32_f16_e32 v150, v2
	s_waitcnt vmcnt(0)
	v_addc_co_u32_e32 v138, vcc, v130, v5, vcc
	global_load_ushort v137, v[137:138], off
	s_waitcnt vmcnt(0)
	v_cvt_f32_f16_e32 v155, v137
.LBB166_164:                            ;   in Loop: Header=BB166_149 Depth=1
	s_or_b64 exec, exec, s[0:1]
	v_add_co_u32_e32 v137, vcc, 5, v131
	v_addc_co_u32_e32 v138, vcc, 0, v132, vcc
	v_cmp_gt_i64_e32 vcc, s[12:13], v[137:138]
	v_mov_b32_e32 v154, 0
	v_mov_b32_e32 v156, 0
	v_mov_b32_e32 v157, 0
	s_and_saveexec_b64 s[0:1], vcc
	s_cbranch_execz .LBB166_166
; %bb.165:                              ;   in Loop: Header=BB166_149 Depth=1
	buffer_load_dword v2, off, s[36:39], 0 offset:216 ; 4-byte Folded Reload
	buffer_load_dword v130, off, s[36:39], 0 offset:224 ; 4-byte Folded Reload
	s_waitcnt vmcnt(1)
	v_add_co_u32_e32 v137, vcc, v2, v4
	buffer_load_dword v2, off, s[36:39], 0 offset:220 ; 4-byte Folded Reload
	s_waitcnt vmcnt(0)
	v_addc_co_u32_e32 v138, vcc, v2, v5, vcc
	global_load_ushort v2, v[137:138], off
	v_add_co_u32_e32 v137, vcc, v130, v4
	buffer_load_dword v130, off, s[36:39], 0 offset:228 ; 4-byte Folded Reload
	s_waitcnt vmcnt(1)
	v_cvt_f32_f16_e32 v156, v2
	s_waitcnt vmcnt(0)
	v_addc_co_u32_e32 v138, vcc, v130, v5, vcc
	global_load_ushort v137, v[137:138], off
	s_waitcnt vmcnt(0)
	v_cvt_f32_f16_e32 v157, v137
.LBB166_166:                            ;   in Loop: Header=BB166_149 Depth=1
	s_or_b64 exec, exec, s[0:1]
	v_add_co_u32_e32 v137, vcc, 6, v131
	v_addc_co_u32_e32 v138, vcc, 0, v132, vcc
	v_cmp_gt_i64_e32 vcc, s[12:13], v[137:138]
	v_mov_b32_e32 v159, 0
	s_and_saveexec_b64 s[0:1], vcc
	s_cbranch_execz .LBB166_168
; %bb.167:                              ;   in Loop: Header=BB166_149 Depth=1
	buffer_load_dword v2, off, s[36:39], 0 offset:200 ; 4-byte Folded Reload
	buffer_load_dword v130, off, s[36:39], 0 offset:208 ; 4-byte Folded Reload
	s_waitcnt vmcnt(1)
	v_add_co_u32_e32 v137, vcc, v2, v4
	buffer_load_dword v2, off, s[36:39], 0 offset:204 ; 4-byte Folded Reload
	s_waitcnt vmcnt(0)
	v_addc_co_u32_e32 v138, vcc, v2, v5, vcc
	global_load_ushort v2, v[137:138], off
	v_add_co_u32_e32 v137, vcc, v130, v4
	buffer_load_dword v130, off, s[36:39], 0 offset:212 ; 4-byte Folded Reload
	s_waitcnt vmcnt(1)
	v_cvt_f32_f16_e32 v154, v2
	s_waitcnt vmcnt(0)
	v_addc_co_u32_e32 v138, vcc, v130, v5, vcc
	global_load_ushort v137, v[137:138], off
	s_waitcnt vmcnt(0)
	v_cvt_f32_f16_e32 v159, v137
.LBB166_168:                            ;   in Loop: Header=BB166_149 Depth=1
	s_or_b64 exec, exec, s[0:1]
	v_add_co_u32_e32 v137, vcc, 7, v131
	v_addc_co_u32_e32 v138, vcc, 0, v132, vcc
	v_cmp_gt_i64_e32 vcc, s[12:13], v[137:138]
	v_mov_b32_e32 v158, 0
	v_mov_b32_e32 v160, 0
	v_mov_b32_e32 v161, 0
	s_and_saveexec_b64 s[0:1], vcc
	s_cbranch_execz .LBB166_170
; %bb.169:                              ;   in Loop: Header=BB166_149 Depth=1
	buffer_load_dword v2, off, s[36:39], 0 offset:184 ; 4-byte Folded Reload
	buffer_load_dword v130, off, s[36:39], 0 offset:192 ; 4-byte Folded Reload
	s_waitcnt vmcnt(1)
	v_add_co_u32_e32 v137, vcc, v2, v4
	buffer_load_dword v2, off, s[36:39], 0 offset:188 ; 4-byte Folded Reload
	s_waitcnt vmcnt(0)
	v_addc_co_u32_e32 v138, vcc, v2, v5, vcc
	global_load_ushort v2, v[137:138], off
	v_add_co_u32_e32 v137, vcc, v130, v4
	buffer_load_dword v130, off, s[36:39], 0 offset:196 ; 4-byte Folded Reload
	s_waitcnt vmcnt(1)
	v_cvt_f32_f16_e32 v160, v2
	s_waitcnt vmcnt(0)
	v_addc_co_u32_e32 v138, vcc, v130, v5, vcc
	global_load_ushort v137, v[137:138], off
	s_waitcnt vmcnt(0)
	v_cvt_f32_f16_e32 v161, v137
.LBB166_170:                            ;   in Loop: Header=BB166_149 Depth=1
	s_or_b64 exec, exec, s[0:1]
	v_add_co_u32_e32 v137, vcc, 8, v131
	v_addc_co_u32_e32 v138, vcc, 0, v132, vcc
	v_cmp_gt_i64_e32 vcc, s[12:13], v[137:138]
	v_mov_b32_e32 v163, 0
	s_and_saveexec_b64 s[0:1], vcc
	s_cbranch_execz .LBB166_172
; %bb.171:                              ;   in Loop: Header=BB166_149 Depth=1
	buffer_load_dword v2, off, s[36:39], 0 offset:168 ; 4-byte Folded Reload
	buffer_load_dword v130, off, s[36:39], 0 offset:176 ; 4-byte Folded Reload
	s_waitcnt vmcnt(1)
	v_add_co_u32_e32 v137, vcc, v2, v4
	buffer_load_dword v2, off, s[36:39], 0 offset:172 ; 4-byte Folded Reload
	s_waitcnt vmcnt(0)
	v_addc_co_u32_e32 v138, vcc, v2, v5, vcc
	global_load_ushort v2, v[137:138], off
	v_add_co_u32_e32 v137, vcc, v130, v4
	buffer_load_dword v130, off, s[36:39], 0 offset:180 ; 4-byte Folded Reload
	s_waitcnt vmcnt(1)
	v_cvt_f32_f16_e32 v158, v2
	s_waitcnt vmcnt(0)
	v_addc_co_u32_e32 v138, vcc, v130, v5, vcc
	global_load_ushort v137, v[137:138], off
	s_waitcnt vmcnt(0)
	v_cvt_f32_f16_e32 v163, v137
.LBB166_172:                            ;   in Loop: Header=BB166_149 Depth=1
	s_or_b64 exec, exec, s[0:1]
	v_add_co_u32_e32 v137, vcc, 9, v131
	v_addc_co_u32_e32 v138, vcc, 0, v132, vcc
	v_cmp_gt_i64_e32 vcc, s[12:13], v[137:138]
	v_mov_b32_e32 v162, 0
	v_mov_b32_e32 v164, 0
	v_mov_b32_e32 v165, 0
	s_and_saveexec_b64 s[0:1], vcc
	s_cbranch_execz .LBB166_174
; %bb.173:                              ;   in Loop: Header=BB166_149 Depth=1
	buffer_load_dword v2, off, s[36:39], 0 offset:152 ; 4-byte Folded Reload
	buffer_load_dword v130, off, s[36:39], 0 offset:160 ; 4-byte Folded Reload
	s_waitcnt vmcnt(1)
	v_add_co_u32_e32 v137, vcc, v2, v4
	buffer_load_dword v2, off, s[36:39], 0 offset:156 ; 4-byte Folded Reload
	s_waitcnt vmcnt(0)
	v_addc_co_u32_e32 v138, vcc, v2, v5, vcc
	global_load_ushort v2, v[137:138], off
	v_add_co_u32_e32 v137, vcc, v130, v4
	buffer_load_dword v130, off, s[36:39], 0 offset:164 ; 4-byte Folded Reload
	s_waitcnt vmcnt(1)
	v_cvt_f32_f16_e32 v164, v2
	s_waitcnt vmcnt(0)
	v_addc_co_u32_e32 v138, vcc, v130, v5, vcc
	global_load_ushort v137, v[137:138], off
	s_waitcnt vmcnt(0)
	v_cvt_f32_f16_e32 v165, v137
.LBB166_174:                            ;   in Loop: Header=BB166_149 Depth=1
	s_or_b64 exec, exec, s[0:1]
	v_add_co_u32_e32 v137, vcc, 10, v131
	v_addc_co_u32_e32 v138, vcc, 0, v132, vcc
	v_cmp_gt_i64_e32 vcc, s[12:13], v[137:138]
	v_mov_b32_e32 v167, 0
	s_and_saveexec_b64 s[0:1], vcc
	s_cbranch_execz .LBB166_176
; %bb.175:                              ;   in Loop: Header=BB166_149 Depth=1
	buffer_load_dword v2, off, s[36:39], 0 offset:136 ; 4-byte Folded Reload
	buffer_load_dword v130, off, s[36:39], 0 offset:144 ; 4-byte Folded Reload
	s_waitcnt vmcnt(1)
	v_add_co_u32_e32 v137, vcc, v2, v4
	buffer_load_dword v2, off, s[36:39], 0 offset:140 ; 4-byte Folded Reload
	s_waitcnt vmcnt(0)
	v_addc_co_u32_e32 v138, vcc, v2, v5, vcc
	global_load_ushort v2, v[137:138], off
	v_add_co_u32_e32 v137, vcc, v130, v4
	buffer_load_dword v130, off, s[36:39], 0 offset:148 ; 4-byte Folded Reload
	s_waitcnt vmcnt(1)
	v_cvt_f32_f16_e32 v162, v2
	s_waitcnt vmcnt(0)
	v_addc_co_u32_e32 v138, vcc, v130, v5, vcc
	global_load_ushort v137, v[137:138], off
	s_waitcnt vmcnt(0)
	v_cvt_f32_f16_e32 v167, v137
.LBB166_176:                            ;   in Loop: Header=BB166_149 Depth=1
	s_or_b64 exec, exec, s[0:1]
	v_add_co_u32_e32 v137, vcc, 11, v131
	v_addc_co_u32_e32 v138, vcc, 0, v132, vcc
	v_cmp_gt_i64_e32 vcc, s[12:13], v[137:138]
	v_mov_b32_e32 v166, 0
	v_mov_b32_e32 v2, 0
	v_mov_b32_e32 v137, 0
	s_and_saveexec_b64 s[0:1], vcc
	s_cbranch_execz .LBB166_178
; %bb.177:                              ;   in Loop: Header=BB166_149 Depth=1
	buffer_load_dword v2, off, s[36:39], 0 offset:120 ; 4-byte Folded Reload
	buffer_load_dword v130, off, s[36:39], 0 offset:128 ; 4-byte Folded Reload
	s_waitcnt vmcnt(1)
	v_add_co_u32_e32 v137, vcc, v2, v4
	buffer_load_dword v2, off, s[36:39], 0 offset:124 ; 4-byte Folded Reload
	s_waitcnt vmcnt(0)
	v_addc_co_u32_e32 v138, vcc, v2, v5, vcc
	global_load_ushort v2, v[137:138], off
	v_add_co_u32_e32 v137, vcc, v130, v4
	buffer_load_dword v130, off, s[36:39], 0 offset:132 ; 4-byte Folded Reload
	s_waitcnt vmcnt(1)
	v_cvt_f32_f16_e32 v2, v2
	s_waitcnt vmcnt(0)
	v_addc_co_u32_e32 v138, vcc, v130, v5, vcc
	global_load_ushort v137, v[137:138], off
	s_waitcnt vmcnt(0)
	v_cvt_f32_f16_e32 v137, v137
.LBB166_178:                            ;   in Loop: Header=BB166_149 Depth=1
	s_or_b64 exec, exec, s[0:1]
	v_add_co_u32_e32 v138, vcc, 12, v131
	v_addc_co_u32_e32 v139, vcc, 0, v132, vcc
	v_cmp_gt_i64_e32 vcc, s[12:13], v[138:139]
	v_mov_b32_e32 v138, 0
	s_and_saveexec_b64 s[0:1], vcc
	s_cbranch_execz .LBB166_180
; %bb.179:                              ;   in Loop: Header=BB166_149 Depth=1
	buffer_load_dword v130, off, s[36:39], 0 offset:104 ; 4-byte Folded Reload
	s_waitcnt vmcnt(0)
	v_add_co_u32_e32 v138, vcc, v130, v4
	buffer_load_dword v130, off, s[36:39], 0 offset:108 ; 4-byte Folded Reload
	s_waitcnt vmcnt(0)
	v_addc_co_u32_e32 v139, vcc, v130, v5, vcc
	buffer_load_dword v130, off, s[36:39], 0 offset:112 ; 4-byte Folded Reload
	global_load_ushort v166, v[138:139], off
	s_waitcnt vmcnt(1)
	v_add_co_u32_e32 v138, vcc, v130, v4
	buffer_load_dword v130, off, s[36:39], 0 offset:116 ; 4-byte Folded Reload
	s_waitcnt vmcnt(1)
	v_cvt_f32_f16_e32 v166, v166
	s_waitcnt vmcnt(0)
	v_addc_co_u32_e32 v139, vcc, v130, v5, vcc
	global_load_ushort v138, v[138:139], off
	s_waitcnt vmcnt(0)
	v_cvt_f32_f16_e32 v138, v138
.LBB166_180:                            ;   in Loop: Header=BB166_149 Depth=1
	s_or_b64 exec, exec, s[0:1]
	v_add_co_u32_e32 v168, vcc, 13, v131
	v_addc_co_u32_e32 v169, vcc, 0, v132, vcc
	v_cmp_gt_i64_e32 vcc, s[12:13], v[168:169]
	v_mov_b32_e32 v168, 0
	v_mov_b32_e32 v169, 0
	v_mov_b32_e32 v170, 0
	s_and_saveexec_b64 s[0:1], vcc
	s_cbranch_execz .LBB166_182
; %bb.181:                              ;   in Loop: Header=BB166_149 Depth=1
	buffer_load_dword v130, off, s[36:39], 0 offset:88 ; 4-byte Folded Reload
	s_waitcnt vmcnt(0)
	v_add_co_u32_e32 v169, vcc, v130, v4
	buffer_load_dword v130, off, s[36:39], 0 offset:92 ; 4-byte Folded Reload
	s_waitcnt vmcnt(0)
	v_addc_co_u32_e32 v170, vcc, v130, v5, vcc
	buffer_load_dword v130, off, s[36:39], 0 offset:96 ; 4-byte Folded Reload
	global_load_ushort v139, v[169:170], off
	s_waitcnt vmcnt(1)
	v_add_co_u32_e32 v169, vcc, v130, v4
	buffer_load_dword v130, off, s[36:39], 0 offset:100 ; 4-byte Folded Reload
	s_waitcnt vmcnt(0)
	v_addc_co_u32_e32 v170, vcc, v130, v5, vcc
	global_load_ushort v170, v[169:170], off
	v_cvt_f32_f16_e32 v169, v139
	s_waitcnt vmcnt(0)
	v_cvt_f32_f16_e32 v170, v170
.LBB166_182:                            ;   in Loop: Header=BB166_149 Depth=1
	s_or_b64 exec, exec, s[0:1]
	v_add_co_u32_e32 v171, vcc, 14, v131
	v_addc_co_u32_e32 v172, vcc, 0, v132, vcc
	v_cmp_gt_i64_e32 vcc, s[12:13], v[171:172]
	v_mov_b32_e32 v172, 0
	s_and_saveexec_b64 s[0:1], vcc
	s_cbranch_execz .LBB166_184
; %bb.183:                              ;   in Loop: Header=BB166_149 Depth=1
	buffer_load_dword v130, off, s[36:39], 0 offset:72 ; 4-byte Folded Reload
	s_waitcnt vmcnt(0)
	v_add_co_u32_e32 v171, vcc, v130, v4
	buffer_load_dword v130, off, s[36:39], 0 offset:76 ; 4-byte Folded Reload
	s_waitcnt vmcnt(0)
	v_addc_co_u32_e32 v172, vcc, v130, v5, vcc
	buffer_load_dword v130, off, s[36:39], 0 offset:80 ; 4-byte Folded Reload
	global_load_ushort v139, v[171:172], off
	s_waitcnt vmcnt(1)
	v_add_co_u32_e32 v171, vcc, v130, v4
	buffer_load_dword v130, off, s[36:39], 0 offset:84 ; 4-byte Folded Reload
	s_waitcnt vmcnt(1)
	v_cvt_f32_f16_e32 v168, v139
	s_waitcnt vmcnt(0)
	v_addc_co_u32_e32 v172, vcc, v130, v5, vcc
	global_load_ushort v171, v[171:172], off
	s_waitcnt vmcnt(0)
	v_cvt_f32_f16_e32 v172, v171
.LBB166_184:                            ;   in Loop: Header=BB166_149 Depth=1
	s_or_b64 exec, exec, s[0:1]
	v_add_co_u32_e32 v173, vcc, 15, v131
	v_addc_co_u32_e32 v174, vcc, 0, v132, vcc
	v_cmp_gt_i64_e32 vcc, s[12:13], v[173:174]
	v_mov_b32_e32 v171, 0
	v_mov_b32_e32 v173, 0
	v_mov_b32_e32 v139, 0
	s_and_saveexec_b64 s[0:1], vcc
	s_cbranch_execz .LBB166_186
; %bb.185:                              ;   in Loop: Header=BB166_149 Depth=1
	buffer_load_dword v130, off, s[36:39], 0 offset:56 ; 4-byte Folded Reload
	s_waitcnt vmcnt(0)
	v_add_co_u32_e32 v173, vcc, v130, v4
	buffer_load_dword v130, off, s[36:39], 0 offset:60 ; 4-byte Folded Reload
	s_waitcnt vmcnt(0)
	v_addc_co_u32_e32 v174, vcc, v130, v5, vcc
	buffer_load_dword v130, off, s[36:39], 0 offset:64 ; 4-byte Folded Reload
	global_load_ushort v139, v[173:174], off
	s_waitcnt vmcnt(1)
	v_add_co_u32_e32 v173, vcc, v130, v4
	buffer_load_dword v130, off, s[36:39], 0 offset:68 ; 4-byte Folded Reload
	s_waitcnt vmcnt(0)
	v_addc_co_u32_e32 v174, vcc, v130, v5, vcc
	global_load_ushort v174, v[173:174], off
	v_cvt_f32_f16_e32 v173, v139
	s_waitcnt vmcnt(0)
	v_cvt_f32_f16_e32 v139, v174
.LBB166_186:                            ;   in Loop: Header=BB166_149 Depth=1
	;; [unrolled: 55-line block ×3, first 2 shown]
	s_or_b64 exec, exec, s[0:1]
	v_add_co_u32_e32 v178, vcc, 18, v131
	v_addc_co_u32_e32 v179, vcc, 0, v132, vcc
	v_cmp_gt_i64_e32 vcc, s[12:13], v[178:179]
	v_mov_b32_e32 v179, 0
	s_and_saveexec_b64 s[0:1], vcc
	s_cbranch_execz .LBB166_192
; %bb.191:                              ;   in Loop: Header=BB166_149 Depth=1
	buffer_load_dword v130, off, s[36:39], 0 offset:8 ; 4-byte Folded Reload
	s_waitcnt vmcnt(0)
	v_add_co_u32_e32 v178, vcc, v130, v4
	buffer_load_dword v130, off, s[36:39], 0 offset:12 ; 4-byte Folded Reload
	s_waitcnt vmcnt(0)
	v_addc_co_u32_e32 v179, vcc, v130, v5, vcc
	buffer_load_dword v130, off, s[36:39], 0 offset:16 ; 4-byte Folded Reload
	global_load_ushort v174, v[178:179], off
	s_waitcnt vmcnt(1)
	v_add_co_u32_e32 v178, vcc, v130, v4
	buffer_load_dword v130, off, s[36:39], 0 offset:20 ; 4-byte Folded Reload
	s_waitcnt vmcnt(1)
	v_cvt_f32_f16_e32 v174, v174
	s_waitcnt vmcnt(0)
	v_addc_co_u32_e32 v179, vcc, v130, v5, vcc
	global_load_ushort v178, v[178:179], off
	s_waitcnt vmcnt(0)
	v_cvt_f32_f16_e32 v179, v178
.LBB166_192:                            ;   in Loop: Header=BB166_149 Depth=1
	s_or_b64 exec, exec, s[0:1]
	v_add_co_u32_e32 v180, vcc, 19, v131
	v_addc_co_u32_e32 v181, vcc, 0, v132, vcc
	v_cmp_gt_i64_e32 vcc, s[12:13], v[180:181]
	v_mov_b32_e32 v178, 0
	v_mov_b32_e32 v180, 0
	;; [unrolled: 1-line block ×3, first 2 shown]
	s_and_saveexec_b64 s[0:1], vcc
	s_cbranch_execz .LBB166_194
; %bb.193:                              ;   in Loop: Header=BB166_149 Depth=1
	buffer_load_dword v130, off, s[36:39], 0 ; 4-byte Folded Reload
	v_add_co_u32_e32 v180, vcc, v206, v4
	v_addc_co_u32_e32 v181, vcc, v1, v5, vcc
	global_load_ushort v182, v[180:181], off
	s_waitcnt vmcnt(1)
	v_add_co_u32_e32 v180, vcc, v130, v4
	buffer_load_dword v130, off, s[36:39], 0 offset:4 ; 4-byte Folded Reload
	s_waitcnt vmcnt(0)
	v_addc_co_u32_e32 v181, vcc, v130, v5, vcc
	global_load_ushort v181, v[180:181], off
	v_cvt_f32_f16_e32 v180, v182
	s_waitcnt vmcnt(0)
	v_cvt_f32_f16_e32 v181, v181
.LBB166_194:                            ;   in Loop: Header=BB166_149 Depth=1
	s_or_b64 exec, exec, s[0:1]
	v_add_co_u32_e32 v182, vcc, 20, v131
	v_addc_co_u32_e32 v183, vcc, 0, v132, vcc
	v_cmp_gt_i64_e32 vcc, s[12:13], v[182:183]
	v_mov_b32_e32 v183, 0
	s_and_saveexec_b64 s[0:1], vcc
	s_cbranch_execz .LBB166_196
; %bb.195:                              ;   in Loop: Header=BB166_149 Depth=1
	v_add_co_u32_e32 v182, vcc, v254, v4
	v_addc_co_u32_e32 v183, vcc, v255, v5, vcc
	global_load_ushort v178, v[182:183], off
	v_add_co_u32_e32 v182, vcc, v3, v4
	v_addc_co_u32_e32 v183, vcc, v140, v5, vcc
	global_load_ushort v182, v[182:183], off
	s_waitcnt vmcnt(1)
	v_cvt_f32_f16_e32 v178, v178
	s_waitcnt vmcnt(0)
	v_cvt_f32_f16_e32 v183, v182
.LBB166_196:                            ;   in Loop: Header=BB166_149 Depth=1
	s_or_b64 exec, exec, s[0:1]
	v_add_co_u32_e32 v184, vcc, 21, v131
	v_addc_co_u32_e32 v185, vcc, 0, v132, vcc
	v_cmp_gt_i64_e32 vcc, s[12:13], v[184:185]
	v_mov_b32_e32 v182, 0
	v_mov_b32_e32 v184, 0
	v_mov_b32_e32 v185, 0
	s_and_saveexec_b64 s[0:1], vcc
	s_cbranch_execz .LBB166_198
; %bb.197:                              ;   in Loop: Header=BB166_149 Depth=1
	v_add_co_u32_e32 v184, vcc, v250, v4
	v_addc_co_u32_e32 v185, vcc, v251, v5, vcc
	global_load_ushort v186, v[184:185], off
	v_add_co_u32_e32 v184, vcc, v252, v4
	v_addc_co_u32_e32 v185, vcc, v253, v5, vcc
	global_load_ushort v185, v[184:185], off
	s_waitcnt vmcnt(1)
	v_cvt_f32_f16_e32 v184, v186
	s_waitcnt vmcnt(0)
	v_cvt_f32_f16_e32 v185, v185
.LBB166_198:                            ;   in Loop: Header=BB166_149 Depth=1
	s_or_b64 exec, exec, s[0:1]
	v_add_co_u32_e32 v186, vcc, 22, v131
	v_addc_co_u32_e32 v187, vcc, 0, v132, vcc
	v_cmp_gt_i64_e32 vcc, s[12:13], v[186:187]
	v_mov_b32_e32 v187, 0
	s_and_saveexec_b64 s[0:1], vcc
	s_cbranch_execz .LBB166_200
; %bb.199:                              ;   in Loop: Header=BB166_149 Depth=1
	v_add_co_u32_e32 v186, vcc, v246, v4
	v_addc_co_u32_e32 v187, vcc, v247, v5, vcc
	global_load_ushort v182, v[186:187], off
	v_add_co_u32_e32 v186, vcc, v248, v4
	v_addc_co_u32_e32 v187, vcc, v249, v5, vcc
	global_load_ushort v186, v[186:187], off
	s_waitcnt vmcnt(1)
	v_cvt_f32_f16_e32 v182, v182
	s_waitcnt vmcnt(0)
	v_cvt_f32_f16_e32 v187, v186
.LBB166_200:                            ;   in Loop: Header=BB166_149 Depth=1
	s_or_b64 exec, exec, s[0:1]
	v_add_co_u32_e32 v188, vcc, 23, v131
	v_addc_co_u32_e32 v189, vcc, 0, v132, vcc
	v_cmp_gt_i64_e32 vcc, s[12:13], v[188:189]
	v_mov_b32_e32 v186, 0
	v_mov_b32_e32 v188, 0
	v_mov_b32_e32 v189, 0
	s_and_saveexec_b64 s[0:1], vcc
	s_cbranch_execz .LBB166_202
; %bb.201:                              ;   in Loop: Header=BB166_149 Depth=1
	v_add_co_u32_e32 v188, vcc, v242, v4
	v_addc_co_u32_e32 v189, vcc, v243, v5, vcc
	global_load_ushort v190, v[188:189], off
	v_add_co_u32_e32 v188, vcc, v244, v4
	v_addc_co_u32_e32 v189, vcc, v245, v5, vcc
	global_load_ushort v189, v[188:189], off
	s_waitcnt vmcnt(1)
	v_cvt_f32_f16_e32 v188, v190
	s_waitcnt vmcnt(0)
	v_cvt_f32_f16_e32 v189, v189
.LBB166_202:                            ;   in Loop: Header=BB166_149 Depth=1
	;; [unrolled: 40-line block ×5, first 2 shown]
	s_or_b64 exec, exec, s[0:1]
	v_add_co_u32_e32 v202, vcc, 30, v131
	v_addc_co_u32_e32 v203, vcc, 0, v132, vcc
	v_cmp_gt_i64_e32 vcc, s[12:13], v[202:203]
	v_mov_b32_e32 v202, 0
	s_and_saveexec_b64 s[0:1], vcc
	s_cbranch_execz .LBB166_216
; %bb.215:                              ;   in Loop: Header=BB166_149 Depth=1
	v_add_co_u32_e32 v202, vcc, v214, v4
	v_addc_co_u32_e32 v203, vcc, v215, v5, vcc
	global_load_ushort v199, v[202:203], off
	v_add_co_u32_e32 v202, vcc, v216, v4
	v_addc_co_u32_e32 v203, vcc, v217, v5, vcc
	global_load_ushort v202, v[202:203], off
	s_waitcnt vmcnt(1)
	v_cvt_f32_f16_e32 v199, v199
	s_waitcnt vmcnt(0)
	v_cvt_f32_f16_e32 v202, v202
.LBB166_216:                            ;   in Loop: Header=BB166_149 Depth=1
	s_or_b64 exec, exec, s[0:1]
	v_add_co_u32_e32 v203, vcc, 31, v131
	v_addc_co_u32_e32 v204, vcc, 0, v132, vcc
	v_cmp_gt_i64_e32 vcc, s[12:13], v[203:204]
	v_mov_b32_e32 v203, 0
	s_and_saveexec_b64 s[0:1], vcc
	s_cbranch_execz .LBB166_218
; %bb.217:                              ;   in Loop: Header=BB166_149 Depth=1
	v_add_co_u32_e32 v203, vcc, v210, v4
	v_addc_co_u32_e32 v204, vcc, v211, v5, vcc
	v_mov_b32_e32 v130, v1
	v_mov_b32_e32 v1, v206
	;; [unrolled: 1-line block ×51, first 2 shown]
	global_load_ushort v205, v[203:204], off
	v_add_co_u32_e32 v203, vcc, v212, v4
	v_addc_co_u32_e32 v204, vcc, v213, v5, vcc
	global_load_ushort v203, v[203:204], off
	s_waitcnt vmcnt(1)
	v_cvt_f32_f16_e32 v204, v205
	v_mov_b32_e32 v205, v207
	v_mov_b32_e32 v207, v208
	;; [unrolled: 1-line block ×4, first 2 shown]
	s_waitcnt vmcnt(0)
	v_cvt_f32_f16_e32 v203, v203
	v_mov_b32_e32 v210, v211
	v_mov_b32_e32 v211, v217
	;; [unrolled: 1-line block ×47, first 2 shown]
	v_mul_f32_e32 v203, v204, v203
.LBB166_218:                            ;   in Loop: Header=BB166_149 Depth=1
	s_or_b64 exec, exec, s[0:1]
	buffer_load_dword v130, off, s[36:39], 0 offset:280 ; 4-byte Folded Reload
	ds_bpermute_b32 v204, v145, v147
	v_mul_f32_e32 v148, v148, v149
	v_mul_f32_e32 v134, v134, v151
	;; [unrolled: 1-line block ×3, first 2 shown]
	s_mov_b64 s[0:1], 0
	s_waitcnt vmcnt(0)
	v_mul_f32_e32 v130, v130, v133
	ds_bpermute_b32 v133, v145, v147 offset:4
	s_waitcnt lgkmcnt(1)
	v_fma_f32 v130, v130, v204, v146
	s_waitcnt lgkmcnt(0)
	v_fmac_f32_e32 v130, v148, v133
	ds_bpermute_b32 v133, v145, v147 offset:8
	s_waitcnt lgkmcnt(0)
	v_fmac_f32_e32 v130, v134, v133
	ds_bpermute_b32 v133, v145, v147 offset:12
	v_mul_f32_e32 v134, v152, v153
	s_waitcnt lgkmcnt(0)
	v_fmac_f32_e32 v130, v134, v133
	ds_bpermute_b32 v133, v145, v147 offset:16
	v_mul_f32_e32 v134, v150, v155
	s_waitcnt lgkmcnt(0)
	v_fmac_f32_e32 v130, v134, v133
	ds_bpermute_b32 v133, v145, v147 offset:20
	v_mul_f32_e32 v134, v156, v157
	s_waitcnt lgkmcnt(0)
	v_fmac_f32_e32 v130, v134, v133
	ds_bpermute_b32 v133, v145, v147 offset:24
	v_mul_f32_e32 v134, v154, v159
	s_waitcnt lgkmcnt(0)
	v_fmac_f32_e32 v130, v134, v133
	ds_bpermute_b32 v133, v145, v147 offset:28
	v_mul_f32_e32 v134, v160, v161
	s_waitcnt lgkmcnt(0)
	v_fmac_f32_e32 v130, v134, v133
	ds_bpermute_b32 v133, v145, v147 offset:32
	v_mul_f32_e32 v134, v158, v163
	s_waitcnt lgkmcnt(0)
	v_fmac_f32_e32 v130, v134, v133
	ds_bpermute_b32 v133, v145, v147 offset:36
	v_mul_f32_e32 v134, v164, v165
	s_waitcnt lgkmcnt(0)
	v_fmac_f32_e32 v130, v134, v133
	ds_bpermute_b32 v133, v145, v147 offset:40
	v_mul_f32_e32 v134, v162, v167
	s_waitcnt lgkmcnt(0)
	v_fmac_f32_e32 v130, v134, v133
	ds_bpermute_b32 v133, v145, v147 offset:44
	s_waitcnt lgkmcnt(0)
	v_fmac_f32_e32 v130, v2, v133
	ds_bpermute_b32 v2, v145, v147 offset:48
	v_mul_f32_e32 v133, v166, v138
	s_waitcnt lgkmcnt(0)
	v_fmac_f32_e32 v130, v133, v2
	ds_bpermute_b32 v2, v145, v147 offset:52
	v_mul_f32_e32 v133, v169, v170
	s_waitcnt lgkmcnt(0)
	v_fmac_f32_e32 v130, v133, v2
	ds_bpermute_b32 v2, v145, v147 offset:56
	v_mul_f32_e32 v133, v168, v172
	s_waitcnt lgkmcnt(0)
	v_fmac_f32_e32 v130, v133, v2
	ds_bpermute_b32 v2, v145, v147 offset:60
	v_mul_f32_e32 v133, v173, v139
	s_waitcnt lgkmcnt(0)
	v_fmac_f32_e32 v130, v133, v2
	ds_bpermute_b32 v2, v145, v147 offset:64
	v_mul_f32_e32 v133, v171, v175
	s_waitcnt lgkmcnt(0)
	v_fmac_f32_e32 v130, v133, v2
	ds_bpermute_b32 v2, v145, v147 offset:68
	v_mul_f32_e32 v133, v176, v177
	s_waitcnt lgkmcnt(0)
	v_fmac_f32_e32 v130, v133, v2
	ds_bpermute_b32 v2, v145, v147 offset:72
	v_mul_f32_e32 v133, v174, v179
	s_waitcnt lgkmcnt(0)
	v_fmac_f32_e32 v130, v133, v2
	ds_bpermute_b32 v2, v145, v147 offset:76
	v_mul_f32_e32 v133, v180, v181
	s_waitcnt lgkmcnt(0)
	v_fmac_f32_e32 v130, v133, v2
	ds_bpermute_b32 v2, v145, v147 offset:80
	v_mul_f32_e32 v133, v178, v183
	s_waitcnt lgkmcnt(0)
	v_fmac_f32_e32 v130, v133, v2
	ds_bpermute_b32 v2, v145, v147 offset:84
	v_mul_f32_e32 v133, v184, v185
	s_waitcnt lgkmcnt(0)
	v_fmac_f32_e32 v130, v133, v2
	ds_bpermute_b32 v2, v145, v147 offset:88
	v_mul_f32_e32 v133, v182, v187
	s_waitcnt lgkmcnt(0)
	v_fmac_f32_e32 v130, v133, v2
	ds_bpermute_b32 v2, v145, v147 offset:92
	v_mul_f32_e32 v133, v188, v189
	s_waitcnt lgkmcnt(0)
	v_fmac_f32_e32 v130, v133, v2
	ds_bpermute_b32 v2, v145, v147 offset:96
	v_mul_f32_e32 v133, v186, v191
	s_waitcnt lgkmcnt(0)
	v_fmac_f32_e32 v130, v133, v2
	ds_bpermute_b32 v2, v145, v147 offset:100
	v_mul_f32_e32 v133, v192, v193
	s_waitcnt lgkmcnt(0)
	v_fmac_f32_e32 v130, v133, v2
	ds_bpermute_b32 v2, v145, v147 offset:104
	v_mul_f32_e32 v133, v190, v195
	s_waitcnt lgkmcnt(0)
	v_fmac_f32_e32 v130, v133, v2
	ds_bpermute_b32 v2, v145, v147 offset:108
	v_mul_f32_e32 v133, v196, v197
	s_waitcnt lgkmcnt(0)
	v_fmac_f32_e32 v130, v133, v2
	ds_bpermute_b32 v2, v145, v147 offset:112
	v_mul_f32_e32 v133, v194, v198
	s_waitcnt lgkmcnt(0)
	v_fmac_f32_e32 v130, v133, v2
	ds_bpermute_b32 v2, v145, v147 offset:116
	v_mul_f32_e32 v133, v200, v201
	s_waitcnt lgkmcnt(0)
	v_fmac_f32_e32 v130, v133, v2
	ds_bpermute_b32 v2, v145, v147 offset:120
	v_mul_f32_e32 v133, v199, v202
	s_waitcnt lgkmcnt(0)
	v_fmac_f32_e32 v130, v133, v2
	ds_bpermute_b32 v2, v145, v147 offset:124
	s_waitcnt lgkmcnt(0)
	v_fmac_f32_e32 v130, v203, v2
.LBB166_219:                            ;   in Loop: Header=BB166_149 Depth=1
	s_and_b64 vcc, exec, s[0:1]
	s_cbranch_vccz .LBB166_225
; %bb.220:                              ;   in Loop: Header=BB166_149 Depth=1
	s_load_dword s0, s[10:11], 0x0
	buffer_load_dword v133, off, s[36:39], 0 offset:292 ; 4-byte Folded Reload
	buffer_load_dword v134, off, s[36:39], 0 offset:296 ; 4-byte Folded Reload
	s_waitcnt lgkmcnt(0)
	s_cmp_lt_u32 s6, s0
	s_cselect_b32 s0, 12, 18
	s_add_u32 s0, s10, s0
	s_addc_u32 s1, s11, 0
	s_waitcnt vmcnt(0)
	global_load_ushort v2, v134, s[0:1]
	s_nop 0
	buffer_load_dword v133, off, s[36:39], 0 offset:284 ; 4-byte Folded Reload
	buffer_load_dword v134, off, s[36:39], 0 offset:288 ; 4-byte Folded Reload
	s_waitcnt vmcnt(1)
	v_mad_u32_u24 v2, v133, v2, v0
	v_and_b32_e32 v2, 63, v2
	v_cmp_gt_u32_e32 vcc, 32, v2
	v_mov_b32_e32 v133, 0
	s_and_saveexec_b64 s[0:1], vcc
	s_cbranch_execz .LBB166_224
; %bb.221:                              ;   in Loop: Header=BB166_149 Depth=1
	v_add_co_u32_e32 v130, vcc, v131, v2
	v_addc_co_u32_e32 v131, vcc, 0, v132, vcc
	v_cmp_gt_i64_e32 vcc, s[12:13], v[130:131]
	v_mov_b32_e32 v133, 0
	s_and_saveexec_b64 s[18:19], vcc
	s_cbranch_execz .LBB166_223
; %bb.222:                              ;   in Loop: Header=BB166_149 Depth=1
	v_lshlrev_b64 v[130:131], 2, v[130:131]
	v_mov_b32_e32 v2, s21
	v_add_co_u32_e32 v130, vcc, s20, v130
	v_addc_co_u32_e32 v131, vcc, v2, v131, vcc
	global_load_dword v133, v[130:131], off
.LBB166_223:                            ;   in Loop: Header=BB166_149 Depth=1
	s_or_b64 exec, exec, s[18:19]
.LBB166_224:                            ;   in Loop: Header=BB166_149 Depth=1
	s_or_b64 exec, exec, s[0:1]
	v_add_co_u32_e32 v130, vcc, v205, v4
	v_addc_co_u32_e32 v131, vcc, v207, v5, vcc
	global_load_ushort v2, v[130:131], off
	v_add_co_u32_e32 v130, vcc, v208, v4
	v_addc_co_u32_e32 v131, vcc, v209, v5, vcc
	global_load_ushort v130, v[130:131], off
	s_waitcnt vmcnt(1)
	v_cvt_f32_f16_e32 v2, v2
	s_waitcnt vmcnt(0)
	v_cvt_f32_f16_e32 v137, v130
	v_add_co_u32_e32 v130, vcc, v6, v4
	v_addc_co_u32_e32 v131, vcc, v7, v5, vcc
	global_load_ushort v130, v[130:131], off
	v_add_co_u32_e32 v131, vcc, v68, v4
	v_addc_co_u32_e32 v132, vcc, v69, v5, vcc
	global_load_ushort v131, v[131:132], off
	v_mul_f32_e32 v2, v2, v137
	s_waitcnt vmcnt(1)
	v_cvt_f32_f16_e32 v130, v130
	s_waitcnt vmcnt(0)
	v_cvt_f32_f16_e32 v139, v131
	v_add_co_u32_e32 v131, vcc, v8, v4
	v_addc_co_u32_e32 v132, vcc, v9, v5, vcc
	v_add_co_u32_e32 v147, vcc, v70, v4
	v_addc_co_u32_e32 v148, vcc, v71, v5, vcc
	global_load_ushort v131, v[131:132], off
	v_add_co_u32_e32 v149, vcc, v10, v4
	global_load_ushort v132, v[147:148], off
	v_addc_co_u32_e32 v150, vcc, v11, v5, vcc
	v_mul_f32_e32 v130, v130, v139
	s_waitcnt vmcnt(1)
	v_cvt_f32_f16_e32 v131, v131
	s_waitcnt vmcnt(0)
	v_cvt_f32_f16_e32 v148, v132
	global_load_ushort v132, v[149:150], off
	v_add_co_u32_e32 v149, vcc, v72, v4
	v_addc_co_u32_e32 v150, vcc, v73, v5, vcc
	global_load_ushort v134, v[149:150], off
	v_add_co_u32_e32 v151, vcc, v12, v4
	v_addc_co_u32_e32 v152, vcc, v13, v5, vcc
	s_waitcnt vmcnt(1)
	v_cvt_f32_f16_e32 v132, v132
	s_waitcnt vmcnt(0)
	v_cvt_f32_f16_e32 v150, v134
	global_load_ushort v134, v[151:152], off
	v_add_co_u32_e32 v151, vcc, v74, v4
	v_addc_co_u32_e32 v152, vcc, v75, v5, vcc
	global_load_ushort v138, v[151:152], off
	v_add_co_u32_e32 v153, vcc, v14, v4
	v_addc_co_u32_e32 v154, vcc, v15, v5, vcc
	;; [unrolled: 10-line block ×21, first 2 shown]
	s_waitcnt vmcnt(1)
	v_cvt_f32_f16_e32 v181, v181
	s_waitcnt vmcnt(0)
	v_cvt_f32_f16_e32 v191, v183
	global_load_ushort v183, v[185:186], off
	v_add_co_u32_e32 v185, vcc, v114, v4
	v_addc_co_u32_e32 v186, vcc, v115, v5, vcc
	global_load_ushort v185, v[185:186], off
	s_waitcnt vmcnt(1)
	v_cvt_f32_f16_e32 v183, v183
	s_waitcnt vmcnt(0)
	v_cvt_f32_f16_e32 v192, v185
	v_add_co_u32_e32 v185, vcc, v54, v4
	v_addc_co_u32_e32 v186, vcc, v55, v5, vcc
	v_add_co_u32_e32 v193, vcc, v116, v4
	v_addc_co_u32_e32 v194, vcc, v117, v5, vcc
	global_load_ushort v185, v[185:186], off
	s_waitcnt vmcnt(0)
	v_cvt_f32_f16_e32 v185, v185
	global_load_ushort v186, v[193:194], off
	v_add_co_u32_e32 v194, vcc, v56, v4
	v_addc_co_u32_e32 v195, vcc, v57, v5, vcc
	s_waitcnt vmcnt(0)
	v_cvt_f32_f16_e32 v193, v186
	global_load_ushort v186, v[194:195], off
	v_add_co_u32_e32 v194, vcc, v118, v4
	v_addc_co_u32_e32 v195, vcc, v119, v5, vcc
	v_add_co_u32_e32 v196, vcc, v58, v4
	v_addc_co_u32_e32 v197, vcc, v59, v5, vcc
	s_waitcnt vmcnt(0)
	v_cvt_f32_f16_e32 v188, v186
	global_load_ushort v186, v[194:195], off
	s_waitcnt vmcnt(0)
	v_cvt_f32_f16_e32 v195, v186
	global_load_ushort v186, v[196:197], off
	v_add_co_u32_e32 v196, vcc, v120, v4
	v_addc_co_u32_e32 v197, vcc, v121, v5, vcc
	s_waitcnt vmcnt(0)
	v_cvt_f32_f16_e32 v190, v186
	global_load_ushort v186, v[196:197], off
	v_add_co_u32_e32 v196, vcc, v60, v4
	v_addc_co_u32_e32 v197, vcc, v61, v5, vcc
	;; [unrolled: 5-line block ×3, first 2 shown]
	global_load_ushort v194, v[196:197], off
	v_add_co_u32_e32 v196, vcc, v62, v4
	v_addc_co_u32_e32 v197, vcc, v63, v5, vcc
	v_add_co_u32_e32 v199, vcc, v124, v4
	v_addc_co_u32_e32 v200, vcc, v125, v5, vcc
	global_load_ushort v196, v[196:197], off
	v_add_co_u32_e32 v201, vcc, v64, v4
	global_load_ushort v197, v[199:200], off
	v_addc_co_u32_e32 v202, vcc, v65, v5, vcc
	s_waitcnt vmcnt(3)
	v_cvt_f32_f16_e32 v186, v186
	s_waitcnt vmcnt(2)
	v_cvt_f32_f16_e32 v194, v194
	;; [unrolled: 2-line block ×4, first 2 shown]
	global_load_ushort v197, v[201:202], off
	v_add_co_u32_e32 v201, vcc, v126, v4
	v_addc_co_u32_e32 v202, vcc, v127, v5, vcc
	v_add_co_u32_e32 v203, vcc, v66, v4
	v_addc_co_u32_e32 v204, vcc, v67, v5, vcc
	s_waitcnt vmcnt(0)
	v_cvt_f32_f16_e32 v199, v197
	global_load_ushort v197, v[201:202], off
	s_waitcnt vmcnt(0)
	v_cvt_f32_f16_e32 v202, v197
	global_load_ushort v197, v[203:204], off
	v_add_co_u32_e32 v203, vcc, v128, v4
	v_addc_co_u32_e32 v204, vcc, v129, v5, vcc
	global_load_ushort v201, v[203:204], off
	ds_bpermute_b32 v203, v145, v133
	s_waitcnt lgkmcnt(0)
	v_fmac_f32_e32 v146, v2, v203
	ds_bpermute_b32 v2, v145, v133 offset:4
	s_waitcnt lgkmcnt(0)
	v_fmac_f32_e32 v146, v130, v2
	ds_bpermute_b32 v2, v145, v133 offset:8
	v_mul_f32_e32 v130, v131, v148
	s_waitcnt lgkmcnt(0)
	v_fmac_f32_e32 v146, v130, v2
	ds_bpermute_b32 v2, v145, v133 offset:12
	v_mul_f32_e32 v130, v132, v150
	;; [unrolled: 4-line block ×11, first 2 shown]
	s_waitcnt vmcnt(1)
	v_cvt_f32_f16_e32 v197, v197
	s_waitcnt lgkmcnt(0)
	v_fmac_f32_e32 v146, v130, v2
	ds_bpermute_b32 v2, v145, v133 offset:52
	v_mul_f32_e32 v130, v161, v170
	s_waitcnt vmcnt(0)
	v_cvt_f32_f16_e32 v201, v201
	s_waitcnt lgkmcnt(0)
	v_fmac_f32_e32 v146, v130, v2
	ds_bpermute_b32 v2, v145, v133 offset:56
	v_mul_f32_e32 v130, v163, v172
	s_waitcnt lgkmcnt(0)
	v_fmac_f32_e32 v146, v130, v2
	ds_bpermute_b32 v2, v145, v133 offset:60
	v_mul_f32_e32 v130, v165, v174
	;; [unrolled: 4-line block ×18, first 2 shown]
	s_waitcnt lgkmcnt(0)
	v_fmac_f32_e32 v146, v130, v2
	v_mov_b32_e32 v130, v146
.LBB166_225:                            ;   in Loop: Header=BB166_149 Depth=1
	v_add_co_u32_e32 v205, vcc, s24, v205
	v_mov_b32_e32 v2, s25
	v_addc_co_u32_e32 v207, vcc, v207, v2, vcc
	v_add_co_u32_e32 v208, vcc, s24, v208
	v_addc_co_u32_e32 v209, vcc, v209, v2, vcc
	v_add_co_u32_e32 v135, vcc, s7, v135
	;; [unrolled: 2-line block ×50, first 2 shown]
	buffer_load_dword v131, off, s[36:39], 0 ; 4-byte Folded Reload
	v_addc_co_u32_e32 v101, vcc, v101, v2, vcc
	v_add_co_u32_e32 v102, vcc, s24, v102
	v_addc_co_u32_e32 v103, vcc, v103, v2, vcc
	v_add_co_u32_e32 v104, vcc, s24, v104
	;; [unrolled: 2-line block ×39, first 2 shown]
	v_addc_co_u32_e32 v1, vcc, v1, v2, vcc
	s_waitcnt vmcnt(0)
	v_add_co_u32_e32 v131, vcc, s24, v131
	buffer_store_dword v131, off, s[36:39], 0 ; 4-byte Folded Spill
	buffer_load_dword v131, off, s[36:39], 0 offset:4 ; 4-byte Folded Reload
	s_add_u32 s16, s16, s7
	s_addc_u32 s17, s17, 0
	s_add_u32 s26, s26, s7
	s_addc_u32 s27, 0, s27
	s_waitcnt vmcnt(0)
	v_addc_co_u32_e32 v131, vcc, v131, v2, vcc
	buffer_store_dword v131, off, s[36:39], 0 offset:4 ; 4-byte Folded Spill
	buffer_load_dword v131, off, s[36:39], 0 offset:8 ; 4-byte Folded Reload
	s_waitcnt vmcnt(0)
	v_add_co_u32_e32 v131, vcc, s24, v131
	buffer_store_dword v131, off, s[36:39], 0 offset:8 ; 4-byte Folded Spill
	buffer_load_dword v131, off, s[36:39], 0 offset:12 ; 4-byte Folded Reload
	s_waitcnt vmcnt(0)
	v_addc_co_u32_e32 v131, vcc, v131, v2, vcc
	buffer_store_dword v131, off, s[36:39], 0 offset:12 ; 4-byte Folded Spill
	buffer_load_dword v131, off, s[36:39], 0 offset:16 ; 4-byte Folded Reload
	s_waitcnt vmcnt(0)
	v_add_co_u32_e32 v131, vcc, s24, v131
	buffer_store_dword v131, off, s[36:39], 0 offset:16 ; 4-byte Folded Spill
	buffer_load_dword v131, off, s[36:39], 0 offset:20 ; 4-byte Folded Reload
	;; [unrolled: 8-line block ×34, first 2 shown]
	s_waitcnt vmcnt(0)
	v_addc_co_u32_e32 v131, vcc, v131, v2, vcc
	v_add_co_u32_e32 v141, vcc, s24, v141
	v_addc_co_u32_e32 v142, vcc, v142, v2, vcc
	buffer_store_dword v131, off, s[36:39], 0 offset:276 ; 4-byte Folded Spill
	v_add_co_u32_e32 v143, vcc, s24, v143
	v_mov_b32_e32 v132, s13
	v_addc_co_u32_e32 v144, vcc, v144, v2, vcc
	v_mov_b32_e32 v131, s12
	v_cmp_ge_i64_e32 vcc, s[16:17], v[131:132]
	s_cbranch_vccnz .LBB166_227
; %bb.226:                              ;   in Loop: Header=BB166_149 Depth=1
	v_mov_b32_e32 v146, v130
	s_branch .LBB166_149
.LBB166_227:
	buffer_load_dword v1, off, s[36:39], 0 offset:284 ; 4-byte Folded Reload
	buffer_load_dword v2, off, s[36:39], 0 offset:288 ; 4-byte Folded Reload
.LBB166_228:
	s_mov_b32 s7, 0
	s_lshl_b64 s[0:1], s[6:7], 6
	v_or_b32_e32 v3, s0, v0
	v_mov_b32_e32 v4, s1
	v_cmp_gt_i64_e32 vcc, s[14:15], v[3:4]
	s_waitcnt lgkmcnt(0)
	s_cmp_lg_u64 s[2:3], 0
	s_cselect_b64 s[0:1], -1, 0
	s_and_b64 s[0:1], vcc, s[0:1]
	s_and_saveexec_b64 s[6:7], s[0:1]
	s_cbranch_execz .LBB166_230
; %bb.229:
	s_load_dword s0, s[4:5], 0x4c
	s_waitcnt vmcnt(0)
	v_mov_b32_e32 v2, 0
	v_mov_b32_e32 v0, s8
	;; [unrolled: 1-line block ×3, first 2 shown]
	v_cvt_f16_f32_e32 v6, v130
	s_waitcnt lgkmcnt(0)
	s_lshr_b32 s0, s0, 16
	v_mad_u64_u32 v[0:1], s[0:1], s0, v0, v[1:2]
	v_mul_lo_u32 v2, v1, s14
	v_mul_lo_u32 v5, v0, s15
	v_mad_u64_u32 v[0:1], s[0:1], v0, s14, 0
	v_add3_u32 v1, v1, v5, v2
	v_lshlrev_b64 v[0:1], 1, v[0:1]
	v_add_co_u32_e32 v2, vcc, s2, v0
	v_addc_co_u32_e32 v5, vcc, v7, v1, vcc
	v_lshlrev_b64 v[0:1], 1, v[3:4]
	v_add_co_u32_e32 v0, vcc, v2, v0
	v_addc_co_u32_e32 v1, vcc, v5, v1, vcc
	global_store_short v[0:1], v6, off
.LBB166_230:
	s_endpgm
	.section	.rodata,"a",@progbits
	.p2align	6, 0x0
	.amdhsa_kernel _ZN2at6native12_GLOBAL__N_135GammaBetaBackwardCUDAKernelTemplateIN3c104HalfEfLj64ELj1ELj32ELb1ELb0ELb1EEEvllPKT_S7_PKT0_SA_PS5_SB_
		.amdhsa_group_segment_fixed_size 0
		.amdhsa_private_segment_fixed_size 304
		.amdhsa_kernarg_size 320
		.amdhsa_user_sgpr_count 6
		.amdhsa_user_sgpr_private_segment_buffer 1
		.amdhsa_user_sgpr_dispatch_ptr 0
		.amdhsa_user_sgpr_queue_ptr 0
		.amdhsa_user_sgpr_kernarg_segment_ptr 1
		.amdhsa_user_sgpr_dispatch_id 0
		.amdhsa_user_sgpr_flat_scratch_init 0
		.amdhsa_user_sgpr_private_segment_size 0
		.amdhsa_uses_dynamic_stack 0
		.amdhsa_system_sgpr_private_segment_wavefront_offset 1
		.amdhsa_system_sgpr_workgroup_id_x 1
		.amdhsa_system_sgpr_workgroup_id_y 1
		.amdhsa_system_sgpr_workgroup_id_z 0
		.amdhsa_system_sgpr_workgroup_info 0
		.amdhsa_system_vgpr_workitem_id 1
		.amdhsa_next_free_vgpr 256
		.amdhsa_next_free_sgpr 40
		.amdhsa_reserve_vcc 1
		.amdhsa_reserve_flat_scratch 0
		.amdhsa_float_round_mode_32 0
		.amdhsa_float_round_mode_16_64 0
		.amdhsa_float_denorm_mode_32 3
		.amdhsa_float_denorm_mode_16_64 3
		.amdhsa_dx10_clamp 1
		.amdhsa_ieee_mode 1
		.amdhsa_fp16_overflow 0
		.amdhsa_exception_fp_ieee_invalid_op 0
		.amdhsa_exception_fp_denorm_src 0
		.amdhsa_exception_fp_ieee_div_zero 0
		.amdhsa_exception_fp_ieee_overflow 0
		.amdhsa_exception_fp_ieee_underflow 0
		.amdhsa_exception_fp_ieee_inexact 0
		.amdhsa_exception_int_div_zero 0
	.end_amdhsa_kernel
	.section	.text._ZN2at6native12_GLOBAL__N_135GammaBetaBackwardCUDAKernelTemplateIN3c104HalfEfLj64ELj1ELj32ELb1ELb0ELb1EEEvllPKT_S7_PKT0_SA_PS5_SB_,"axG",@progbits,_ZN2at6native12_GLOBAL__N_135GammaBetaBackwardCUDAKernelTemplateIN3c104HalfEfLj64ELj1ELj32ELb1ELb0ELb1EEEvllPKT_S7_PKT0_SA_PS5_SB_,comdat
.Lfunc_end166:
	.size	_ZN2at6native12_GLOBAL__N_135GammaBetaBackwardCUDAKernelTemplateIN3c104HalfEfLj64ELj1ELj32ELb1ELb0ELb1EEEvllPKT_S7_PKT0_SA_PS5_SB_, .Lfunc_end166-_ZN2at6native12_GLOBAL__N_135GammaBetaBackwardCUDAKernelTemplateIN3c104HalfEfLj64ELj1ELj32ELb1ELb0ELb1EEEvllPKT_S7_PKT0_SA_PS5_SB_
                                        ; -- End function
	.set _ZN2at6native12_GLOBAL__N_135GammaBetaBackwardCUDAKernelTemplateIN3c104HalfEfLj64ELj1ELj32ELb1ELb0ELb1EEEvllPKT_S7_PKT0_SA_PS5_SB_.num_vgpr, 256
	.set _ZN2at6native12_GLOBAL__N_135GammaBetaBackwardCUDAKernelTemplateIN3c104HalfEfLj64ELj1ELj32ELb1ELb0ELb1EEEvllPKT_S7_PKT0_SA_PS5_SB_.num_agpr, 0
	.set _ZN2at6native12_GLOBAL__N_135GammaBetaBackwardCUDAKernelTemplateIN3c104HalfEfLj64ELj1ELj32ELb1ELb0ELb1EEEvllPKT_S7_PKT0_SA_PS5_SB_.numbered_sgpr, 40
	.set _ZN2at6native12_GLOBAL__N_135GammaBetaBackwardCUDAKernelTemplateIN3c104HalfEfLj64ELj1ELj32ELb1ELb0ELb1EEEvllPKT_S7_PKT0_SA_PS5_SB_.num_named_barrier, 0
	.set _ZN2at6native12_GLOBAL__N_135GammaBetaBackwardCUDAKernelTemplateIN3c104HalfEfLj64ELj1ELj32ELb1ELb0ELb1EEEvllPKT_S7_PKT0_SA_PS5_SB_.private_seg_size, 304
	.set _ZN2at6native12_GLOBAL__N_135GammaBetaBackwardCUDAKernelTemplateIN3c104HalfEfLj64ELj1ELj32ELb1ELb0ELb1EEEvllPKT_S7_PKT0_SA_PS5_SB_.uses_vcc, 1
	.set _ZN2at6native12_GLOBAL__N_135GammaBetaBackwardCUDAKernelTemplateIN3c104HalfEfLj64ELj1ELj32ELb1ELb0ELb1EEEvllPKT_S7_PKT0_SA_PS5_SB_.uses_flat_scratch, 0
	.set _ZN2at6native12_GLOBAL__N_135GammaBetaBackwardCUDAKernelTemplateIN3c104HalfEfLj64ELj1ELj32ELb1ELb0ELb1EEEvllPKT_S7_PKT0_SA_PS5_SB_.has_dyn_sized_stack, 0
	.set _ZN2at6native12_GLOBAL__N_135GammaBetaBackwardCUDAKernelTemplateIN3c104HalfEfLj64ELj1ELj32ELb1ELb0ELb1EEEvllPKT_S7_PKT0_SA_PS5_SB_.has_recursion, 0
	.set _ZN2at6native12_GLOBAL__N_135GammaBetaBackwardCUDAKernelTemplateIN3c104HalfEfLj64ELj1ELj32ELb1ELb0ELb1EEEvllPKT_S7_PKT0_SA_PS5_SB_.has_indirect_call, 0
	.section	.AMDGPU.csdata,"",@progbits
; Kernel info:
; codeLenInByte = 23908
; TotalNumSgprs: 44
; NumVgprs: 256
; ScratchSize: 304
; MemoryBound: 0
; FloatMode: 240
; IeeeMode: 1
; LDSByteSize: 0 bytes/workgroup (compile time only)
; SGPRBlocks: 5
; VGPRBlocks: 63
; NumSGPRsForWavesPerEU: 44
; NumVGPRsForWavesPerEU: 256
; Occupancy: 1
; WaveLimiterHint : 0
; COMPUTE_PGM_RSRC2:SCRATCH_EN: 1
; COMPUTE_PGM_RSRC2:USER_SGPR: 6
; COMPUTE_PGM_RSRC2:TRAP_HANDLER: 0
; COMPUTE_PGM_RSRC2:TGID_X_EN: 1
; COMPUTE_PGM_RSRC2:TGID_Y_EN: 1
; COMPUTE_PGM_RSRC2:TGID_Z_EN: 0
; COMPUTE_PGM_RSRC2:TIDIG_COMP_CNT: 1
	.section	.text._ZN2at6native12_GLOBAL__N_135GammaBetaBackwardCUDAKernelTemplateIN3c104HalfEfLj64ELj1ELj8ELb1ELb1ELb1EEEvllPKT_S7_PKT0_SA_PS5_SB_,"axG",@progbits,_ZN2at6native12_GLOBAL__N_135GammaBetaBackwardCUDAKernelTemplateIN3c104HalfEfLj64ELj1ELj8ELb1ELb1ELb1EEEvllPKT_S7_PKT0_SA_PS5_SB_,comdat
	.globl	_ZN2at6native12_GLOBAL__N_135GammaBetaBackwardCUDAKernelTemplateIN3c104HalfEfLj64ELj1ELj8ELb1ELb1ELb1EEEvllPKT_S7_PKT0_SA_PS5_SB_ ; -- Begin function _ZN2at6native12_GLOBAL__N_135GammaBetaBackwardCUDAKernelTemplateIN3c104HalfEfLj64ELj1ELj8ELb1ELb1ELb1EEEvllPKT_S7_PKT0_SA_PS5_SB_
	.p2align	8
	.type	_ZN2at6native12_GLOBAL__N_135GammaBetaBackwardCUDAKernelTemplateIN3c104HalfEfLj64ELj1ELj8ELb1ELb1ELb1EEEvllPKT_S7_PKT0_SA_PS5_SB_,@function
_ZN2at6native12_GLOBAL__N_135GammaBetaBackwardCUDAKernelTemplateIN3c104HalfEfLj64ELj1ELj8ELb1ELb1ELb1EEEvllPKT_S7_PKT0_SA_PS5_SB_: ; @_ZN2at6native12_GLOBAL__N_135GammaBetaBackwardCUDAKernelTemplateIN3c104HalfEfLj64ELj1ELj8ELb1ELb1ELb1EEEvllPKT_S7_PKT0_SA_PS5_SB_
; %bb.0:
	s_load_dwordx4 s[8:11], s[4:5], 0x0
	s_load_dwordx2 s[16:17], s[4:5], 0x30
	s_lshl_b32 s18, s7, 3
	s_mov_b32 s19, 0
	v_mov_b32_e32 v2, s18
	v_mov_b32_e32 v3, s19
	s_waitcnt lgkmcnt(0)
	v_cmp_le_i64_e32 vcc, s[8:9], v[2:3]
	v_mov_b32_e32 v3, 0
	s_cbranch_vccnz .LBB167_8
; %bb.1:
	s_load_dword s0, s[4:5], 0x4c
	s_load_dword s22, s[4:5], 0x44
	s_load_dwordx4 s[12:15], s[4:5], 0x10
	s_load_dwordx2 s[2:3], s[4:5], 0x28
	v_lshlrev_b32_e32 v4, 3, v1
	s_waitcnt lgkmcnt(0)
	s_and_b32 s0, s0, 0xffff
	v_mad_u32_u24 v2, v1, s0, v0
	v_and_b32_e32 v5, 63, v2
	v_add_co_u32_e32 v9, vcc, s18, v4
	v_mbcnt_lo_u32_b32 v6, -1, 0
	v_addc_co_u32_e64 v10, s[20:21], 0, 0, vcc
	v_add_co_u32_e32 v4, vcc, v9, v5
	v_cmp_gt_u32_e64 s[0:1], 8, v5
	v_mbcnt_hi_u32_b32 v6, -1, v6
	v_addc_co_u32_e32 v5, vcc, 0, v10, vcc
	v_mul_lo_u32 v13, s11, v9
	v_mul_lo_u32 v14, s10, v10
	v_mad_u64_u32 v[10:11], s[20:21], s10, v9, 0
	v_lshlrev_b32_e32 v6, 2, v6
	v_and_b32_e32 v8, 0x100, v6
	v_lshlrev_b64 v[6:7], 2, v[4:5]
	v_mov_b32_e32 v3, 0
	v_lshl_or_b32 v2, s6, 6, v0
	v_mov_b32_e32 v12, s3
	v_add_co_u32_e32 v6, vcc, s2, v6
	v_add3_u32 v11, v11, v14, v13
	v_addc_co_u32_e32 v7, vcc, v12, v7, vcc
	v_lshlrev_b64 v[10:11], 1, v[10:11]
	v_lshlrev_b64 v[12:13], 1, v[2:3]
	s_lshl_b32 s20, s22, 3
	s_mul_i32 s2, s11, s20
	s_mul_hi_u32 s3, s10, s20
	v_add_co_u32_e32 v2, vcc, v10, v12
	s_mov_b32 s21, s19
	s_add_i32 s3, s3, s2
	s_mul_i32 s2, s10, s20
	v_or_b32_e32 v9, 20, v8
	v_addc_co_u32_e32 v10, vcc, v11, v13, vcc
	v_or_b32_e32 v11, 24, v8
	v_or_b32_e32 v12, 28, v8
	s_lshl_b64 s[22:23], s[20:21], 2
	s_lshl_b64 s[24:25], s[2:3], 1
	;; [unrolled: 1-line block ×3, first 2 shown]
	s_branch .LBB167_4
.LBB167_2:                              ;   in Loop: Header=BB167_4 Depth=1
	s_or_b64 exec, exec, s[28:29]
.LBB167_3:                              ;   in Loop: Header=BB167_4 Depth=1
	s_or_b64 exec, exec, s[2:3]
	v_mov_b32_e32 v15, s13
	v_add_co_u32_e32 v14, vcc, s12, v2
	v_addc_co_u32_e32 v15, vcc, v15, v10, vcc
	v_mov_b32_e32 v20, s27
	v_add_co_u32_e32 v16, vcc, s26, v14
	v_addc_co_u32_e32 v17, vcc, v15, v20, vcc
	global_load_ushort v21, v[14:15], off
	v_mov_b32_e32 v15, s15
	v_add_co_u32_e32 v14, vcc, s14, v2
	v_addc_co_u32_e32 v15, vcc, v15, v10, vcc
	v_add_co_u32_e32 v18, vcc, s26, v14
	global_load_ushort v14, v[14:15], off
	v_addc_co_u32_e32 v19, vcc, v15, v20, vcc
	s_add_u32 s18, s18, s20
	s_addc_u32 s19, s19, 0
	v_add_co_u32_e64 v6, s[2:3], s22, v6
	s_waitcnt vmcnt(1)
	v_cvt_f32_f16_e32 v15, v21
	global_load_ushort v21, v[16:17], off
	s_waitcnt vmcnt(1)
	v_cvt_f32_f16_e32 v14, v14
	v_mul_f32_e32 v14, v15, v14
	ds_bpermute_b32 v15, v8, v13
	s_waitcnt lgkmcnt(0)
	v_fmac_f32_e32 v3, v14, v15
	v_add_co_u32_e32 v14, vcc, s26, v16
	v_addc_co_u32_e32 v15, vcc, v17, v20, vcc
	v_add_co_u32_e32 v16, vcc, s26, v18
	global_load_ushort v18, v[18:19], off
	v_addc_co_u32_e32 v17, vcc, v19, v20, vcc
	s_waitcnt vmcnt(1)
	v_cvt_f32_f16_e32 v19, v21
	global_load_ushort v21, v[14:15], off
	s_waitcnt vmcnt(1)
	v_cvt_f32_f16_e32 v18, v18
	v_mul_f32_e32 v18, v19, v18
	v_or_b32_e32 v19, 4, v8
	ds_bpermute_b32 v19, v19, v13
	s_waitcnt lgkmcnt(0)
	v_fmac_f32_e32 v3, v18, v19
	v_add_co_u32_e32 v18, vcc, s26, v14
	v_addc_co_u32_e32 v19, vcc, v15, v20, vcc
	v_add_co_u32_e32 v14, vcc, s26, v16
	global_load_ushort v16, v[16:17], off
	v_addc_co_u32_e32 v15, vcc, v17, v20, vcc
	s_waitcnt vmcnt(1)
	v_cvt_f32_f16_e32 v17, v21
	global_load_ushort v21, v[18:19], off
	s_waitcnt vmcnt(1)
	v_cvt_f32_f16_e32 v16, v16
	v_mul_f32_e32 v16, v17, v16
	v_or_b32_e32 v17, 8, v8
	ds_bpermute_b32 v17, v17, v13
	s_waitcnt lgkmcnt(0)
	v_fmac_f32_e32 v3, v16, v17
	v_add_co_u32_e32 v16, vcc, s26, v18
	v_addc_co_u32_e32 v17, vcc, v19, v20, vcc
	v_add_co_u32_e32 v18, vcc, s26, v14
	global_load_ushort v14, v[14:15], off
	v_addc_co_u32_e32 v19, vcc, v15, v20, vcc
	s_waitcnt vmcnt(1)
	v_cvt_f32_f16_e32 v15, v21
	global_load_ushort v21, v[16:17], off
	s_waitcnt vmcnt(1)
	v_cvt_f32_f16_e32 v14, v14
	v_mul_f32_e32 v14, v15, v14
	v_or_b32_e32 v15, 12, v8
	ds_bpermute_b32 v15, v15, v13
	s_waitcnt lgkmcnt(0)
	v_fmac_f32_e32 v3, v14, v15
	v_add_co_u32_e32 v14, vcc, s26, v16
	v_addc_co_u32_e32 v15, vcc, v17, v20, vcc
	v_add_co_u32_e32 v16, vcc, s26, v18
	global_load_ushort v18, v[18:19], off
	v_addc_co_u32_e32 v17, vcc, v19, v20, vcc
	global_load_ushort v22, v[16:17], off
	s_waitcnt vmcnt(2)
	v_cvt_f32_f16_e32 v19, v21
	global_load_ushort v21, v[14:15], off
	s_waitcnt vmcnt(2)
	v_cvt_f32_f16_e32 v18, v18
	v_mul_f32_e32 v18, v19, v18
	v_or_b32_e32 v19, 16, v8
	ds_bpermute_b32 v19, v19, v13
	s_waitcnt lgkmcnt(0)
	v_fmac_f32_e32 v3, v18, v19
	v_add_co_u32_e32 v18, vcc, s26, v14
	v_addc_co_u32_e32 v19, vcc, v15, v20, vcc
	v_add_co_u32_e32 v14, vcc, s26, v16
	v_addc_co_u32_e32 v15, vcc, v17, v20, vcc
	;; [unrolled: 2-line block ×3, first 2 shown]
	global_load_ushort v23, v[18:19], off
	v_add_co_u32_e32 v18, vcc, s26, v14
	v_addc_co_u32_e32 v19, vcc, v15, v20, vcc
	global_load_ushort v14, v[14:15], off
	s_nop 0
	global_load_ushort v15, v[16:17], off
	global_load_ushort v20, v[18:19], off
	s_waitcnt vmcnt(4)
	v_cvt_f32_f16_e32 v16, v21
	v_cvt_f32_f16_e32 v17, v22
	ds_bpermute_b32 v19, v11, v13
	v_mul_f32_e32 v16, v16, v17
	ds_bpermute_b32 v17, v9, v13
	ds_bpermute_b32 v13, v12, v13
	s_waitcnt lgkmcnt(1)
	v_fmac_f32_e32 v3, v16, v17
	s_waitcnt vmcnt(3)
	v_cvt_f32_f16_e32 v18, v23
	s_waitcnt vmcnt(2)
	v_cvt_f32_f16_e32 v14, v14
	;; [unrolled: 2-line block ×4, first 2 shown]
	v_mul_f32_e32 v14, v18, v14
	v_fmac_f32_e32 v3, v14, v19
	v_mul_f32_e32 v14, v15, v20
	s_waitcnt lgkmcnt(0)
	v_fmac_f32_e32 v3, v14, v13
	v_mov_b32_e32 v14, s9
	v_mov_b32_e32 v13, s8
	v_cmp_lt_i64_e32 vcc, s[18:19], v[13:14]
	v_mov_b32_e32 v13, s23
	v_addc_co_u32_e64 v7, s[2:3], v7, v13, s[2:3]
	v_mov_b32_e32 v13, s25
	v_add_co_u32_e64 v2, s[2:3], s24, v2
	v_addc_co_u32_e64 v10, s[2:3], v10, v13, s[2:3]
	v_add_co_u32_e64 v4, s[2:3], s20, v4
	v_addc_co_u32_e64 v5, s[2:3], 0, v5, s[2:3]
	s_cbranch_vccz .LBB167_7
.LBB167_4:                              ; =>This Inner Loop Header: Depth=1
	v_mov_b32_e32 v13, 0
	s_and_saveexec_b64 s[2:3], s[0:1]
	s_cbranch_execz .LBB167_3
; %bb.5:                                ;   in Loop: Header=BB167_4 Depth=1
	v_cmp_gt_i64_e32 vcc, s[8:9], v[4:5]
	v_mov_b32_e32 v13, 0
	s_and_saveexec_b64 s[28:29], vcc
	s_cbranch_execz .LBB167_2
; %bb.6:                                ;   in Loop: Header=BB167_4 Depth=1
	global_load_dword v13, v[6:7], off
	s_branch .LBB167_2
.LBB167_7:
	v_cvt_f16_f32_e32 v3, v3
.LBB167_8:
	s_cmp_eq_u64 s[16:17], 0
	s_cbranch_scc1 .LBB167_10
; %bb.9:
	s_load_dword s0, s[4:5], 0x4c
	v_mov_b32_e32 v2, 0
	v_mov_b32_e32 v4, s7
	s_mov_b32 s7, 0
	v_mov_b32_e32 v6, s17
	s_waitcnt lgkmcnt(0)
	s_lshr_b32 s0, s0, 16
	v_mad_u64_u32 v[1:2], s[0:1], s0, v4, v[1:2]
	v_lshlrev_b32_e32 v0, 1, v0
	v_mul_lo_u32 v4, v2, s10
	v_mul_lo_u32 v5, v1, s11
	v_mad_u64_u32 v[1:2], s[0:1], v1, s10, 0
	s_lshl_b64 s[0:1], s[6:7], 7
	v_add3_u32 v2, v2, v5, v4
	v_lshlrev_b64 v[1:2], 1, v[1:2]
	v_mov_b32_e32 v4, s1
	v_add_co_u32_e32 v1, vcc, s16, v1
	v_addc_co_u32_e32 v2, vcc, v6, v2, vcc
	v_add_co_u32_e32 v1, vcc, s0, v1
	v_addc_co_u32_e32 v2, vcc, v2, v4, vcc
	;; [unrolled: 2-line block ×3, first 2 shown]
	global_store_short v[0:1], v3, off
.LBB167_10:
	s_endpgm
	.section	.rodata,"a",@progbits
	.p2align	6, 0x0
	.amdhsa_kernel _ZN2at6native12_GLOBAL__N_135GammaBetaBackwardCUDAKernelTemplateIN3c104HalfEfLj64ELj1ELj8ELb1ELb1ELb1EEEvllPKT_S7_PKT0_SA_PS5_SB_
		.amdhsa_group_segment_fixed_size 0
		.amdhsa_private_segment_fixed_size 0
		.amdhsa_kernarg_size 320
		.amdhsa_user_sgpr_count 6
		.amdhsa_user_sgpr_private_segment_buffer 1
		.amdhsa_user_sgpr_dispatch_ptr 0
		.amdhsa_user_sgpr_queue_ptr 0
		.amdhsa_user_sgpr_kernarg_segment_ptr 1
		.amdhsa_user_sgpr_dispatch_id 0
		.amdhsa_user_sgpr_flat_scratch_init 0
		.amdhsa_user_sgpr_private_segment_size 0
		.amdhsa_uses_dynamic_stack 0
		.amdhsa_system_sgpr_private_segment_wavefront_offset 0
		.amdhsa_system_sgpr_workgroup_id_x 1
		.amdhsa_system_sgpr_workgroup_id_y 1
		.amdhsa_system_sgpr_workgroup_id_z 0
		.amdhsa_system_sgpr_workgroup_info 0
		.amdhsa_system_vgpr_workitem_id 1
		.amdhsa_next_free_vgpr 24
		.amdhsa_next_free_sgpr 30
		.amdhsa_reserve_vcc 1
		.amdhsa_reserve_flat_scratch 0
		.amdhsa_float_round_mode_32 0
		.amdhsa_float_round_mode_16_64 0
		.amdhsa_float_denorm_mode_32 3
		.amdhsa_float_denorm_mode_16_64 3
		.amdhsa_dx10_clamp 1
		.amdhsa_ieee_mode 1
		.amdhsa_fp16_overflow 0
		.amdhsa_exception_fp_ieee_invalid_op 0
		.amdhsa_exception_fp_denorm_src 0
		.amdhsa_exception_fp_ieee_div_zero 0
		.amdhsa_exception_fp_ieee_overflow 0
		.amdhsa_exception_fp_ieee_underflow 0
		.amdhsa_exception_fp_ieee_inexact 0
		.amdhsa_exception_int_div_zero 0
	.end_amdhsa_kernel
	.section	.text._ZN2at6native12_GLOBAL__N_135GammaBetaBackwardCUDAKernelTemplateIN3c104HalfEfLj64ELj1ELj8ELb1ELb1ELb1EEEvllPKT_S7_PKT0_SA_PS5_SB_,"axG",@progbits,_ZN2at6native12_GLOBAL__N_135GammaBetaBackwardCUDAKernelTemplateIN3c104HalfEfLj64ELj1ELj8ELb1ELb1ELb1EEEvllPKT_S7_PKT0_SA_PS5_SB_,comdat
.Lfunc_end167:
	.size	_ZN2at6native12_GLOBAL__N_135GammaBetaBackwardCUDAKernelTemplateIN3c104HalfEfLj64ELj1ELj8ELb1ELb1ELb1EEEvllPKT_S7_PKT0_SA_PS5_SB_, .Lfunc_end167-_ZN2at6native12_GLOBAL__N_135GammaBetaBackwardCUDAKernelTemplateIN3c104HalfEfLj64ELj1ELj8ELb1ELb1ELb1EEEvllPKT_S7_PKT0_SA_PS5_SB_
                                        ; -- End function
	.set _ZN2at6native12_GLOBAL__N_135GammaBetaBackwardCUDAKernelTemplateIN3c104HalfEfLj64ELj1ELj8ELb1ELb1ELb1EEEvllPKT_S7_PKT0_SA_PS5_SB_.num_vgpr, 24
	.set _ZN2at6native12_GLOBAL__N_135GammaBetaBackwardCUDAKernelTemplateIN3c104HalfEfLj64ELj1ELj8ELb1ELb1ELb1EEEvllPKT_S7_PKT0_SA_PS5_SB_.num_agpr, 0
	.set _ZN2at6native12_GLOBAL__N_135GammaBetaBackwardCUDAKernelTemplateIN3c104HalfEfLj64ELj1ELj8ELb1ELb1ELb1EEEvllPKT_S7_PKT0_SA_PS5_SB_.numbered_sgpr, 30
	.set _ZN2at6native12_GLOBAL__N_135GammaBetaBackwardCUDAKernelTemplateIN3c104HalfEfLj64ELj1ELj8ELb1ELb1ELb1EEEvllPKT_S7_PKT0_SA_PS5_SB_.num_named_barrier, 0
	.set _ZN2at6native12_GLOBAL__N_135GammaBetaBackwardCUDAKernelTemplateIN3c104HalfEfLj64ELj1ELj8ELb1ELb1ELb1EEEvllPKT_S7_PKT0_SA_PS5_SB_.private_seg_size, 0
	.set _ZN2at6native12_GLOBAL__N_135GammaBetaBackwardCUDAKernelTemplateIN3c104HalfEfLj64ELj1ELj8ELb1ELb1ELb1EEEvllPKT_S7_PKT0_SA_PS5_SB_.uses_vcc, 1
	.set _ZN2at6native12_GLOBAL__N_135GammaBetaBackwardCUDAKernelTemplateIN3c104HalfEfLj64ELj1ELj8ELb1ELb1ELb1EEEvllPKT_S7_PKT0_SA_PS5_SB_.uses_flat_scratch, 0
	.set _ZN2at6native12_GLOBAL__N_135GammaBetaBackwardCUDAKernelTemplateIN3c104HalfEfLj64ELj1ELj8ELb1ELb1ELb1EEEvllPKT_S7_PKT0_SA_PS5_SB_.has_dyn_sized_stack, 0
	.set _ZN2at6native12_GLOBAL__N_135GammaBetaBackwardCUDAKernelTemplateIN3c104HalfEfLj64ELj1ELj8ELb1ELb1ELb1EEEvllPKT_S7_PKT0_SA_PS5_SB_.has_recursion, 0
	.set _ZN2at6native12_GLOBAL__N_135GammaBetaBackwardCUDAKernelTemplateIN3c104HalfEfLj64ELj1ELj8ELb1ELb1ELb1EEEvllPKT_S7_PKT0_SA_PS5_SB_.has_indirect_call, 0
	.section	.AMDGPU.csdata,"",@progbits
; Kernel info:
; codeLenInByte = 1140
; TotalNumSgprs: 34
; NumVgprs: 24
; ScratchSize: 0
; MemoryBound: 0
; FloatMode: 240
; IeeeMode: 1
; LDSByteSize: 0 bytes/workgroup (compile time only)
; SGPRBlocks: 4
; VGPRBlocks: 5
; NumSGPRsForWavesPerEU: 34
; NumVGPRsForWavesPerEU: 24
; Occupancy: 10
; WaveLimiterHint : 0
; COMPUTE_PGM_RSRC2:SCRATCH_EN: 0
; COMPUTE_PGM_RSRC2:USER_SGPR: 6
; COMPUTE_PGM_RSRC2:TRAP_HANDLER: 0
; COMPUTE_PGM_RSRC2:TGID_X_EN: 1
; COMPUTE_PGM_RSRC2:TGID_Y_EN: 1
; COMPUTE_PGM_RSRC2:TGID_Z_EN: 0
; COMPUTE_PGM_RSRC2:TIDIG_COMP_CNT: 1
	.section	.text._ZN2at6native12_GLOBAL__N_135GammaBetaBackwardCUDAKernelTemplateIN3c104HalfEfLj64ELj1ELj8ELb1ELb0ELb1EEEvllPKT_S7_PKT0_SA_PS5_SB_,"axG",@progbits,_ZN2at6native12_GLOBAL__N_135GammaBetaBackwardCUDAKernelTemplateIN3c104HalfEfLj64ELj1ELj8ELb1ELb0ELb1EEEvllPKT_S7_PKT0_SA_PS5_SB_,comdat
	.globl	_ZN2at6native12_GLOBAL__N_135GammaBetaBackwardCUDAKernelTemplateIN3c104HalfEfLj64ELj1ELj8ELb1ELb0ELb1EEEvllPKT_S7_PKT0_SA_PS5_SB_ ; -- Begin function _ZN2at6native12_GLOBAL__N_135GammaBetaBackwardCUDAKernelTemplateIN3c104HalfEfLj64ELj1ELj8ELb1ELb0ELb1EEEvllPKT_S7_PKT0_SA_PS5_SB_
	.p2align	8
	.type	_ZN2at6native12_GLOBAL__N_135GammaBetaBackwardCUDAKernelTemplateIN3c104HalfEfLj64ELj1ELj8ELb1ELb0ELb1EEEvllPKT_S7_PKT0_SA_PS5_SB_,@function
_ZN2at6native12_GLOBAL__N_135GammaBetaBackwardCUDAKernelTemplateIN3c104HalfEfLj64ELj1ELj8ELb1ELb0ELb1EEEvllPKT_S7_PKT0_SA_PS5_SB_: ; @_ZN2at6native12_GLOBAL__N_135GammaBetaBackwardCUDAKernelTemplateIN3c104HalfEfLj64ELj1ELj8ELb1ELb0ELb1EEEvllPKT_S7_PKT0_SA_PS5_SB_
; %bb.0:
	s_mov_b32 s8, s7
	s_load_dwordx8 s[12:19], s[4:5], 0x0
	s_load_dwordx2 s[20:21], s[4:5], 0x28
	s_lshl_b32 s22, s8, 3
	s_lshl_b32 s7, s6, 6
	s_mov_b32 s23, 0
	v_mov_b32_e32 v2, s22
	s_or_b32 s0, s7, 63
	v_mov_b32_e32 v3, s23
	v_mov_b32_e32 v48, s0
	;; [unrolled: 1-line block ×3, first 2 shown]
	s_waitcnt lgkmcnt(0)
	v_cmp_gt_i64_e64 s[0:1], s[12:13], v[2:3]
	v_cmp_le_i64_e32 vcc, s[14:15], v[48:49]
	v_cndmask_b32_e64 v2, 0, 1, s[0:1]
	v_cmp_ne_u32_e64 s[0:1], 1, v2
	s_cbranch_vccz .LBB168_49
; %bb.1:
	s_and_b64 vcc, exec, s[0:1]
	s_cbranch_vccnz .LBB168_50
; %bb.2:
	v_lshlrev_b32_e32 v23, 3, v1
	v_add_co_u32_e32 v9, vcc, s22, v23
	v_addc_co_u32_e64 v10, s[2:3], 0, 0, vcc
	v_mul_lo_u32 v7, s15, v9
	v_mul_lo_u32 v8, s14, v10
	v_mad_u64_u32 v[5:6], s[2:3], s14, v9, 0
	v_mov_b32_e32 v2, 0
	s_load_dword s9, s[4:5], 0x44
	v_add_u32_e32 v3, s7, v0
	v_mov_b32_e32 v4, v2
	v_add3_u32 v6, v6, v8, v7
	v_cmp_gt_i64_e64 s[2:3], s[14:15], v[3:4]
	v_lshlrev_b64 v[19:20], 1, v[3:4]
	v_lshlrev_b64 v[3:4], 1, v[5:6]
	s_add_u32 s24, s4, 64
	v_mov_b32_e32 v7, s17
	v_add_co_u32_e32 v25, vcc, s16, v3
	s_addc_u32 s25, s5, 0
	s_waitcnt lgkmcnt(0)
	s_lshl_b32 s9, s9, 3
	v_addc_co_u32_e32 v26, vcc, v7, v4, vcc
	s_mul_i32 s10, s15, s9
	s_mul_hi_u32 s11, s14, s9
	v_add_co_u32_e32 v7, vcc, 7, v9
	s_add_i32 s11, s11, s10
	s_mul_i32 s10, s14, s9
	v_addc_co_u32_e32 v8, vcc, 0, v10, vcc
	s_lshl_b64 s[26:27], s[10:11], 1
	v_mul_lo_u32 v12, s15, v7
	v_mul_lo_u32 v13, s14, v8
	v_mad_u64_u32 v[7:8], s[10:11], s14, v7, 0
	v_mov_b32_e32 v11, s19
	v_add_co_u32_e32 v27, vcc, s18, v3
	v_add3_u32 v8, v8, v13, v12
	v_addc_co_u32_e32 v28, vcc, v11, v4, vcc
	v_lshlrev_b64 v[3:4], 1, v[7:8]
	v_mov_b32_e32 v7, s17
	v_add_co_u32_e32 v29, vcc, s16, v3
	v_addc_co_u32_e32 v30, vcc, v7, v4, vcc
	v_add_co_u32_e32 v7, vcc, 6, v9
	v_addc_co_u32_e32 v8, vcc, 0, v10, vcc
	v_mul_lo_u32 v12, s15, v7
	v_mul_lo_u32 v13, s14, v8
	v_mad_u64_u32 v[7:8], s[10:11], s14, v7, 0
	v_add_co_u32_e32 v31, vcc, s18, v3
	v_add3_u32 v8, v8, v13, v12
	v_addc_co_u32_e32 v32, vcc, v11, v4, vcc
	v_lshlrev_b64 v[3:4], 1, v[7:8]
	v_mov_b32_e32 v7, s17
	v_add_co_u32_e32 v33, vcc, s16, v3
	v_addc_co_u32_e32 v34, vcc, v7, v4, vcc
	v_add_co_u32_e32 v7, vcc, 5, v9
	v_addc_co_u32_e32 v8, vcc, 0, v10, vcc
	v_mul_lo_u32 v12, s15, v7
	v_mul_lo_u32 v13, s14, v8
	v_mad_u64_u32 v[7:8], s[10:11], s14, v7, 0
	;; [unrolled: 12-line block ×5, first 2 shown]
	v_add_co_u32_e32 v47, vcc, s18, v3
	v_add3_u32 v8, v8, v10, v9
	v_addc_co_u32_e32 v48, vcc, v11, v4, vcc
	v_lshlrev_b64 v[3:4], 1, v[7:8]
	v_mov_b32_e32 v7, s17
	v_add_co_u32_e32 v50, vcc, s16, v3
	v_addc_co_u32_e32 v51, vcc, v7, v4, vcc
	v_mov_b32_e32 v7, s19
	v_add_co_u32_e32 v52, vcc, s18, v3
	v_addc_co_u32_e32 v53, vcc, v7, v4, vcc
	;; [unrolled: 3-line block ×3, first 2 shown]
	v_lshlrev_b64 v[3:4], 1, v[3:4]
	v_mov_b32_e32 v5, s17
	v_add_co_u32_e32 v54, vcc, s16, v3
	v_addc_co_u32_e32 v55, vcc, v5, v4, vcc
	v_add_co_u32_e32 v56, vcc, s18, v3
	v_mbcnt_lo_u32_b32 v3, -1, 0
	v_mbcnt_hi_u32_b32 v3, -1, v3
	v_mov_b32_e32 v5, s19
	v_lshlrev_b32_e32 v3, 2, v3
	v_mov_b32_e32 v24, v2
	s_mov_b64 s[28:29], 7
	v_addc_co_u32_e32 v57, vcc, v5, v4, vcc
	v_and_b32_e32 v58, 0x100, v3
	s_mov_b64 s[30:31], s[22:23]
	v_mov_b32_e32 v59, 0
.LBB168_3:                              ; =>This Inner Loop Header: Depth=1
	s_add_u32 s10, s22, s28
	v_mov_b32_e32 v3, s12
	s_addc_u32 s11, 0, s29
	v_mov_b32_e32 v4, s13
	v_cmp_ge_i64_e32 vcc, s[10:11], v[3:4]
	v_add_co_u32_e64 v21, s[10:11], s22, v23
	v_addc_co_u32_e64 v22, s[10:11], 0, v24, s[10:11]
	s_mov_b64 s[10:11], -1
	s_and_b64 vcc, exec, vcc
                                        ; implicit-def: $vgpr3_vgpr4_vgpr5_vgpr6_vgpr7_vgpr8_vgpr9_vgpr10
                                        ; implicit-def: $vgpr49
                                        ; implicit-def: $vgpr11_vgpr12_vgpr13_vgpr14_vgpr15_vgpr16_vgpr17_vgpr18
                                        ; implicit-def: $vgpr3
	s_cbranch_vccz .LBB168_25
; %bb.4:                                ;   in Loop: Header=BB168_3 Depth=1
	s_load_dword s10, s[24:25], 0xc
	v_mov_b32_e32 v60, 0
	s_waitcnt lgkmcnt(0)
	s_and_b32 s10, s10, 0xffff
	v_mad_u32_u24 v3, v1, s10, v0
	v_and_b32_e32 v3, 63, v3
	v_cmp_gt_u32_e32 vcc, 8, v3
	s_and_saveexec_b64 s[10:11], vcc
	s_cbranch_execz .LBB168_8
; %bb.5:                                ;   in Loop: Header=BB168_3 Depth=1
	v_add_co_u32_e32 v3, vcc, v21, v3
	v_addc_co_u32_e32 v4, vcc, 0, v22, vcc
	v_cmp_gt_i64_e32 vcc, s[12:13], v[3:4]
	v_mov_b32_e32 v60, 0
	s_and_saveexec_b64 s[34:35], vcc
	s_cbranch_execz .LBB168_7
; %bb.6:                                ;   in Loop: Header=BB168_3 Depth=1
	v_lshlrev_b64 v[3:4], 2, v[3:4]
	v_mov_b32_e32 v5, s21
	v_add_co_u32_e32 v3, vcc, s20, v3
	v_addc_co_u32_e32 v4, vcc, v5, v4, vcc
	global_load_dword v60, v[3:4], off
.LBB168_7:                              ;   in Loop: Header=BB168_3 Depth=1
	s_or_b64 exec, exec, s[34:35]
.LBB168_8:                              ;   in Loop: Header=BB168_3 Depth=1
	s_or_b64 exec, exec, s[10:11]
	v_mov_b32_e32 v9, v2
	v_cmp_gt_i64_e32 vcc, s[12:13], v[21:22]
	v_mov_b32_e32 v3, v2
	v_mov_b32_e32 v4, v2
	;; [unrolled: 1-line block ×15, first 2 shown]
	s_and_b64 s[34:35], s[2:3], vcc
	v_mov_b32_e32 v9, v8
	v_mov_b32_e32 v8, v7
	;; [unrolled: 1-line block ×7, first 2 shown]
	s_and_saveexec_b64 s[10:11], s[34:35]
	s_cbranch_execz .LBB168_10
; %bb.9:                                ;   in Loop: Header=BB168_3 Depth=1
	v_add_co_u32_e32 v3, vcc, v25, v19
	v_addc_co_u32_e32 v4, vcc, v26, v20, vcc
	global_load_ushort v11, v[3:4], off
	v_add_co_u32_e32 v3, vcc, v27, v19
	v_addc_co_u32_e32 v4, vcc, v28, v20, vcc
	global_load_ushort v15, v[3:4], off
	v_mov_b32_e32 v4, v2
	v_mov_b32_e32 v5, v2
	;; [unrolled: 1-line block ×13, first 2 shown]
	s_waitcnt vmcnt(1)
	v_cvt_f32_f16_e32 v3, v11
	s_waitcnt vmcnt(0)
	v_cvt_f32_f16_e32 v11, v15
	v_mov_b32_e32 v15, v2
.LBB168_10:                             ;   in Loop: Header=BB168_3 Depth=1
	s_or_b64 exec, exec, s[10:11]
	v_add_co_u32_e32 v61, vcc, 1, v21
	v_addc_co_u32_e32 v62, vcc, 0, v22, vcc
	v_cmp_gt_i64_e32 vcc, s[12:13], v[61:62]
	s_and_b64 s[34:35], s[2:3], vcc
	s_and_saveexec_b64 s[10:11], s[34:35]
	s_cbranch_execz .LBB168_12
; %bb.11:                               ;   in Loop: Header=BB168_3 Depth=1
	v_add_co_u32_e32 v61, vcc, v54, v19
	v_addc_co_u32_e32 v62, vcc, v55, v20, vcc
	global_load_ushort v4, v[61:62], off
	v_add_co_u32_e32 v61, vcc, v56, v19
	v_addc_co_u32_e32 v62, vcc, v57, v20, vcc
	global_load_ushort v12, v[61:62], off
	s_waitcnt vmcnt(1)
	v_cvt_f32_f16_e32 v4, v4
	s_waitcnt vmcnt(0)
	v_cvt_f32_f16_e32 v12, v12
.LBB168_12:                             ;   in Loop: Header=BB168_3 Depth=1
	s_or_b64 exec, exec, s[10:11]
	v_add_co_u32_e32 v61, vcc, 2, v21
	v_addc_co_u32_e32 v62, vcc, 0, v22, vcc
	v_cmp_gt_i64_e32 vcc, s[12:13], v[61:62]
	s_and_b64 s[34:35], s[2:3], vcc
	s_and_saveexec_b64 s[10:11], s[34:35]
	s_cbranch_execz .LBB168_14
; %bb.13:                               ;   in Loop: Header=BB168_3 Depth=1
	v_add_co_u32_e32 v61, vcc, v50, v19
	v_addc_co_u32_e32 v62, vcc, v51, v20, vcc
	global_load_ushort v5, v[61:62], off
	v_add_co_u32_e32 v61, vcc, v52, v19
	v_addc_co_u32_e32 v62, vcc, v53, v20, vcc
	global_load_ushort v13, v[61:62], off
	s_waitcnt vmcnt(1)
	v_cvt_f32_f16_e32 v5, v5
	s_waitcnt vmcnt(0)
	v_cvt_f32_f16_e32 v13, v13
.LBB168_14:                             ;   in Loop: Header=BB168_3 Depth=1
	;; [unrolled: 19-line block ×7, first 2 shown]
	s_or_b64 exec, exec, s[10:11]
	s_waitcnt vmcnt(0)
	ds_bpermute_b32 v49, v58, v60
	ds_bpermute_b32 v61, v58, v60 offset:4
	v_mul_f32_e32 v3, v11, v3
	ds_bpermute_b32 v11, v58, v60 offset:8
	v_mul_f32_e32 v4, v12, v4
	s_waitcnt lgkmcnt(2)
	v_fma_f32 v49, v3, v49, v59
	s_waitcnt lgkmcnt(1)
	v_fmac_f32_e32 v49, v4, v61
	ds_bpermute_b32 v3, v58, v60 offset:12
	v_mul_f32_e32 v4, v13, v5
	s_waitcnt lgkmcnt(1)
	v_fmac_f32_e32 v49, v4, v11
	ds_bpermute_b32 v4, v58, v60 offset:16
	v_mul_f32_e32 v5, v14, v6
	s_waitcnt lgkmcnt(1)
	v_fmac_f32_e32 v49, v5, v3
	v_mul_f32_e32 v3, v15, v7
	ds_bpermute_b32 v5, v58, v60 offset:20
	s_waitcnt lgkmcnt(1)
	v_fmac_f32_e32 v49, v3, v4
	ds_bpermute_b32 v4, v58, v60 offset:24
	ds_bpermute_b32 v3, v58, v60 offset:28
	v_mul_f32_e32 v6, v16, v8
	s_waitcnt lgkmcnt(2)
	v_fmac_f32_e32 v49, v6, v5
	v_mul_f32_e32 v5, v17, v9
	s_waitcnt lgkmcnt(1)
	v_fmac_f32_e32 v49, v5, v4
	s_mov_b64 s[10:11], 0
.LBB168_25:                             ;   in Loop: Header=BB168_3 Depth=1
	s_and_b64 vcc, exec, s[10:11]
	s_cbranch_vccz .LBB168_40
; %bb.26:                               ;   in Loop: Header=BB168_3 Depth=1
	s_load_dword s10, s[24:25], 0x0
	v_mov_b32_e32 v49, 0
	s_waitcnt lgkmcnt(0)
	s_cmp_lt_u32 s6, s10
	s_cselect_b32 s10, 12, 18
	s_add_u32 s10, s24, s10
	s_addc_u32 s11, s25, 0
	global_load_ushort v3, v2, s[10:11]
	s_waitcnt vmcnt(0)
	v_mad_u32_u24 v3, v1, v3, v0
	v_and_b32_e32 v3, 63, v3
	v_cmp_gt_u32_e32 vcc, 8, v3
	s_and_saveexec_b64 s[10:11], vcc
	s_cbranch_execz .LBB168_30
; %bb.27:                               ;   in Loop: Header=BB168_3 Depth=1
	v_add_co_u32_e32 v3, vcc, v21, v3
	v_addc_co_u32_e32 v4, vcc, 0, v22, vcc
	v_cmp_gt_i64_e32 vcc, s[12:13], v[3:4]
	v_mov_b32_e32 v49, 0
	s_and_saveexec_b64 s[34:35], vcc
	s_cbranch_execz .LBB168_29
; %bb.28:                               ;   in Loop: Header=BB168_3 Depth=1
	v_lshlrev_b64 v[3:4], 2, v[3:4]
	v_mov_b32_e32 v5, s21
	v_add_co_u32_e32 v3, vcc, s20, v3
	v_addc_co_u32_e32 v4, vcc, v5, v4, vcc
	global_load_dword v49, v[3:4], off
.LBB168_29:                             ;   in Loop: Header=BB168_3 Depth=1
	s_or_b64 exec, exec, s[34:35]
.LBB168_30:                             ;   in Loop: Header=BB168_3 Depth=1
	s_or_b64 exec, exec, s[10:11]
	v_mov_b32_e32 v9, v2
	v_mov_b32_e32 v3, v2
	;; [unrolled: 1-line block ×23, first 2 shown]
	s_and_saveexec_b64 s[10:11], s[2:3]
	s_cbranch_execnz .LBB168_42
; %bb.31:                               ;   in Loop: Header=BB168_3 Depth=1
	s_or_b64 exec, exec, s[10:11]
	s_and_saveexec_b64 s[10:11], s[2:3]
	s_cbranch_execnz .LBB168_43
.LBB168_32:                             ;   in Loop: Header=BB168_3 Depth=1
	s_or_b64 exec, exec, s[10:11]
	s_and_saveexec_b64 s[10:11], s[2:3]
	s_cbranch_execnz .LBB168_44
.LBB168_33:                             ;   in Loop: Header=BB168_3 Depth=1
	s_or_b64 exec, exec, s[10:11]
	s_and_saveexec_b64 s[10:11], s[2:3]
	s_cbranch_execnz .LBB168_45
.LBB168_34:                             ;   in Loop: Header=BB168_3 Depth=1
	s_or_b64 exec, exec, s[10:11]
	s_and_saveexec_b64 s[10:11], s[2:3]
	s_cbranch_execnz .LBB168_46
.LBB168_35:                             ;   in Loop: Header=BB168_3 Depth=1
	s_or_b64 exec, exec, s[10:11]
	s_and_saveexec_b64 s[10:11], s[2:3]
	s_cbranch_execnz .LBB168_47
.LBB168_36:                             ;   in Loop: Header=BB168_3 Depth=1
	s_or_b64 exec, exec, s[10:11]
	s_and_saveexec_b64 s[10:11], s[2:3]
	s_cbranch_execnz .LBB168_48
.LBB168_37:                             ;   in Loop: Header=BB168_3 Depth=1
	s_or_b64 exec, exec, s[10:11]
	s_and_saveexec_b64 s[10:11], s[2:3]
	s_cbranch_execz .LBB168_39
.LBB168_38:                             ;   in Loop: Header=BB168_3 Depth=1
	v_add_co_u32_e32 v21, vcc, v29, v19
	v_addc_co_u32_e32 v22, vcc, v30, v20, vcc
	global_load_ushort v10, v[21:22], off
	v_add_co_u32_e32 v21, vcc, v31, v19
	v_addc_co_u32_e32 v22, vcc, v32, v20, vcc
	global_load_ushort v18, v[21:22], off
	s_waitcnt vmcnt(1)
	v_cvt_f32_f16_e32 v10, v10
	s_waitcnt vmcnt(0)
	v_cvt_f32_f16_e32 v18, v18
.LBB168_39:                             ;   in Loop: Header=BB168_3 Depth=1
	s_or_b64 exec, exec, s[10:11]
	s_waitcnt vmcnt(0)
	ds_bpermute_b32 v21, v58, v49
	ds_bpermute_b32 v22, v58, v49 offset:4
	v_mul_f32_e32 v3, v11, v3
	ds_bpermute_b32 v11, v58, v49 offset:8
	v_mul_f32_e32 v4, v12, v4
	s_waitcnt lgkmcnt(2)
	v_fmac_f32_e32 v59, v3, v21
	s_waitcnt lgkmcnt(1)
	v_fmac_f32_e32 v59, v4, v22
	ds_bpermute_b32 v3, v58, v49 offset:12
	v_mul_f32_e32 v4, v13, v5
	s_waitcnt lgkmcnt(1)
	v_fmac_f32_e32 v59, v4, v11
	ds_bpermute_b32 v4, v58, v49 offset:16
	v_mul_f32_e32 v5, v14, v6
	s_waitcnt lgkmcnt(1)
	v_fmac_f32_e32 v59, v5, v3
	v_mul_f32_e32 v3, v15, v7
	ds_bpermute_b32 v5, v58, v49 offset:20
	s_waitcnt lgkmcnt(1)
	v_fmac_f32_e32 v59, v3, v4
	ds_bpermute_b32 v4, v58, v49 offset:24
	ds_bpermute_b32 v3, v58, v49 offset:28
	v_mul_f32_e32 v6, v16, v8
	s_waitcnt lgkmcnt(2)
	v_fmac_f32_e32 v59, v6, v5
	v_mul_f32_e32 v5, v17, v9
	s_waitcnt lgkmcnt(1)
	v_fmac_f32_e32 v59, v5, v4
	v_mov_b32_e32 v49, v59
.LBB168_40:                             ;   in Loop: Header=BB168_3 Depth=1
	v_mul_f32_e32 v4, v10, v18
	s_waitcnt lgkmcnt(0)
	v_fmac_f32_e32 v49, v4, v3
	v_mov_b32_e32 v3, s27
	v_add_co_u32_e32 v25, vcc, s26, v25
	v_addc_co_u32_e32 v26, vcc, v26, v3, vcc
	v_add_co_u32_e32 v27, vcc, s26, v27
	v_addc_co_u32_e32 v28, vcc, v28, v3, vcc
	;; [unrolled: 2-line block ×16, first 2 shown]
	s_add_u32 s30, s30, s9
	v_add_co_u32_e32 v23, vcc, s9, v23
	v_mov_b32_e32 v3, s12
	s_addc_u32 s31, s31, 0
	v_addc_co_u32_e32 v24, vcc, 0, v24, vcc
	v_mov_b32_e32 v4, s13
	v_cmp_lt_i64_e32 vcc, s[30:31], v[3:4]
	s_add_u32 s28, s28, s9
	s_addc_u32 s29, 0, s29
	s_cbranch_vccz .LBB168_50
; %bb.41:                               ;   in Loop: Header=BB168_3 Depth=1
	v_mov_b32_e32 v59, v49
	s_branch .LBB168_3
.LBB168_42:                             ;   in Loop: Header=BB168_3 Depth=1
	v_add_co_u32_e32 v3, vcc, v25, v19
	v_addc_co_u32_e32 v4, vcc, v26, v20, vcc
	global_load_ushort v11, v[3:4], off
	v_add_co_u32_e32 v3, vcc, v27, v19
	v_addc_co_u32_e32 v4, vcc, v28, v20, vcc
	global_load_ushort v15, v[3:4], off
	v_mov_b32_e32 v4, v2
	v_mov_b32_e32 v5, v2
	v_mov_b32_e32 v6, v2
	v_mov_b32_e32 v7, v2
	v_mov_b32_e32 v8, v2
	v_mov_b32_e32 v9, v2
	v_mov_b32_e32 v10, v2
	v_mov_b32_e32 v12, v2
	v_mov_b32_e32 v13, v2
	v_mov_b32_e32 v14, v2
	v_mov_b32_e32 v16, v2
	v_mov_b32_e32 v17, v2
	v_mov_b32_e32 v18, v2
	s_waitcnt vmcnt(1)
	v_cvt_f32_f16_e32 v3, v11
	s_waitcnt vmcnt(0)
	v_cvt_f32_f16_e32 v11, v15
	v_mov_b32_e32 v15, v2
	s_or_b64 exec, exec, s[10:11]
	s_and_saveexec_b64 s[10:11], s[2:3]
	s_cbranch_execz .LBB168_32
.LBB168_43:                             ;   in Loop: Header=BB168_3 Depth=1
	v_add_co_u32_e32 v21, vcc, v54, v19
	v_addc_co_u32_e32 v22, vcc, v55, v20, vcc
	global_load_ushort v4, v[21:22], off
	v_add_co_u32_e32 v21, vcc, v56, v19
	v_addc_co_u32_e32 v22, vcc, v57, v20, vcc
	global_load_ushort v12, v[21:22], off
	s_waitcnt vmcnt(1)
	v_cvt_f32_f16_e32 v4, v4
	s_waitcnt vmcnt(0)
	v_cvt_f32_f16_e32 v12, v12
	s_or_b64 exec, exec, s[10:11]
	s_and_saveexec_b64 s[10:11], s[2:3]
	s_cbranch_execz .LBB168_33
.LBB168_44:                             ;   in Loop: Header=BB168_3 Depth=1
	v_add_co_u32_e32 v21, vcc, v50, v19
	v_addc_co_u32_e32 v22, vcc, v51, v20, vcc
	global_load_ushort v5, v[21:22], off
	v_add_co_u32_e32 v21, vcc, v52, v19
	v_addc_co_u32_e32 v22, vcc, v53, v20, vcc
	global_load_ushort v13, v[21:22], off
	s_waitcnt vmcnt(1)
	v_cvt_f32_f16_e32 v5, v5
	s_waitcnt vmcnt(0)
	v_cvt_f32_f16_e32 v13, v13
	s_or_b64 exec, exec, s[10:11]
	s_and_saveexec_b64 s[10:11], s[2:3]
	s_cbranch_execz .LBB168_34
.LBB168_45:                             ;   in Loop: Header=BB168_3 Depth=1
	v_add_co_u32_e32 v21, vcc, v45, v19
	v_addc_co_u32_e32 v22, vcc, v46, v20, vcc
	global_load_ushort v6, v[21:22], off
	v_add_co_u32_e32 v21, vcc, v47, v19
	v_addc_co_u32_e32 v22, vcc, v48, v20, vcc
	global_load_ushort v14, v[21:22], off
	s_waitcnt vmcnt(1)
	v_cvt_f32_f16_e32 v6, v6
	s_waitcnt vmcnt(0)
	v_cvt_f32_f16_e32 v14, v14
	s_or_b64 exec, exec, s[10:11]
	s_and_saveexec_b64 s[10:11], s[2:3]
	s_cbranch_execz .LBB168_35
.LBB168_46:                             ;   in Loop: Header=BB168_3 Depth=1
	v_add_co_u32_e32 v21, vcc, v41, v19
	v_addc_co_u32_e32 v22, vcc, v42, v20, vcc
	global_load_ushort v7, v[21:22], off
	v_add_co_u32_e32 v21, vcc, v43, v19
	v_addc_co_u32_e32 v22, vcc, v44, v20, vcc
	global_load_ushort v15, v[21:22], off
	s_waitcnt vmcnt(1)
	v_cvt_f32_f16_e32 v7, v7
	s_waitcnt vmcnt(0)
	v_cvt_f32_f16_e32 v15, v15
	s_or_b64 exec, exec, s[10:11]
	s_and_saveexec_b64 s[10:11], s[2:3]
	s_cbranch_execz .LBB168_36
.LBB168_47:                             ;   in Loop: Header=BB168_3 Depth=1
	v_add_co_u32_e32 v21, vcc, v37, v19
	v_addc_co_u32_e32 v22, vcc, v38, v20, vcc
	global_load_ushort v8, v[21:22], off
	v_add_co_u32_e32 v21, vcc, v39, v19
	v_addc_co_u32_e32 v22, vcc, v40, v20, vcc
	global_load_ushort v16, v[21:22], off
	s_waitcnt vmcnt(1)
	v_cvt_f32_f16_e32 v8, v8
	s_waitcnt vmcnt(0)
	v_cvt_f32_f16_e32 v16, v16
	s_or_b64 exec, exec, s[10:11]
	s_and_saveexec_b64 s[10:11], s[2:3]
	s_cbranch_execz .LBB168_37
.LBB168_48:                             ;   in Loop: Header=BB168_3 Depth=1
	v_add_co_u32_e32 v21, vcc, v33, v19
	v_addc_co_u32_e32 v22, vcc, v34, v20, vcc
	global_load_ushort v9, v[21:22], off
	v_add_co_u32_e32 v21, vcc, v35, v19
	v_addc_co_u32_e32 v22, vcc, v36, v20, vcc
	global_load_ushort v17, v[21:22], off
	s_waitcnt vmcnt(1)
	v_cvt_f32_f16_e32 v9, v9
	s_waitcnt vmcnt(0)
	v_cvt_f32_f16_e32 v17, v17
	s_or_b64 exec, exec, s[10:11]
	s_and_saveexec_b64 s[10:11], s[2:3]
	s_cbranch_execnz .LBB168_38
	s_branch .LBB168_39
.LBB168_49:
                                        ; implicit-def: $vgpr49
	s_load_dwordx2 s[2:3], s[4:5], 0x30
	s_branch .LBB168_51
.LBB168_50:
	s_load_dwordx2 s[2:3], s[4:5], 0x30
	s_cbranch_execnz .LBB168_83
.LBB168_51:
	s_and_b64 vcc, exec, s[0:1]
	v_mov_b32_e32 v49, 0
	s_cbranch_vccnz .LBB168_83
; %bb.52:
	v_lshlrev_b32_e32 v52, 3, v1
	v_add_co_u32_e32 v8, vcc, s22, v52
	v_addc_co_u32_e64 v9, s[0:1], 0, 0, vcc
	v_mul_lo_u32 v4, s15, v8
	v_mul_lo_u32 v5, s14, v9
	v_mad_u64_u32 v[2:3], s[0:1], s14, v8, 0
	v_mov_b32_e32 v6, s17
	s_add_u32 s10, s4, 64
	v_add3_u32 v3, v3, v5, v4
	v_lshlrev_b64 v[4:5], 1, v[2:3]
	s_addc_u32 s11, s5, 0
	v_add_co_u32_e32 v53, vcc, s16, v4
	v_addc_co_u32_e32 v54, vcc, v6, v5, vcc
	v_mov_b32_e32 v6, s19
	v_add_co_u32_e32 v55, vcc, s18, v4
	v_addc_co_u32_e32 v56, vcc, v6, v5, vcc
	v_lshlrev_b32_e32 v4, 4, v1
	s_lshl_b64 s[0:1], s[22:23], 1
	v_mov_b32_e32 v5, s1
	v_add_co_u32_e32 v10, vcc, s0, v4
	v_addc_co_u32_e32 v11, vcc, 0, v5, vcc
	v_add_co_u32_e32 v12, vcc, 2, v10
	v_addc_co_u32_e32 v6, vcc, 0, v11, vcc
	v_mov_b32_e32 v4, s16
	v_mul_lo_u32 v14, s14, v6
	v_mov_b32_e32 v6, s18
	v_mov_b32_e32 v5, s17
	;; [unrolled: 1-line block ×3, first 2 shown]
	v_mad_u64_u32 v[19:20], s[0:1], s14, v12, v[4:5]
	v_mul_lo_u32 v15, s15, v12
	v_mad_u64_u32 v[21:22], s[0:1], s14, v12, v[6:7]
	v_add_co_u32_e32 v12, vcc, 4, v10
	v_addc_co_u32_e32 v16, vcc, 0, v11, vcc
	v_mov_b32_e32 v13, s15
	v_add_co_u32_e32 v2, vcc, s14, v2
	v_addc_co_u32_e32 v3, vcc, v3, v13, vcc
	v_mul_lo_u32 v17, s15, v12
	v_mad_u64_u32 v[23:24], s[0:1], s14, v12, v[4:5]
	v_mad_u64_u32 v[25:26], s[0:1], s14, v12, v[6:7]
	v_add_co_u32_e32 v12, vcc, 6, v10
	v_addc_co_u32_e32 v13, vcc, 0, v11, vcc
	v_add3_u32 v20, v15, v20, v14
	v_add3_u32 v22, v15, v22, v14
	v_mul_lo_u32 v13, s14, v13
	v_mul_lo_u32 v14, s15, v12
	v_mad_u64_u32 v[27:28], s[0:1], s14, v12, v[4:5]
	v_mad_u64_u32 v[29:30], s[0:1], s14, v12, v[6:7]
	v_add_co_u32_e32 v12, vcc, 8, v10
	v_mul_lo_u32 v16, s14, v16
	v_addc_co_u32_e32 v15, vcc, 0, v11, vcc
	v_mul_lo_u32 v18, s15, v12
	v_mad_u64_u32 v[31:32], s[0:1], s14, v12, v[4:5]
	v_mad_u64_u32 v[33:34], s[0:1], s14, v12, v[6:7]
	v_add_co_u32_e32 v12, vcc, 10, v10
	v_add3_u32 v28, v14, v28, v13
	v_add3_u32 v30, v14, v30, v13
	v_addc_co_u32_e32 v13, vcc, 0, v11, vcc
	v_mul_lo_u32 v14, s15, v12
	v_mad_u64_u32 v[35:36], s[0:1], s14, v12, v[4:5]
	v_mad_u64_u32 v[37:38], s[0:1], s14, v12, v[6:7]
	v_add_co_u32_e32 v12, vcc, 12, v10
	v_add3_u32 v24, v17, v24, v16
	v_add3_u32 v26, v17, v26, v16
	v_addc_co_u32_e32 v16, vcc, 0, v11, vcc
	v_add_co_u32_e32 v10, vcc, 14, v10
	v_addc_co_u32_e32 v11, vcc, 0, v11, vcc
	v_mad_u64_u32 v[39:40], s[0:1], s14, v12, v[4:5]
	v_mad_u64_u32 v[43:44], s[0:1], s14, v10, v[4:5]
	v_add_co_u32_e32 v4, vcc, 7, v8
	v_addc_co_u32_e32 v5, vcc, 0, v9, vcc
	v_mad_u64_u32 v[41:42], s[0:1], s14, v12, v[6:7]
	v_mad_u64_u32 v[45:46], s[0:1], s14, v10, v[6:7]
	v_mul_lo_u32 v6, s15, v10
	v_mul_lo_u32 v7, s14, v5
	v_mul_lo_u32 v10, s15, v4
	v_mad_u64_u32 v[4:5], s[0:1], s14, v4, 0
	v_mul_lo_u32 v11, s14, v11
	v_mul_lo_u32 v17, s15, v12
	v_add3_u32 v5, v5, v7, v10
	v_lshlrev_b64 v[4:5], 1, v[4:5]
	v_add3_u32 v44, v6, v44, v11
	v_add3_u32 v46, v6, v46, v11
	v_mov_b32_e32 v6, s17
	v_add_co_u32_e32 v57, vcc, s16, v4
	v_addc_co_u32_e32 v58, vcc, v6, v5, vcc
	v_add_co_u32_e32 v6, vcc, 6, v8
	v_addc_co_u32_e32 v7, vcc, 0, v9, vcc
	v_mul_lo_u32 v11, s14, v7
	v_mul_lo_u32 v12, s15, v6
	v_mad_u64_u32 v[6:7], s[0:1], s14, v6, 0
	v_mov_b32_e32 v10, s19
	v_add_co_u32_e32 v59, vcc, s18, v4
	v_add3_u32 v7, v7, v11, v12
	v_addc_co_u32_e32 v60, vcc, v10, v5, vcc
	v_lshlrev_b64 v[4:5], 1, v[6:7]
	v_mov_b32_e32 v6, s17
	v_add_co_u32_e32 v61, vcc, s16, v4
	v_addc_co_u32_e32 v62, vcc, v6, v5, vcc
	v_add_co_u32_e32 v6, vcc, 5, v8
	v_addc_co_u32_e32 v7, vcc, 0, v9, vcc
	v_mul_lo_u32 v11, s14, v7
	v_mul_lo_u32 v12, s15, v6
	v_mad_u64_u32 v[6:7], s[0:1], s14, v6, 0
	v_add_co_u32_e32 v63, vcc, s18, v4
	v_add3_u32 v7, v7, v11, v12
	v_addc_co_u32_e32 v64, vcc, v10, v5, vcc
	v_lshlrev_b64 v[4:5], 1, v[6:7]
	v_mov_b32_e32 v6, s17
	v_add_co_u32_e32 v65, vcc, s16, v4
	v_addc_co_u32_e32 v66, vcc, v6, v5, vcc
	v_add_co_u32_e32 v6, vcc, 4, v8
	v_addc_co_u32_e32 v7, vcc, 0, v9, vcc
	v_mul_lo_u32 v11, s14, v7
	v_mul_lo_u32 v12, s15, v6
	v_mad_u64_u32 v[6:7], s[0:1], s14, v6, 0
	;; [unrolled: 12-line block ×4, first 2 shown]
	v_add_co_u32_e32 v75, vcc, s18, v4
	v_add3_u32 v7, v7, v8, v9
	v_addc_co_u32_e32 v76, vcc, v10, v5, vcc
	v_lshlrev_b64 v[4:5], 1, v[6:7]
	v_mov_b32_e32 v6, s17
	v_add_co_u32_e32 v77, vcc, s16, v4
	v_addc_co_u32_e32 v78, vcc, v6, v5, vcc
	v_mov_b32_e32 v6, s19
	v_add_co_u32_e32 v79, vcc, s18, v4
	v_lshlrev_b64 v[2:3], 1, v[2:3]
	v_addc_co_u32_e32 v80, vcc, v6, v5, vcc
	s_load_dword s0, s[4:5], 0x44
	v_mov_b32_e32 v4, s17
	v_add_co_u32_e32 v81, vcc, s16, v2
	v_addc_co_u32_e32 v82, vcc, v4, v3, vcc
	v_mov_b32_e32 v4, s19
	v_add_co_u32_e32 v83, vcc, s18, v2
	v_mov_b32_e32 v2, 0
	v_mul_lo_u32 v15, s14, v15
	v_mul_lo_u32 v13, s14, v13
	;; [unrolled: 1-line block ×3, first 2 shown]
	v_addc_co_u32_e32 v84, vcc, v4, v3, vcc
	v_add_u32_e32 v3, s7, v0
	v_mov_b32_e32 v4, v2
	s_waitcnt lgkmcnt(0)
	s_lshl_b32 s7, s0, 3
	v_lshlrev_b64 v[47:48], 1, v[3:4]
	v_mbcnt_lo_u32_b32 v3, -1, 0
	s_mul_i32 s0, s15, s7
	s_mul_hi_u32 s1, s14, s7
	v_mbcnt_hi_u32_b32 v3, -1, v3
	s_add_i32 s1, s1, s0
	s_mul_i32 s0, s14, s7
	v_lshlrev_b32_e32 v3, 2, v3
	v_add3_u32 v32, v18, v32, v15
	v_add3_u32 v34, v18, v34, v15
	;; [unrolled: 1-line block ×6, first 2 shown]
	s_lshl_b64 s[16:17], s[0:1], 1
	s_mov_b64 s[18:19], 7
	v_and_b32_e32 v85, 0x100, v3
	s_mov_b64 s[24:25], s[22:23]
	v_mov_b32_e32 v86, v2
	v_mov_b32_e32 v87, 0
.LBB168_53:                             ; =>This Inner Loop Header: Depth=1
	s_add_u32 s0, s22, s18
	v_mov_b32_e32 v3, s12
	s_addc_u32 s1, 0, s19
	v_mov_b32_e32 v4, s13
	v_cmp_ge_i64_e32 vcc, s[0:1], v[3:4]
	v_add_co_u32_e64 v50, s[0:1], s22, v52
	v_addc_co_u32_e64 v51, s[0:1], 0, v86, s[0:1]
	s_mov_b64 s[0:1], -1
                                        ; implicit-def: $vgpr49
	s_cbranch_vccz .LBB168_75
; %bb.54:                               ;   in Loop: Header=BB168_53 Depth=1
	s_load_dword s0, s[10:11], 0xc
	v_mov_b32_e32 v88, 0
	s_waitcnt lgkmcnt(0)
	s_and_b32 s0, s0, 0xffff
	v_mad_u32_u24 v3, v1, s0, v0
	v_and_b32_e32 v3, 63, v3
	v_cmp_gt_u32_e32 vcc, 8, v3
	s_and_saveexec_b64 s[0:1], vcc
	s_cbranch_execz .LBB168_58
; %bb.55:                               ;   in Loop: Header=BB168_53 Depth=1
	v_add_co_u32_e32 v3, vcc, v50, v3
	v_addc_co_u32_e32 v4, vcc, 0, v51, vcc
	v_cmp_gt_i64_e32 vcc, s[12:13], v[3:4]
	v_mov_b32_e32 v88, 0
	s_and_saveexec_b64 s[26:27], vcc
	s_cbranch_execz .LBB168_57
; %bb.56:                               ;   in Loop: Header=BB168_53 Depth=1
	v_lshlrev_b64 v[3:4], 2, v[3:4]
	v_mov_b32_e32 v5, s21
	v_add_co_u32_e32 v3, vcc, s20, v3
	v_addc_co_u32_e32 v4, vcc, v5, v4, vcc
	global_load_dword v88, v[3:4], off
.LBB168_57:                             ;   in Loop: Header=BB168_53 Depth=1
	s_or_b64 exec, exec, s[26:27]
.LBB168_58:                             ;   in Loop: Header=BB168_53 Depth=1
	s_or_b64 exec, exec, s[0:1]
	v_mov_b32_e32 v9, v2
	v_mov_b32_e32 v3, v2
	;; [unrolled: 1-line block ×8, first 2 shown]
	v_cmp_gt_i64_e32 vcc, s[12:13], v[50:51]
	v_mov_b32_e32 v17, v8
	v_mov_b32_e32 v16, v7
	;; [unrolled: 1-line block ×15, first 2 shown]
	s_and_saveexec_b64 s[0:1], vcc
	s_cbranch_execz .LBB168_60
; %bb.59:                               ;   in Loop: Header=BB168_53 Depth=1
	v_add_co_u32_e32 v3, vcc, v53, v47
	v_addc_co_u32_e32 v4, vcc, v54, v48, vcc
	global_load_ushort v11, v[3:4], off
	v_add_co_u32_e32 v3, vcc, v55, v47
	v_addc_co_u32_e32 v4, vcc, v56, v48, vcc
	global_load_ushort v15, v[3:4], off
	v_mov_b32_e32 v4, v2
	v_mov_b32_e32 v5, v2
	;; [unrolled: 1-line block ×13, first 2 shown]
	s_waitcnt vmcnt(1)
	v_cvt_f32_f16_e32 v3, v11
	s_waitcnt vmcnt(0)
	v_cvt_f32_f16_e32 v11, v15
	v_mov_b32_e32 v15, v2
.LBB168_60:                             ;   in Loop: Header=BB168_53 Depth=1
	s_or_b64 exec, exec, s[0:1]
	v_add_co_u32_e32 v89, vcc, 1, v50
	v_addc_co_u32_e32 v90, vcc, 0, v51, vcc
	v_cmp_gt_i64_e32 vcc, s[12:13], v[89:90]
	s_and_saveexec_b64 s[0:1], vcc
	s_cbranch_execz .LBB168_62
; %bb.61:                               ;   in Loop: Header=BB168_53 Depth=1
	v_add_co_u32_e32 v89, vcc, v81, v47
	v_addc_co_u32_e32 v90, vcc, v82, v48, vcc
	global_load_ushort v4, v[89:90], off
	v_add_co_u32_e32 v89, vcc, v83, v47
	v_addc_co_u32_e32 v90, vcc, v84, v48, vcc
	global_load_ushort v12, v[89:90], off
	s_waitcnt vmcnt(1)
	v_cvt_f32_f16_e32 v4, v4
	s_waitcnt vmcnt(0)
	v_cvt_f32_f16_e32 v12, v12
.LBB168_62:                             ;   in Loop: Header=BB168_53 Depth=1
	s_or_b64 exec, exec, s[0:1]
	v_add_co_u32_e32 v89, vcc, 2, v50
	v_addc_co_u32_e32 v90, vcc, 0, v51, vcc
	v_cmp_gt_i64_e32 vcc, s[12:13], v[89:90]
	s_and_saveexec_b64 s[0:1], vcc
	s_cbranch_execz .LBB168_64
; %bb.63:                               ;   in Loop: Header=BB168_53 Depth=1
	v_add_co_u32_e32 v89, vcc, v77, v47
	v_addc_co_u32_e32 v90, vcc, v78, v48, vcc
	global_load_ushort v5, v[89:90], off
	v_add_co_u32_e32 v89, vcc, v79, v47
	v_addc_co_u32_e32 v90, vcc, v80, v48, vcc
	global_load_ushort v13, v[89:90], off
	s_waitcnt vmcnt(1)
	v_cvt_f32_f16_e32 v5, v5
	s_waitcnt vmcnt(0)
	v_cvt_f32_f16_e32 v13, v13
.LBB168_64:                             ;   in Loop: Header=BB168_53 Depth=1
	;; [unrolled: 18-line block ×7, first 2 shown]
	s_or_b64 exec, exec, s[0:1]
	s_waitcnt vmcnt(0)
	ds_bpermute_b32 v49, v85, v88
	ds_bpermute_b32 v89, v85, v88 offset:4
	v_mul_f32_e32 v3, v11, v3
	ds_bpermute_b32 v11, v85, v88 offset:8
	v_mul_f32_e32 v4, v12, v4
	s_waitcnt lgkmcnt(2)
	v_fma_f32 v49, v3, v49, v87
	s_waitcnt lgkmcnt(1)
	v_fmac_f32_e32 v49, v4, v89
	ds_bpermute_b32 v3, v85, v88 offset:12
	v_mul_f32_e32 v4, v13, v5
	s_waitcnt lgkmcnt(1)
	v_fmac_f32_e32 v49, v4, v11
	ds_bpermute_b32 v4, v85, v88 offset:16
	v_mul_f32_e32 v5, v14, v6
	s_waitcnt lgkmcnt(1)
	v_fmac_f32_e32 v49, v5, v3
	v_mul_f32_e32 v3, v15, v7
	ds_bpermute_b32 v5, v85, v88 offset:20
	s_waitcnt lgkmcnt(1)
	v_fmac_f32_e32 v49, v3, v4
	ds_bpermute_b32 v3, v85, v88 offset:24
	ds_bpermute_b32 v6, v85, v88 offset:28
	v_mul_f32_e32 v4, v16, v8
	s_waitcnt lgkmcnt(2)
	v_fmac_f32_e32 v49, v4, v5
	v_mul_f32_e32 v4, v17, v9
	s_waitcnt lgkmcnt(1)
	v_fmac_f32_e32 v49, v4, v3
	;; [unrolled: 3-line block ×3, first 2 shown]
	s_mov_b64 s[0:1], 0
.LBB168_75:                             ;   in Loop: Header=BB168_53 Depth=1
	s_and_b64 vcc, exec, s[0:1]
	s_cbranch_vccz .LBB168_81
; %bb.76:                               ;   in Loop: Header=BB168_53 Depth=1
	s_load_dword s0, s[10:11], 0x0
	v_mov_b32_e32 v5, 0
	s_waitcnt lgkmcnt(0)
	s_cmp_lt_u32 s6, s0
	s_cselect_b32 s0, 12, 18
	s_add_u32 s0, s10, s0
	s_addc_u32 s1, s11, 0
	global_load_ushort v3, v2, s[0:1]
	s_waitcnt vmcnt(0)
	v_mad_u32_u24 v3, v1, v3, v0
	v_and_b32_e32 v3, 63, v3
	v_cmp_gt_u32_e32 vcc, 8, v3
	s_and_saveexec_b64 s[0:1], vcc
	s_cbranch_execz .LBB168_80
; %bb.77:                               ;   in Loop: Header=BB168_53 Depth=1
	v_add_co_u32_e32 v3, vcc, v50, v3
	v_addc_co_u32_e32 v4, vcc, 0, v51, vcc
	v_cmp_gt_i64_e32 vcc, s[12:13], v[3:4]
	v_mov_b32_e32 v5, 0
	s_and_saveexec_b64 s[26:27], vcc
	s_cbranch_execz .LBB168_79
; %bb.78:                               ;   in Loop: Header=BB168_53 Depth=1
	v_lshlrev_b64 v[3:4], 2, v[3:4]
	v_mov_b32_e32 v5, s21
	v_add_co_u32_e32 v3, vcc, s20, v3
	v_addc_co_u32_e32 v4, vcc, v5, v4, vcc
	global_load_dword v5, v[3:4], off
.LBB168_79:                             ;   in Loop: Header=BB168_53 Depth=1
	s_or_b64 exec, exec, s[26:27]
.LBB168_80:                             ;   in Loop: Header=BB168_53 Depth=1
	s_or_b64 exec, exec, s[0:1]
	v_add_co_u32_e32 v3, vcc, v53, v47
	v_addc_co_u32_e32 v4, vcc, v54, v48, vcc
	global_load_ushort v6, v[3:4], off
	v_add_co_u32_e32 v3, vcc, v55, v47
	v_addc_co_u32_e32 v4, vcc, v56, v48, vcc
	global_load_ushort v7, v[3:4], off
	;; [unrolled: 3-line block ×16, first 2 shown]
	s_waitcnt vmcnt(16)
	ds_bpermute_b32 v51, v85, v5 offset:4
	s_waitcnt vmcnt(15)
	v_cvt_f32_f16_e32 v4, v6
	s_waitcnt vmcnt(14)
	v_cvt_f32_f16_e32 v6, v7
	v_mul_f32_e32 v4, v4, v6
	s_waitcnt vmcnt(13)
	v_cvt_f32_f16_e32 v7, v8
	s_waitcnt vmcnt(12)
	v_cvt_f32_f16_e32 v8, v9
	v_mul_f32_e32 v6, v7, v8
	;; [unrolled: 5-line block ×3, first 2 shown]
	s_waitcnt vmcnt(9)
	v_cvt_f32_f16_e32 v11, v12
	s_waitcnt vmcnt(8)
	v_cvt_f32_f16_e32 v12, v13
	;; [unrolled: 2-line block ×8, first 2 shown]
	ds_bpermute_b32 v49, v85, v5
	s_waitcnt vmcnt(1)
	v_cvt_f32_f16_e32 v50, v50
	s_waitcnt lgkmcnt(0)
	v_fmac_f32_e32 v87, v4, v49
	ds_bpermute_b32 v4, v85, v5 offset:8
	v_fmac_f32_e32 v87, v6, v51
	ds_bpermute_b32 v6, v85, v5 offset:12
	s_waitcnt vmcnt(0)
	v_cvt_f32_f16_e32 v3, v3
	s_waitcnt lgkmcnt(1)
	v_fmac_f32_e32 v87, v7, v4
	ds_bpermute_b32 v4, v85, v5 offset:16
	v_mul_f32_e32 v7, v11, v12
	s_waitcnt lgkmcnt(1)
	v_fmac_f32_e32 v87, v7, v6
	v_mul_f32_e32 v6, v13, v14
	ds_bpermute_b32 v7, v85, v5 offset:20
	s_waitcnt lgkmcnt(1)
	v_fmac_f32_e32 v87, v6, v4
	ds_bpermute_b32 v4, v85, v5 offset:24
	ds_bpermute_b32 v5, v85, v5 offset:28
	v_mul_f32_e32 v6, v15, v16
	s_waitcnt lgkmcnt(2)
	v_fmac_f32_e32 v87, v6, v7
	v_mul_f32_e32 v6, v17, v18
	s_waitcnt lgkmcnt(1)
	v_fmac_f32_e32 v87, v6, v4
	;; [unrolled: 3-line block ×3, first 2 shown]
	v_mov_b32_e32 v49, v87
.LBB168_81:                             ;   in Loop: Header=BB168_53 Depth=1
	v_mov_b32_e32 v3, s17
	v_add_co_u32_e32 v53, vcc, s16, v53
	v_addc_co_u32_e32 v54, vcc, v54, v3, vcc
	v_add_co_u32_e32 v55, vcc, s16, v55
	v_addc_co_u32_e32 v56, vcc, v56, v3, vcc
	;; [unrolled: 2-line block ×30, first 2 shown]
	v_add_co_u32_e32 v83, vcc, s16, v83
	s_add_u32 s24, s24, s7
	v_addc_co_u32_e32 v84, vcc, v84, v3, vcc
	v_mov_b32_e32 v3, s12
	s_addc_u32 s25, s25, 0
	v_mov_b32_e32 v4, s13
	v_cmp_ge_i64_e32 vcc, s[24:25], v[3:4]
	s_add_u32 s18, s18, s7
	s_addc_u32 s19, 0, s19
	s_cbranch_vccnz .LBB168_83
; %bb.82:                               ;   in Loop: Header=BB168_53 Depth=1
	v_mov_b32_e32 v87, v49
	s_branch .LBB168_53
.LBB168_83:
	s_mov_b32 s7, 0
	s_lshl_b64 s[0:1], s[6:7], 6
	v_or_b32_e32 v3, s0, v0
	v_mov_b32_e32 v4, s1
	v_cmp_gt_i64_e32 vcc, s[14:15], v[3:4]
	s_waitcnt lgkmcnt(0)
	s_cmp_lg_u64 s[2:3], 0
	s_cselect_b64 s[0:1], -1, 0
	s_and_b64 s[0:1], vcc, s[0:1]
	s_and_saveexec_b64 s[6:7], s[0:1]
	s_cbranch_execz .LBB168_85
; %bb.84:
	s_load_dword s0, s[4:5], 0x4c
	v_mov_b32_e32 v2, 0
	v_mov_b32_e32 v0, s8
	;; [unrolled: 1-line block ×3, first 2 shown]
	v_cvt_f16_f32_e32 v6, v49
	s_waitcnt lgkmcnt(0)
	s_lshr_b32 s0, s0, 16
	v_mad_u64_u32 v[0:1], s[0:1], s0, v0, v[1:2]
	v_mul_lo_u32 v2, v1, s14
	v_mul_lo_u32 v5, v0, s15
	v_mad_u64_u32 v[0:1], s[0:1], v0, s14, 0
	v_add3_u32 v1, v1, v5, v2
	v_lshlrev_b64 v[0:1], 1, v[0:1]
	v_add_co_u32_e32 v2, vcc, s2, v0
	v_addc_co_u32_e32 v5, vcc, v7, v1, vcc
	v_lshlrev_b64 v[0:1], 1, v[3:4]
	v_add_co_u32_e32 v0, vcc, v2, v0
	v_addc_co_u32_e32 v1, vcc, v5, v1, vcc
	global_store_short v[0:1], v6, off
.LBB168_85:
	s_endpgm
	.section	.rodata,"a",@progbits
	.p2align	6, 0x0
	.amdhsa_kernel _ZN2at6native12_GLOBAL__N_135GammaBetaBackwardCUDAKernelTemplateIN3c104HalfEfLj64ELj1ELj8ELb1ELb0ELb1EEEvllPKT_S7_PKT0_SA_PS5_SB_
		.amdhsa_group_segment_fixed_size 0
		.amdhsa_private_segment_fixed_size 0
		.amdhsa_kernarg_size 320
		.amdhsa_user_sgpr_count 6
		.amdhsa_user_sgpr_private_segment_buffer 1
		.amdhsa_user_sgpr_dispatch_ptr 0
		.amdhsa_user_sgpr_queue_ptr 0
		.amdhsa_user_sgpr_kernarg_segment_ptr 1
		.amdhsa_user_sgpr_dispatch_id 0
		.amdhsa_user_sgpr_flat_scratch_init 0
		.amdhsa_user_sgpr_private_segment_size 0
		.amdhsa_uses_dynamic_stack 0
		.amdhsa_system_sgpr_private_segment_wavefront_offset 0
		.amdhsa_system_sgpr_workgroup_id_x 1
		.amdhsa_system_sgpr_workgroup_id_y 1
		.amdhsa_system_sgpr_workgroup_id_z 0
		.amdhsa_system_sgpr_workgroup_info 0
		.amdhsa_system_vgpr_workitem_id 1
		.amdhsa_next_free_vgpr 91
		.amdhsa_next_free_sgpr 36
		.amdhsa_reserve_vcc 1
		.amdhsa_reserve_flat_scratch 0
		.amdhsa_float_round_mode_32 0
		.amdhsa_float_round_mode_16_64 0
		.amdhsa_float_denorm_mode_32 3
		.amdhsa_float_denorm_mode_16_64 3
		.amdhsa_dx10_clamp 1
		.amdhsa_ieee_mode 1
		.amdhsa_fp16_overflow 0
		.amdhsa_exception_fp_ieee_invalid_op 0
		.amdhsa_exception_fp_denorm_src 0
		.amdhsa_exception_fp_ieee_div_zero 0
		.amdhsa_exception_fp_ieee_overflow 0
		.amdhsa_exception_fp_ieee_underflow 0
		.amdhsa_exception_fp_ieee_inexact 0
		.amdhsa_exception_int_div_zero 0
	.end_amdhsa_kernel
	.section	.text._ZN2at6native12_GLOBAL__N_135GammaBetaBackwardCUDAKernelTemplateIN3c104HalfEfLj64ELj1ELj8ELb1ELb0ELb1EEEvllPKT_S7_PKT0_SA_PS5_SB_,"axG",@progbits,_ZN2at6native12_GLOBAL__N_135GammaBetaBackwardCUDAKernelTemplateIN3c104HalfEfLj64ELj1ELj8ELb1ELb0ELb1EEEvllPKT_S7_PKT0_SA_PS5_SB_,comdat
.Lfunc_end168:
	.size	_ZN2at6native12_GLOBAL__N_135GammaBetaBackwardCUDAKernelTemplateIN3c104HalfEfLj64ELj1ELj8ELb1ELb0ELb1EEEvllPKT_S7_PKT0_SA_PS5_SB_, .Lfunc_end168-_ZN2at6native12_GLOBAL__N_135GammaBetaBackwardCUDAKernelTemplateIN3c104HalfEfLj64ELj1ELj8ELb1ELb0ELb1EEEvllPKT_S7_PKT0_SA_PS5_SB_
                                        ; -- End function
	.set _ZN2at6native12_GLOBAL__N_135GammaBetaBackwardCUDAKernelTemplateIN3c104HalfEfLj64ELj1ELj8ELb1ELb0ELb1EEEvllPKT_S7_PKT0_SA_PS5_SB_.num_vgpr, 91
	.set _ZN2at6native12_GLOBAL__N_135GammaBetaBackwardCUDAKernelTemplateIN3c104HalfEfLj64ELj1ELj8ELb1ELb0ELb1EEEvllPKT_S7_PKT0_SA_PS5_SB_.num_agpr, 0
	.set _ZN2at6native12_GLOBAL__N_135GammaBetaBackwardCUDAKernelTemplateIN3c104HalfEfLj64ELj1ELj8ELb1ELb0ELb1EEEvllPKT_S7_PKT0_SA_PS5_SB_.numbered_sgpr, 36
	.set _ZN2at6native12_GLOBAL__N_135GammaBetaBackwardCUDAKernelTemplateIN3c104HalfEfLj64ELj1ELj8ELb1ELb0ELb1EEEvllPKT_S7_PKT0_SA_PS5_SB_.num_named_barrier, 0
	.set _ZN2at6native12_GLOBAL__N_135GammaBetaBackwardCUDAKernelTemplateIN3c104HalfEfLj64ELj1ELj8ELb1ELb0ELb1EEEvllPKT_S7_PKT0_SA_PS5_SB_.private_seg_size, 0
	.set _ZN2at6native12_GLOBAL__N_135GammaBetaBackwardCUDAKernelTemplateIN3c104HalfEfLj64ELj1ELj8ELb1ELb0ELb1EEEvllPKT_S7_PKT0_SA_PS5_SB_.uses_vcc, 1
	.set _ZN2at6native12_GLOBAL__N_135GammaBetaBackwardCUDAKernelTemplateIN3c104HalfEfLj64ELj1ELj8ELb1ELb0ELb1EEEvllPKT_S7_PKT0_SA_PS5_SB_.uses_flat_scratch, 0
	.set _ZN2at6native12_GLOBAL__N_135GammaBetaBackwardCUDAKernelTemplateIN3c104HalfEfLj64ELj1ELj8ELb1ELb0ELb1EEEvllPKT_S7_PKT0_SA_PS5_SB_.has_dyn_sized_stack, 0
	.set _ZN2at6native12_GLOBAL__N_135GammaBetaBackwardCUDAKernelTemplateIN3c104HalfEfLj64ELj1ELj8ELb1ELb0ELb1EEEvllPKT_S7_PKT0_SA_PS5_SB_.has_recursion, 0
	.set _ZN2at6native12_GLOBAL__N_135GammaBetaBackwardCUDAKernelTemplateIN3c104HalfEfLj64ELj1ELj8ELb1ELb0ELb1EEEvllPKT_S7_PKT0_SA_PS5_SB_.has_indirect_call, 0
	.section	.AMDGPU.csdata,"",@progbits
; Kernel info:
; codeLenInByte = 6300
; TotalNumSgprs: 40
; NumVgprs: 91
; ScratchSize: 0
; MemoryBound: 0
; FloatMode: 240
; IeeeMode: 1
; LDSByteSize: 0 bytes/workgroup (compile time only)
; SGPRBlocks: 4
; VGPRBlocks: 22
; NumSGPRsForWavesPerEU: 40
; NumVGPRsForWavesPerEU: 91
; Occupancy: 2
; WaveLimiterHint : 0
; COMPUTE_PGM_RSRC2:SCRATCH_EN: 0
; COMPUTE_PGM_RSRC2:USER_SGPR: 6
; COMPUTE_PGM_RSRC2:TRAP_HANDLER: 0
; COMPUTE_PGM_RSRC2:TGID_X_EN: 1
; COMPUTE_PGM_RSRC2:TGID_Y_EN: 1
; COMPUTE_PGM_RSRC2:TGID_Z_EN: 0
; COMPUTE_PGM_RSRC2:TIDIG_COMP_CNT: 1
	.section	.text._ZN2at6native12_GLOBAL__N_135GammaBetaBackwardCUDAKernelTemplateIN3c104HalfEfLj64ELj8ELj64ELb0ELb1ELb1EEEvllPKT_S7_PKT0_SA_PS5_SB_,"axG",@progbits,_ZN2at6native12_GLOBAL__N_135GammaBetaBackwardCUDAKernelTemplateIN3c104HalfEfLj64ELj8ELj64ELb0ELb1ELb1EEEvllPKT_S7_PKT0_SA_PS5_SB_,comdat
	.globl	_ZN2at6native12_GLOBAL__N_135GammaBetaBackwardCUDAKernelTemplateIN3c104HalfEfLj64ELj8ELj64ELb0ELb1ELb1EEEvllPKT_S7_PKT0_SA_PS5_SB_ ; -- Begin function _ZN2at6native12_GLOBAL__N_135GammaBetaBackwardCUDAKernelTemplateIN3c104HalfEfLj64ELj8ELj64ELb0ELb1ELb1EEEvllPKT_S7_PKT0_SA_PS5_SB_
	.p2align	8
	.type	_ZN2at6native12_GLOBAL__N_135GammaBetaBackwardCUDAKernelTemplateIN3c104HalfEfLj64ELj8ELj64ELb0ELb1ELb1EEEvllPKT_S7_PKT0_SA_PS5_SB_,@function
_ZN2at6native12_GLOBAL__N_135GammaBetaBackwardCUDAKernelTemplateIN3c104HalfEfLj64ELj8ELj64ELb0ELb1ELb1EEEvllPKT_S7_PKT0_SA_PS5_SB_: ; @_ZN2at6native12_GLOBAL__N_135GammaBetaBackwardCUDAKernelTemplateIN3c104HalfEfLj64ELj8ELj64ELb0ELb1ELb1EEEvllPKT_S7_PKT0_SA_PS5_SB_
; %bb.0:
	s_load_dwordx4 s[8:11], s[4:5], 0x0
	s_lshl_b32 s18, s7, 6
	s_mov_b32 s19, 0
	v_mov_b32_e32 v2, s18
	v_mov_b32_e32 v3, s19
	s_waitcnt lgkmcnt(0)
	v_cmp_gt_i64_e32 vcc, s[8:9], v[2:3]
	s_cbranch_vccnz .LBB169_2
; %bb.1:
	s_mov_b64 s[0:1], 0
	s_branch .LBB169_3
.LBB169_2:
	s_mov_b64 s[0:1], -1
.LBB169_3:
	s_load_dwordx2 s[16:17], s[4:5], 0x30
	v_mov_b32_e32 v3, 0
	s_andn2_b64 vcc, exec, s[0:1]
	v_mbcnt_lo_u32_b32 v8, -1, 0
	s_cbranch_vccnz .LBB169_10
; %bb.4:
	s_load_dword s0, s[4:5], 0x4c
	s_load_dword s7, s[4:5], 0x44
	s_load_dwordx4 s[12:15], s[4:5], 0x10
	s_load_dwordx2 s[2:3], s[4:5], 0x28
	v_lshlrev_b32_e32 v4, 3, v1
	s_waitcnt lgkmcnt(0)
	s_and_b32 s0, s0, 0xffff
	v_mad_u32_u24 v2, v1, s0, v0
	v_and_b32_e32 v5, 63, v2
	v_add_co_u32_e32 v10, vcc, s18, v4
	v_addc_co_u32_e64 v11, s[20:21], 0, 0, vcc
	v_add_co_u32_e32 v4, vcc, v10, v5
	v_cmp_gt_u32_e64 s[0:1], 8, v5
	v_mbcnt_hi_u32_b32 v6, -1, v8
	v_addc_co_u32_e32 v5, vcc, 0, v11, vcc
	v_mul_lo_u32 v14, s11, v10
	v_mul_lo_u32 v15, s10, v11
	v_mad_u64_u32 v[11:12], s[20:21], s10, v10, 0
	v_lshlrev_b32_e32 v6, 2, v6
	v_and_b32_e32 v9, 0x100, v6
	v_lshlrev_b64 v[6:7], 2, v[4:5]
	v_mov_b32_e32 v3, 0
	v_lshl_add_u32 v2, s6, 6, v0
	v_mov_b32_e32 v13, s3
	v_add_co_u32_e32 v6, vcc, s2, v6
	v_add3_u32 v12, v12, v15, v14
	v_addc_co_u32_e32 v7, vcc, v13, v7, vcc
	v_lshlrev_b64 v[11:12], 1, v[11:12]
	v_lshlrev_b64 v[13:14], 1, v[2:3]
	s_lshl_b32 s4, s7, 6
	s_mul_i32 s2, s11, s4
	s_mul_hi_u32 s3, s10, s4
	s_mov_b32 s5, 0
	v_add_co_u32_e32 v2, vcc, v11, v13
	s_add_i32 s3, s3, s2
	s_mul_i32 s2, s10, s4
	v_or_b32_e32 v10, 20, v9
	v_addc_co_u32_e32 v11, vcc, v12, v14, vcc
	v_or_b32_e32 v12, 24, v9
	v_or_b32_e32 v13, 28, v9
	s_lshl_b64 s[20:21], s[4:5], 2
	s_lshl_b64 s[22:23], s[2:3], 1
	;; [unrolled: 1-line block ×3, first 2 shown]
	s_branch .LBB169_7
.LBB169_5:                              ;   in Loop: Header=BB169_7 Depth=1
	s_or_b64 exec, exec, s[24:25]
.LBB169_6:                              ;   in Loop: Header=BB169_7 Depth=1
	s_or_b64 exec, exec, s[2:3]
	v_mov_b32_e32 v16, s13
	v_add_co_u32_e32 v15, vcc, s12, v2
	v_addc_co_u32_e32 v16, vcc, v16, v11, vcc
	v_mov_b32_e32 v21, s11
	v_add_co_u32_e32 v17, vcc, s10, v15
	v_addc_co_u32_e32 v18, vcc, v16, v21, vcc
	global_load_ushort v22, v[15:16], off
	v_mov_b32_e32 v16, s15
	v_add_co_u32_e32 v15, vcc, s14, v2
	v_addc_co_u32_e32 v16, vcc, v16, v11, vcc
	v_add_co_u32_e32 v19, vcc, s10, v15
	global_load_ushort v15, v[15:16], off
	v_addc_co_u32_e32 v20, vcc, v16, v21, vcc
	s_add_u32 s18, s18, s4
	s_addc_u32 s19, s19, 0
	v_add_co_u32_e64 v6, s[2:3], s20, v6
	s_waitcnt vmcnt(1)
	v_cvt_f32_f16_e32 v16, v22
	global_load_ushort v22, v[17:18], off
	s_waitcnt vmcnt(1)
	v_cvt_f32_f16_e32 v15, v15
	v_mul_f32_e32 v15, v16, v15
	ds_bpermute_b32 v16, v9, v14
	s_waitcnt lgkmcnt(0)
	v_fmac_f32_e32 v3, v15, v16
	v_add_co_u32_e32 v15, vcc, s10, v17
	v_addc_co_u32_e32 v16, vcc, v18, v21, vcc
	v_add_co_u32_e32 v17, vcc, s10, v19
	global_load_ushort v19, v[19:20], off
	v_addc_co_u32_e32 v18, vcc, v20, v21, vcc
	s_waitcnt vmcnt(1)
	v_cvt_f32_f16_e32 v20, v22
	global_load_ushort v22, v[15:16], off
	s_waitcnt vmcnt(1)
	v_cvt_f32_f16_e32 v19, v19
	v_mul_f32_e32 v19, v20, v19
	v_or_b32_e32 v20, 4, v9
	ds_bpermute_b32 v20, v20, v14
	s_waitcnt lgkmcnt(0)
	v_fmac_f32_e32 v3, v19, v20
	v_add_co_u32_e32 v19, vcc, s10, v15
	v_addc_co_u32_e32 v20, vcc, v16, v21, vcc
	v_add_co_u32_e32 v15, vcc, s10, v17
	global_load_ushort v17, v[17:18], off
	v_addc_co_u32_e32 v16, vcc, v18, v21, vcc
	s_waitcnt vmcnt(1)
	v_cvt_f32_f16_e32 v18, v22
	global_load_ushort v22, v[19:20], off
	s_waitcnt vmcnt(1)
	v_cvt_f32_f16_e32 v17, v17
	v_mul_f32_e32 v17, v18, v17
	v_or_b32_e32 v18, 8, v9
	;; [unrolled: 15-line block ×4, first 2 shown]
	ds_bpermute_b32 v20, v20, v14
	s_waitcnt lgkmcnt(0)
	v_fmac_f32_e32 v3, v19, v20
	v_add_co_u32_e32 v19, vcc, s10, v15
	v_addc_co_u32_e32 v20, vcc, v16, v21, vcc
	v_add_co_u32_e32 v15, vcc, s10, v17
	global_load_ushort v17, v[17:18], off
	v_addc_co_u32_e32 v16, vcc, v18, v21, vcc
	s_waitcnt vmcnt(1)
	v_cvt_f32_f16_e32 v18, v22
	global_load_ushort v22, v[19:20], off
	s_waitcnt vmcnt(1)
	v_cvt_f32_f16_e32 v17, v17
	v_mul_f32_e32 v17, v18, v17
	ds_bpermute_b32 v18, v10, v14
	s_waitcnt lgkmcnt(0)
	v_fmac_f32_e32 v3, v17, v18
	v_add_co_u32_e32 v17, vcc, s10, v19
	v_addc_co_u32_e32 v18, vcc, v20, v21, vcc
	v_add_co_u32_e32 v19, vcc, s10, v15
	global_load_ushort v15, v[15:16], off
	v_addc_co_u32_e32 v20, vcc, v16, v21, vcc
	s_waitcnt vmcnt(1)
	v_cvt_f32_f16_e32 v16, v22
	s_waitcnt vmcnt(0)
	v_cvt_f32_f16_e32 v15, v15
	v_mul_f32_e32 v15, v16, v15
	ds_bpermute_b32 v16, v12, v14
	ds_bpermute_b32 v14, v13, v14
	s_waitcnt lgkmcnt(1)
	v_fmac_f32_e32 v3, v15, v16
	global_load_ushort v15, v[17:18], off
	global_load_ushort v16, v[19:20], off
	s_waitcnt vmcnt(1)
	v_cvt_f32_f16_e32 v15, v15
	s_waitcnt vmcnt(0)
	v_cvt_f32_f16_e32 v16, v16
	v_mul_f32_e32 v15, v15, v16
	s_waitcnt lgkmcnt(0)
	v_fmac_f32_e32 v3, v15, v14
	v_mov_b32_e32 v15, s9
	v_mov_b32_e32 v14, s8
	v_cmp_lt_i64_e32 vcc, s[18:19], v[14:15]
	v_mov_b32_e32 v14, s21
	v_addc_co_u32_e64 v7, s[2:3], v7, v14, s[2:3]
	v_add_co_u32_e64 v2, s[2:3], s22, v2
	v_mov_b32_e32 v14, s23
	v_addc_co_u32_e64 v11, s[2:3], v11, v14, s[2:3]
	v_add_co_u32_e64 v4, s[2:3], s4, v4
	v_addc_co_u32_e64 v5, s[2:3], 0, v5, s[2:3]
	s_cbranch_vccz .LBB169_10
.LBB169_7:                              ; =>This Inner Loop Header: Depth=1
	v_mov_b32_e32 v14, 0
	s_and_saveexec_b64 s[2:3], s[0:1]
	s_cbranch_execz .LBB169_6
; %bb.8:                                ;   in Loop: Header=BB169_7 Depth=1
	v_cmp_gt_i64_e32 vcc, s[8:9], v[4:5]
	v_mov_b32_e32 v14, 0
	s_and_saveexec_b64 s[24:25], vcc
	s_cbranch_execz .LBB169_5
; %bb.9:                                ;   in Loop: Header=BB169_7 Depth=1
	global_load_dword v14, v[6:7], off
	s_branch .LBB169_5
.LBB169_10:
	s_movk_i32 s0, 0x41
	v_mad_u32_u24 v2, v1, s0, v0
	v_lshl_add_u32 v2, v2, 2, 0
	ds_write_b32 v2, v3
	v_mov_b32_e32 v3, 0
	ds_write_b32 v2, v3 offset:2080
	v_lshrrev_b32_e32 v2, 6, v0
	v_add_u32_e32 v1, v2, v1
	v_cmp_gt_u32_e32 vcc, 64, v1
	s_waitcnt lgkmcnt(0)
	s_barrier
	s_and_saveexec_b64 s[0:1], vcc
	s_cbranch_execz .LBB169_50
; %bb.11:
	v_and_b32_e32 v2, 63, v0
	v_cmp_gt_u32_e32 vcc, 8, v2
	v_mul_u32_u24_e32 v3, 0x41, v2
                                        ; implicit-def: $vgpr2
	s_and_saveexec_b64 s[0:1], vcc
; %bb.12:
	v_lshlrev_b32_e32 v2, 2, v1
	v_lshlrev_b32_e32 v4, 2, v3
	v_add3_u32 v2, 0, v2, v4
	ds_read_b32 v2, v2
; %bb.13:
	s_or_b64 exec, exec, s[0:1]
	v_mbcnt_hi_u32_b32 v6, -1, v8
	v_and_b32_e32 v4, 64, v6
	v_add_u32_e32 v7, 64, v4
	v_xor_b32_e32 v4, 4, v6
	v_cmp_lt_i32_e64 s[0:1], v4, v7
	v_cndmask_b32_e64 v4, v6, v4, s[0:1]
	v_lshlrev_b32_e32 v4, 2, v4
	s_waitcnt lgkmcnt(0)
	ds_bpermute_b32 v5, v4, v2
	v_xor_b32_e32 v8, 2, v6
	v_cmp_lt_i32_e64 s[0:1], v8, v7
	s_cmp_lg_u64 s[16:17], 0
	s_mov_b32 s7, 0
	s_waitcnt lgkmcnt(0)
	v_add_f32_e32 v2, v2, v5
	v_cndmask_b32_e64 v5, v6, v8, s[0:1]
	v_lshlrev_b32_e32 v5, 2, v5
	ds_bpermute_b32 v8, v5, v2
	v_cmp_eq_u32_e64 s[0:1], 0, v0
	v_xor_b32_e32 v0, 1, v6
	v_cmp_lt_i32_e64 s[2:3], v0, v7
	v_cndmask_b32_e64 v0, v6, v0, s[2:3]
	s_waitcnt lgkmcnt(0)
	v_add_f32_e32 v2, v2, v8
	v_lshlrev_b32_e32 v0, 2, v0
	ds_bpermute_b32 v6, v0, v2
	s_cselect_b64 s[4:5], -1, 0
	s_and_b64 s[2:3], s[0:1], s[4:5]
	s_lshl_b64 s[0:1], s[6:7], 7
	s_add_u32 s6, s16, s0
	s_addc_u32 s7, s17, s1
	s_waitcnt lgkmcnt(0)
	v_add_f32_e32 v6, v2, v6
	s_and_saveexec_b64 s[4:5], s[2:3]
	s_cbranch_execz .LBB169_15
; %bb.14:
	v_mov_b32_e32 v2, 0
	v_lshlrev_b64 v[7:8], 1, v[1:2]
	v_cvt_f16_f32_e32 v9, v6
	v_mov_b32_e32 v2, s7
	v_add_co_u32_e64 v7, s[0:1], s6, v7
	v_addc_co_u32_e64 v8, s[0:1], v2, v8, s[0:1]
	global_store_short v[7:8], v9, off
.LBB169_15:
	s_or_b64 exec, exec, s[4:5]
	v_cmp_gt_u32_e64 s[0:1], 56, v1
	s_and_b64 exec, exec, s[0:1]
	s_cbranch_execz .LBB169_50
; %bb.16:
	s_and_saveexec_b64 s[0:1], vcc
; %bb.17:
	v_lshlrev_b32_e32 v2, 2, v1
	v_lshlrev_b32_e32 v6, 2, v3
	v_add3_u32 v2, 0, v2, v6
	ds_read_b32 v6, v2 offset:32
; %bb.18:
	s_or_b64 exec, exec, s[0:1]
	s_waitcnt lgkmcnt(0)
	ds_bpermute_b32 v2, v4, v6
	s_waitcnt lgkmcnt(0)
	v_add_f32_e32 v2, v6, v2
	ds_bpermute_b32 v6, v5, v2
	s_waitcnt lgkmcnt(0)
	v_add_f32_e32 v2, v2, v6
	ds_bpermute_b32 v6, v0, v2
	s_waitcnt lgkmcnt(0)
	v_add_f32_e32 v6, v2, v6
	s_and_saveexec_b64 s[4:5], s[2:3]
	s_cbranch_execz .LBB169_20
; %bb.19:
	v_mov_b32_e32 v2, 0
	v_lshlrev_b64 v[7:8], 1, v[1:2]
	v_cvt_f16_f32_e32 v9, v6
	v_mov_b32_e32 v2, s7
	v_add_co_u32_e64 v7, s[0:1], s6, v7
	v_addc_co_u32_e64 v8, s[0:1], v2, v8, s[0:1]
	global_store_short v[7:8], v9, off offset:16
.LBB169_20:
	s_or_b64 exec, exec, s[4:5]
	v_cmp_gt_u32_e64 s[0:1], 48, v1
	s_and_b64 exec, exec, s[0:1]
	s_cbranch_execz .LBB169_50
; %bb.21:
	s_and_saveexec_b64 s[0:1], vcc
; %bb.22:
	v_lshlrev_b32_e32 v2, 2, v1
	v_lshlrev_b32_e32 v6, 2, v3
	v_add3_u32 v2, 0, v2, v6
	ds_read_b32 v6, v2 offset:64
; %bb.23:
	s_or_b64 exec, exec, s[0:1]
	s_waitcnt lgkmcnt(0)
	ds_bpermute_b32 v2, v4, v6
	s_waitcnt lgkmcnt(0)
	v_add_f32_e32 v2, v6, v2
	ds_bpermute_b32 v6, v5, v2
	s_waitcnt lgkmcnt(0)
	v_add_f32_e32 v2, v2, v6
	ds_bpermute_b32 v6, v0, v2
	s_waitcnt lgkmcnt(0)
	v_add_f32_e32 v6, v2, v6
	s_and_saveexec_b64 s[4:5], s[2:3]
	s_cbranch_execz .LBB169_25
; %bb.24:
	v_mov_b32_e32 v2, 0
	v_lshlrev_b64 v[7:8], 1, v[1:2]
	v_cvt_f16_f32_e32 v9, v6
	v_mov_b32_e32 v2, s7
	v_add_co_u32_e64 v7, s[0:1], s6, v7
	v_addc_co_u32_e64 v8, s[0:1], v2, v8, s[0:1]
	global_store_short v[7:8], v9, off offset:32
.LBB169_25:
	;; [unrolled: 34-line block ×6, first 2 shown]
	s_or_b64 exec, exec, s[4:5]
	v_cmp_gt_u32_e64 s[0:1], 8, v1
	s_and_b64 exec, exec, s[0:1]
	s_cbranch_execz .LBB169_50
; %bb.46:
	s_and_saveexec_b64 s[0:1], vcc
; %bb.47:
	v_lshlrev_b32_e32 v2, 2, v1
	v_lshlrev_b32_e32 v3, 2, v3
	v_add3_u32 v2, 0, v2, v3
	ds_read_b32 v6, v2 offset:224
; %bb.48:
	s_or_b64 exec, exec, s[0:1]
	s_waitcnt lgkmcnt(0)
	ds_bpermute_b32 v2, v4, v6
	s_waitcnt lgkmcnt(0)
	v_add_f32_e32 v2, v6, v2
	ds_bpermute_b32 v3, v5, v2
	s_waitcnt lgkmcnt(0)
	v_add_f32_e32 v2, v2, v3
	ds_bpermute_b32 v0, v0, v2
	s_and_saveexec_b64 s[0:1], s[2:3]
	s_xor_b64 s[0:1], exec, s[0:1]
	s_cbranch_execz .LBB169_50
; %bb.49:
	s_waitcnt lgkmcnt(0)
	v_add_f32_e32 v3, v2, v0
	v_mov_b32_e32 v2, 0
	v_lshlrev_b64 v[0:1], 1, v[1:2]
	v_cvt_f16_f32_e32 v3, v3
	v_mov_b32_e32 v2, s7
	v_add_co_u32_e32 v0, vcc, s6, v0
	v_addc_co_u32_e32 v1, vcc, v2, v1, vcc
	global_store_short v[0:1], v3, off offset:112
.LBB169_50:
	s_endpgm
	.section	.rodata,"a",@progbits
	.p2align	6, 0x0
	.amdhsa_kernel _ZN2at6native12_GLOBAL__N_135GammaBetaBackwardCUDAKernelTemplateIN3c104HalfEfLj64ELj8ELj64ELb0ELb1ELb1EEEvllPKT_S7_PKT0_SA_PS5_SB_
		.amdhsa_group_segment_fixed_size 0
		.amdhsa_private_segment_fixed_size 0
		.amdhsa_kernarg_size 320
		.amdhsa_user_sgpr_count 6
		.amdhsa_user_sgpr_private_segment_buffer 1
		.amdhsa_user_sgpr_dispatch_ptr 0
		.amdhsa_user_sgpr_queue_ptr 0
		.amdhsa_user_sgpr_kernarg_segment_ptr 1
		.amdhsa_user_sgpr_dispatch_id 0
		.amdhsa_user_sgpr_flat_scratch_init 0
		.amdhsa_user_sgpr_private_segment_size 0
		.amdhsa_uses_dynamic_stack 0
		.amdhsa_system_sgpr_private_segment_wavefront_offset 0
		.amdhsa_system_sgpr_workgroup_id_x 1
		.amdhsa_system_sgpr_workgroup_id_y 1
		.amdhsa_system_sgpr_workgroup_id_z 0
		.amdhsa_system_sgpr_workgroup_info 0
		.amdhsa_system_vgpr_workitem_id 1
		.amdhsa_next_free_vgpr 23
		.amdhsa_next_free_sgpr 26
		.amdhsa_reserve_vcc 1
		.amdhsa_reserve_flat_scratch 0
		.amdhsa_float_round_mode_32 0
		.amdhsa_float_round_mode_16_64 0
		.amdhsa_float_denorm_mode_32 3
		.amdhsa_float_denorm_mode_16_64 3
		.amdhsa_dx10_clamp 1
		.amdhsa_ieee_mode 1
		.amdhsa_fp16_overflow 0
		.amdhsa_exception_fp_ieee_invalid_op 0
		.amdhsa_exception_fp_denorm_src 0
		.amdhsa_exception_fp_ieee_div_zero 0
		.amdhsa_exception_fp_ieee_overflow 0
		.amdhsa_exception_fp_ieee_underflow 0
		.amdhsa_exception_fp_ieee_inexact 0
		.amdhsa_exception_int_div_zero 0
	.end_amdhsa_kernel
	.section	.text._ZN2at6native12_GLOBAL__N_135GammaBetaBackwardCUDAKernelTemplateIN3c104HalfEfLj64ELj8ELj64ELb0ELb1ELb1EEEvllPKT_S7_PKT0_SA_PS5_SB_,"axG",@progbits,_ZN2at6native12_GLOBAL__N_135GammaBetaBackwardCUDAKernelTemplateIN3c104HalfEfLj64ELj8ELj64ELb0ELb1ELb1EEEvllPKT_S7_PKT0_SA_PS5_SB_,comdat
.Lfunc_end169:
	.size	_ZN2at6native12_GLOBAL__N_135GammaBetaBackwardCUDAKernelTemplateIN3c104HalfEfLj64ELj8ELj64ELb0ELb1ELb1EEEvllPKT_S7_PKT0_SA_PS5_SB_, .Lfunc_end169-_ZN2at6native12_GLOBAL__N_135GammaBetaBackwardCUDAKernelTemplateIN3c104HalfEfLj64ELj8ELj64ELb0ELb1ELb1EEEvllPKT_S7_PKT0_SA_PS5_SB_
                                        ; -- End function
	.set _ZN2at6native12_GLOBAL__N_135GammaBetaBackwardCUDAKernelTemplateIN3c104HalfEfLj64ELj8ELj64ELb0ELb1ELb1EEEvllPKT_S7_PKT0_SA_PS5_SB_.num_vgpr, 23
	.set _ZN2at6native12_GLOBAL__N_135GammaBetaBackwardCUDAKernelTemplateIN3c104HalfEfLj64ELj8ELj64ELb0ELb1ELb1EEEvllPKT_S7_PKT0_SA_PS5_SB_.num_agpr, 0
	.set _ZN2at6native12_GLOBAL__N_135GammaBetaBackwardCUDAKernelTemplateIN3c104HalfEfLj64ELj8ELj64ELb0ELb1ELb1EEEvllPKT_S7_PKT0_SA_PS5_SB_.numbered_sgpr, 26
	.set _ZN2at6native12_GLOBAL__N_135GammaBetaBackwardCUDAKernelTemplateIN3c104HalfEfLj64ELj8ELj64ELb0ELb1ELb1EEEvllPKT_S7_PKT0_SA_PS5_SB_.num_named_barrier, 0
	.set _ZN2at6native12_GLOBAL__N_135GammaBetaBackwardCUDAKernelTemplateIN3c104HalfEfLj64ELj8ELj64ELb0ELb1ELb1EEEvllPKT_S7_PKT0_SA_PS5_SB_.private_seg_size, 0
	.set _ZN2at6native12_GLOBAL__N_135GammaBetaBackwardCUDAKernelTemplateIN3c104HalfEfLj64ELj8ELj64ELb0ELb1ELb1EEEvllPKT_S7_PKT0_SA_PS5_SB_.uses_vcc, 1
	.set _ZN2at6native12_GLOBAL__N_135GammaBetaBackwardCUDAKernelTemplateIN3c104HalfEfLj64ELj8ELj64ELb0ELb1ELb1EEEvllPKT_S7_PKT0_SA_PS5_SB_.uses_flat_scratch, 0
	.set _ZN2at6native12_GLOBAL__N_135GammaBetaBackwardCUDAKernelTemplateIN3c104HalfEfLj64ELj8ELj64ELb0ELb1ELb1EEEvllPKT_S7_PKT0_SA_PS5_SB_.has_dyn_sized_stack, 0
	.set _ZN2at6native12_GLOBAL__N_135GammaBetaBackwardCUDAKernelTemplateIN3c104HalfEfLj64ELj8ELj64ELb0ELb1ELb1EEEvllPKT_S7_PKT0_SA_PS5_SB_.has_recursion, 0
	.set _ZN2at6native12_GLOBAL__N_135GammaBetaBackwardCUDAKernelTemplateIN3c104HalfEfLj64ELj8ELj64ELb0ELb1ELb1EEEvllPKT_S7_PKT0_SA_PS5_SB_.has_indirect_call, 0
	.section	.AMDGPU.csdata,"",@progbits
; Kernel info:
; codeLenInByte = 2460
; TotalNumSgprs: 30
; NumVgprs: 23
; ScratchSize: 0
; MemoryBound: 0
; FloatMode: 240
; IeeeMode: 1
; LDSByteSize: 0 bytes/workgroup (compile time only)
; SGPRBlocks: 3
; VGPRBlocks: 5
; NumSGPRsForWavesPerEU: 30
; NumVGPRsForWavesPerEU: 23
; Occupancy: 10
; WaveLimiterHint : 0
; COMPUTE_PGM_RSRC2:SCRATCH_EN: 0
; COMPUTE_PGM_RSRC2:USER_SGPR: 6
; COMPUTE_PGM_RSRC2:TRAP_HANDLER: 0
; COMPUTE_PGM_RSRC2:TGID_X_EN: 1
; COMPUTE_PGM_RSRC2:TGID_Y_EN: 1
; COMPUTE_PGM_RSRC2:TGID_Z_EN: 0
; COMPUTE_PGM_RSRC2:TIDIG_COMP_CNT: 1
	.section	.text._ZN2at6native12_GLOBAL__N_135GammaBetaBackwardCUDAKernelTemplateIN3c104HalfEfLj64ELj8ELj64ELb0ELb0ELb1EEEvllPKT_S7_PKT0_SA_PS5_SB_,"axG",@progbits,_ZN2at6native12_GLOBAL__N_135GammaBetaBackwardCUDAKernelTemplateIN3c104HalfEfLj64ELj8ELj64ELb0ELb0ELb1EEEvllPKT_S7_PKT0_SA_PS5_SB_,comdat
	.globl	_ZN2at6native12_GLOBAL__N_135GammaBetaBackwardCUDAKernelTemplateIN3c104HalfEfLj64ELj8ELj64ELb0ELb0ELb1EEEvllPKT_S7_PKT0_SA_PS5_SB_ ; -- Begin function _ZN2at6native12_GLOBAL__N_135GammaBetaBackwardCUDAKernelTemplateIN3c104HalfEfLj64ELj8ELj64ELb0ELb0ELb1EEEvllPKT_S7_PKT0_SA_PS5_SB_
	.p2align	8
	.type	_ZN2at6native12_GLOBAL__N_135GammaBetaBackwardCUDAKernelTemplateIN3c104HalfEfLj64ELj8ELj64ELb0ELb0ELb1EEEvllPKT_S7_PKT0_SA_PS5_SB_,@function
_ZN2at6native12_GLOBAL__N_135GammaBetaBackwardCUDAKernelTemplateIN3c104HalfEfLj64ELj8ELj64ELb0ELb0ELb1EEEvllPKT_S7_PKT0_SA_PS5_SB_: ; @_ZN2at6native12_GLOBAL__N_135GammaBetaBackwardCUDAKernelTemplateIN3c104HalfEfLj64ELj8ELj64ELb0ELb0ELb1EEEvllPKT_S7_PKT0_SA_PS5_SB_
; %bb.0:
	s_load_dwordx8 s[12:19], s[4:5], 0x0
	s_load_dwordx2 s[10:11], s[4:5], 0x28
	s_lshl_b32 s20, s7, 6
	s_lshl_b32 s33, s6, 6
	s_mov_b32 s21, 0
	v_mov_b32_e32 v2, s20
	s_or_b32 s0, s33, 63
	v_mov_b32_e32 v3, s21
	v_mov_b32_e32 v48, s0
	;; [unrolled: 1-line block ×3, first 2 shown]
	s_waitcnt lgkmcnt(0)
	v_cmp_gt_i64_e64 s[0:1], s[12:13], v[2:3]
	v_cmp_le_i64_e32 vcc, s[14:15], v[48:49]
	v_cndmask_b32_e64 v2, 0, 1, s[0:1]
	v_cmp_ne_u32_e64 s[0:1], 1, v2
	s_cbranch_vccz .LBB170_49
; %bb.1:
	s_and_b64 vcc, exec, s[0:1]
	s_cbranch_vccnz .LBB170_50
; %bb.2:
	v_lshlrev_b32_e32 v21, 3, v1
	v_add_co_u32_e32 v9, vcc, s20, v21
	v_addc_co_u32_e64 v10, s[2:3], 0, 0, vcc
	v_mul_lo_u32 v7, s15, v9
	v_mul_lo_u32 v8, s14, v10
	v_mad_u64_u32 v[5:6], s[2:3], s14, v9, 0
	v_mov_b32_e32 v2, 0
	s_load_dword s7, s[4:5], 0x44
	v_add_u32_e32 v3, s33, v0
	v_mov_b32_e32 v4, v2
	v_add3_u32 v6, v6, v8, v7
	v_cmp_gt_i64_e64 s[2:3], s[14:15], v[3:4]
	v_lshlrev_b64 v[19:20], 1, v[3:4]
	v_lshlrev_b64 v[3:4], 1, v[5:6]
	s_add_u32 s22, s4, 64
	v_mov_b32_e32 v7, s17
	v_add_co_u32_e32 v22, vcc, s16, v3
	s_addc_u32 s23, s5, 0
	s_waitcnt lgkmcnt(0)
	s_lshl_b32 s7, s7, 6
	v_addc_co_u32_e32 v23, vcc, v7, v4, vcc
	s_mul_i32 s8, s15, s7
	s_mul_hi_u32 s9, s14, s7
	v_add_co_u32_e32 v7, vcc, 7, v9
	s_add_i32 s9, s9, s8
	s_mul_i32 s8, s14, s7
	v_addc_co_u32_e32 v8, vcc, 0, v10, vcc
	s_lshl_b64 s[24:25], s[8:9], 1
	v_mul_lo_u32 v12, s15, v7
	v_mul_lo_u32 v13, s14, v8
	v_mad_u64_u32 v[7:8], s[8:9], s14, v7, 0
	v_mov_b32_e32 v11, s19
	v_add_co_u32_e32 v24, vcc, s18, v3
	v_add3_u32 v8, v8, v13, v12
	v_addc_co_u32_e32 v25, vcc, v11, v4, vcc
	v_lshlrev_b64 v[3:4], 1, v[7:8]
	v_mov_b32_e32 v7, s17
	v_add_co_u32_e32 v26, vcc, s16, v3
	v_addc_co_u32_e32 v27, vcc, v7, v4, vcc
	v_add_co_u32_e32 v7, vcc, 6, v9
	v_addc_co_u32_e32 v8, vcc, 0, v10, vcc
	v_mul_lo_u32 v12, s15, v7
	v_mul_lo_u32 v13, s14, v8
	v_mad_u64_u32 v[7:8], s[8:9], s14, v7, 0
	v_add_co_u32_e32 v28, vcc, s18, v3
	v_add3_u32 v8, v8, v13, v12
	v_addc_co_u32_e32 v29, vcc, v11, v4, vcc
	v_lshlrev_b64 v[3:4], 1, v[7:8]
	v_mov_b32_e32 v7, s17
	v_add_co_u32_e32 v30, vcc, s16, v3
	v_addc_co_u32_e32 v31, vcc, v7, v4, vcc
	v_add_co_u32_e32 v7, vcc, 5, v9
	v_addc_co_u32_e32 v8, vcc, 0, v10, vcc
	v_mul_lo_u32 v12, s15, v7
	v_mul_lo_u32 v13, s14, v8
	v_mad_u64_u32 v[7:8], s[8:9], s14, v7, 0
	;; [unrolled: 12-line block ×5, first 2 shown]
	v_add_co_u32_e32 v44, vcc, s18, v3
	v_add3_u32 v8, v8, v10, v9
	v_addc_co_u32_e32 v45, vcc, v11, v4, vcc
	v_lshlrev_b64 v[3:4], 1, v[7:8]
	v_mov_b32_e32 v7, s17
	v_add_co_u32_e32 v46, vcc, s16, v3
	v_addc_co_u32_e32 v47, vcc, v7, v4, vcc
	v_mov_b32_e32 v7, s19
	v_add_co_u32_e32 v48, vcc, s18, v3
	v_addc_co_u32_e32 v50, vcc, v7, v4, vcc
	;; [unrolled: 3-line block ×3, first 2 shown]
	v_lshlrev_b64 v[3:4], 1, v[3:4]
	v_mov_b32_e32 v5, s17
	v_add_co_u32_e32 v51, vcc, s16, v3
	v_addc_co_u32_e32 v52, vcc, v5, v4, vcc
	v_add_co_u32_e32 v53, vcc, s18, v3
	v_mbcnt_lo_u32_b32 v3, -1, 0
	v_mbcnt_hi_u32_b32 v3, -1, v3
	v_mov_b32_e32 v5, s19
	s_add_u32 s26, s20, 63
	v_lshlrev_b32_e32 v3, 2, v3
	v_addc_co_u32_e32 v54, vcc, v5, v4, vcc
	s_addc_u32 s27, 0, 0
	v_and_b32_e32 v55, 0x100, v3
	s_mov_b64 s[28:29], s[20:21]
	v_mov_b32_e32 v56, 0
.LBB170_3:                              ; =>This Inner Loop Header: Depth=1
	v_mov_b32_e32 v3, s12
	v_mov_b32_e32 v4, s13
	v_cmp_ge_i64_e32 vcc, s[26:27], v[3:4]
	v_mov_b32_e32 v3, s27
	v_add_co_u32_e64 v57, s[8:9], s26, v21
	v_addc_co_u32_e64 v58, s[8:9], 0, v3, s[8:9]
	s_mov_b64 s[8:9], -1
	s_and_b64 vcc, exec, vcc
                                        ; implicit-def: $vgpr3_vgpr4_vgpr5_vgpr6_vgpr7_vgpr8_vgpr9_vgpr10
                                        ; implicit-def: $vgpr49
                                        ; implicit-def: $vgpr11_vgpr12_vgpr13_vgpr14_vgpr15_vgpr16_vgpr17_vgpr18
                                        ; implicit-def: $vgpr3
	s_cbranch_vccz .LBB170_25
; %bb.4:                                ;   in Loop: Header=BB170_3 Depth=1
	s_load_dword s8, s[22:23], 0xc
	v_mov_b32_e32 v59, 0
	s_waitcnt lgkmcnt(0)
	s_and_b32 s8, s8, 0xffff
	v_mad_u32_u24 v3, v1, s8, v0
	v_and_b32_e32 v3, 63, v3
	v_cmp_gt_u32_e32 vcc, 8, v3
	s_and_saveexec_b64 s[8:9], vcc
	s_cbranch_execz .LBB170_8
; %bb.5:                                ;   in Loop: Header=BB170_3 Depth=1
	v_add_co_u32_e32 v3, vcc, v57, v3
	v_addc_co_u32_e32 v4, vcc, 0, v58, vcc
	v_add_co_u32_e32 v3, vcc, 0xffffffc1, v3
	v_addc_co_u32_e32 v4, vcc, -1, v4, vcc
	v_cmp_gt_i64_e32 vcc, s[12:13], v[3:4]
	v_mov_b32_e32 v59, 0
	s_and_saveexec_b64 s[30:31], vcc
	s_cbranch_execz .LBB170_7
; %bb.6:                                ;   in Loop: Header=BB170_3 Depth=1
	v_lshlrev_b64 v[3:4], 2, v[3:4]
	v_mov_b32_e32 v5, s11
	v_add_co_u32_e32 v3, vcc, s10, v3
	v_addc_co_u32_e32 v4, vcc, v5, v4, vcc
	global_load_dword v59, v[3:4], off
.LBB170_7:                              ;   in Loop: Header=BB170_3 Depth=1
	s_or_b64 exec, exec, s[30:31]
.LBB170_8:                              ;   in Loop: Header=BB170_3 Depth=1
	s_or_b64 exec, exec, s[8:9]
	v_add_co_u32_e32 v3, vcc, 0xffffffc1, v57
	v_addc_co_u32_e32 v4, vcc, -1, v58, vcc
	v_mov_b32_e32 v9, v2
	v_cmp_gt_i64_e32 vcc, s[12:13], v[3:4]
	v_mov_b32_e32 v3, v2
	v_mov_b32_e32 v4, v2
	;; [unrolled: 1-line block ×15, first 2 shown]
	s_and_b64 s[30:31], s[2:3], vcc
	v_mov_b32_e32 v9, v8
	v_mov_b32_e32 v8, v7
	v_mov_b32_e32 v7, v6
	v_mov_b32_e32 v6, v5
	v_mov_b32_e32 v5, v4
	v_mov_b32_e32 v4, v3
	v_mov_b32_e32 v3, v2
	s_and_saveexec_b64 s[8:9], s[30:31]
	s_cbranch_execz .LBB170_10
; %bb.9:                                ;   in Loop: Header=BB170_3 Depth=1
	v_add_co_u32_e32 v3, vcc, v22, v19
	v_addc_co_u32_e32 v4, vcc, v23, v20, vcc
	global_load_ushort v11, v[3:4], off
	v_add_co_u32_e32 v3, vcc, v24, v19
	v_addc_co_u32_e32 v4, vcc, v25, v20, vcc
	global_load_ushort v15, v[3:4], off
	v_mov_b32_e32 v4, v2
	v_mov_b32_e32 v5, v2
	;; [unrolled: 1-line block ×13, first 2 shown]
	s_waitcnt vmcnt(1)
	v_cvt_f32_f16_e32 v3, v11
	s_waitcnt vmcnt(0)
	v_cvt_f32_f16_e32 v11, v15
	v_mov_b32_e32 v15, v2
.LBB170_10:                             ;   in Loop: Header=BB170_3 Depth=1
	s_or_b64 exec, exec, s[8:9]
	v_add_co_u32_e32 v60, vcc, 0xffffffc2, v57
	v_addc_co_u32_e32 v61, vcc, -1, v58, vcc
	v_cmp_gt_i64_e32 vcc, s[12:13], v[60:61]
	s_and_b64 s[30:31], s[2:3], vcc
	s_and_saveexec_b64 s[8:9], s[30:31]
	s_cbranch_execz .LBB170_12
; %bb.11:                               ;   in Loop: Header=BB170_3 Depth=1
	v_add_co_u32_e32 v60, vcc, v51, v19
	v_addc_co_u32_e32 v61, vcc, v52, v20, vcc
	global_load_ushort v4, v[60:61], off
	v_add_co_u32_e32 v60, vcc, v53, v19
	v_addc_co_u32_e32 v61, vcc, v54, v20, vcc
	global_load_ushort v12, v[60:61], off
	s_waitcnt vmcnt(1)
	v_cvt_f32_f16_e32 v4, v4
	s_waitcnt vmcnt(0)
	v_cvt_f32_f16_e32 v12, v12
.LBB170_12:                             ;   in Loop: Header=BB170_3 Depth=1
	s_or_b64 exec, exec, s[8:9]
	v_add_co_u32_e32 v60, vcc, 0xffffffc3, v57
	v_addc_co_u32_e32 v61, vcc, -1, v58, vcc
	v_cmp_gt_i64_e32 vcc, s[12:13], v[60:61]
	s_and_b64 s[30:31], s[2:3], vcc
	s_and_saveexec_b64 s[8:9], s[30:31]
	s_cbranch_execz .LBB170_14
; %bb.13:                               ;   in Loop: Header=BB170_3 Depth=1
	v_add_co_u32_e32 v60, vcc, v46, v19
	v_addc_co_u32_e32 v61, vcc, v47, v20, vcc
	global_load_ushort v5, v[60:61], off
	v_add_co_u32_e32 v60, vcc, v48, v19
	v_addc_co_u32_e32 v61, vcc, v50, v20, vcc
	global_load_ushort v13, v[60:61], off
	s_waitcnt vmcnt(1)
	v_cvt_f32_f16_e32 v5, v5
	s_waitcnt vmcnt(0)
	v_cvt_f32_f16_e32 v13, v13
.LBB170_14:                             ;   in Loop: Header=BB170_3 Depth=1
	;; [unrolled: 19-line block ×7, first 2 shown]
	s_or_b64 exec, exec, s[8:9]
	s_waitcnt vmcnt(0)
	ds_bpermute_b32 v49, v55, v59
	ds_bpermute_b32 v60, v55, v59 offset:4
	v_mul_f32_e32 v3, v11, v3
	ds_bpermute_b32 v11, v55, v59 offset:8
	v_mul_f32_e32 v4, v12, v4
	s_waitcnt lgkmcnt(2)
	v_fma_f32 v49, v3, v49, v56
	s_waitcnt lgkmcnt(1)
	v_fmac_f32_e32 v49, v4, v60
	ds_bpermute_b32 v3, v55, v59 offset:12
	v_mul_f32_e32 v4, v13, v5
	s_waitcnt lgkmcnt(1)
	v_fmac_f32_e32 v49, v4, v11
	ds_bpermute_b32 v4, v55, v59 offset:16
	v_mul_f32_e32 v5, v14, v6
	s_waitcnt lgkmcnt(1)
	v_fmac_f32_e32 v49, v5, v3
	v_mul_f32_e32 v3, v15, v7
	ds_bpermute_b32 v5, v55, v59 offset:20
	s_waitcnt lgkmcnt(1)
	v_fmac_f32_e32 v49, v3, v4
	ds_bpermute_b32 v4, v55, v59 offset:24
	ds_bpermute_b32 v3, v55, v59 offset:28
	v_mul_f32_e32 v6, v16, v8
	s_waitcnt lgkmcnt(2)
	v_fmac_f32_e32 v49, v6, v5
	v_mul_f32_e32 v5, v17, v9
	s_waitcnt lgkmcnt(1)
	v_fmac_f32_e32 v49, v5, v4
	s_mov_b64 s[8:9], 0
.LBB170_25:                             ;   in Loop: Header=BB170_3 Depth=1
	s_and_b64 vcc, exec, s[8:9]
	s_cbranch_vccz .LBB170_40
; %bb.26:                               ;   in Loop: Header=BB170_3 Depth=1
	s_load_dword s8, s[22:23], 0x0
	v_mov_b32_e32 v49, 0
	s_waitcnt lgkmcnt(0)
	s_cmp_lt_u32 s6, s8
	s_cselect_b32 s8, 12, 18
	s_add_u32 s8, s22, s8
	s_addc_u32 s9, s23, 0
	global_load_ushort v3, v2, s[8:9]
	s_waitcnt vmcnt(0)
	v_mad_u32_u24 v3, v1, v3, v0
	v_and_b32_e32 v3, 63, v3
	v_cmp_gt_u32_e32 vcc, 8, v3
	s_and_saveexec_b64 s[8:9], vcc
	s_cbranch_execz .LBB170_30
; %bb.27:                               ;   in Loop: Header=BB170_3 Depth=1
	v_add_co_u32_e32 v3, vcc, v57, v3
	v_addc_co_u32_e32 v4, vcc, 0, v58, vcc
	v_add_co_u32_e32 v3, vcc, 0xffffffc1, v3
	v_addc_co_u32_e32 v4, vcc, -1, v4, vcc
	v_cmp_gt_i64_e32 vcc, s[12:13], v[3:4]
	v_mov_b32_e32 v49, 0
	s_and_saveexec_b64 s[30:31], vcc
	s_cbranch_execz .LBB170_29
; %bb.28:                               ;   in Loop: Header=BB170_3 Depth=1
	v_lshlrev_b64 v[3:4], 2, v[3:4]
	v_mov_b32_e32 v5, s11
	v_add_co_u32_e32 v3, vcc, s10, v3
	v_addc_co_u32_e32 v4, vcc, v5, v4, vcc
	global_load_dword v49, v[3:4], off
.LBB170_29:                             ;   in Loop: Header=BB170_3 Depth=1
	s_or_b64 exec, exec, s[30:31]
.LBB170_30:                             ;   in Loop: Header=BB170_3 Depth=1
	s_or_b64 exec, exec, s[8:9]
	v_mov_b32_e32 v9, v2
	v_mov_b32_e32 v3, v2
	;; [unrolled: 1-line block ×23, first 2 shown]
	s_and_saveexec_b64 s[8:9], s[2:3]
	s_cbranch_execnz .LBB170_42
; %bb.31:                               ;   in Loop: Header=BB170_3 Depth=1
	s_or_b64 exec, exec, s[8:9]
	s_and_saveexec_b64 s[8:9], s[2:3]
	s_cbranch_execnz .LBB170_43
.LBB170_32:                             ;   in Loop: Header=BB170_3 Depth=1
	s_or_b64 exec, exec, s[8:9]
	s_and_saveexec_b64 s[8:9], s[2:3]
	s_cbranch_execnz .LBB170_44
.LBB170_33:                             ;   in Loop: Header=BB170_3 Depth=1
	s_or_b64 exec, exec, s[8:9]
	s_and_saveexec_b64 s[8:9], s[2:3]
	s_cbranch_execnz .LBB170_45
.LBB170_34:                             ;   in Loop: Header=BB170_3 Depth=1
	s_or_b64 exec, exec, s[8:9]
	s_and_saveexec_b64 s[8:9], s[2:3]
	s_cbranch_execnz .LBB170_46
.LBB170_35:                             ;   in Loop: Header=BB170_3 Depth=1
	s_or_b64 exec, exec, s[8:9]
	s_and_saveexec_b64 s[8:9], s[2:3]
	s_cbranch_execnz .LBB170_47
.LBB170_36:                             ;   in Loop: Header=BB170_3 Depth=1
	s_or_b64 exec, exec, s[8:9]
	s_and_saveexec_b64 s[8:9], s[2:3]
	s_cbranch_execnz .LBB170_48
.LBB170_37:                             ;   in Loop: Header=BB170_3 Depth=1
	s_or_b64 exec, exec, s[8:9]
	s_and_saveexec_b64 s[8:9], s[2:3]
	s_cbranch_execz .LBB170_39
.LBB170_38:                             ;   in Loop: Header=BB170_3 Depth=1
	v_add_co_u32_e32 v57, vcc, v26, v19
	v_addc_co_u32_e32 v58, vcc, v27, v20, vcc
	global_load_ushort v10, v[57:58], off
	v_add_co_u32_e32 v57, vcc, v28, v19
	v_addc_co_u32_e32 v58, vcc, v29, v20, vcc
	global_load_ushort v18, v[57:58], off
	s_waitcnt vmcnt(1)
	v_cvt_f32_f16_e32 v10, v10
	s_waitcnt vmcnt(0)
	v_cvt_f32_f16_e32 v18, v18
.LBB170_39:                             ;   in Loop: Header=BB170_3 Depth=1
	s_or_b64 exec, exec, s[8:9]
	s_waitcnt vmcnt(0)
	ds_bpermute_b32 v57, v55, v49
	ds_bpermute_b32 v58, v55, v49 offset:4
	v_mul_f32_e32 v3, v11, v3
	ds_bpermute_b32 v11, v55, v49 offset:8
	v_mul_f32_e32 v4, v12, v4
	s_waitcnt lgkmcnt(2)
	v_fmac_f32_e32 v56, v3, v57
	s_waitcnt lgkmcnt(1)
	v_fmac_f32_e32 v56, v4, v58
	ds_bpermute_b32 v3, v55, v49 offset:12
	v_mul_f32_e32 v4, v13, v5
	s_waitcnt lgkmcnt(1)
	v_fmac_f32_e32 v56, v4, v11
	ds_bpermute_b32 v4, v55, v49 offset:16
	v_mul_f32_e32 v5, v14, v6
	s_waitcnt lgkmcnt(1)
	v_fmac_f32_e32 v56, v5, v3
	v_mul_f32_e32 v3, v15, v7
	ds_bpermute_b32 v5, v55, v49 offset:20
	s_waitcnt lgkmcnt(1)
	v_fmac_f32_e32 v56, v3, v4
	ds_bpermute_b32 v4, v55, v49 offset:24
	ds_bpermute_b32 v3, v55, v49 offset:28
	v_mul_f32_e32 v6, v16, v8
	s_waitcnt lgkmcnt(2)
	v_fmac_f32_e32 v56, v6, v5
	v_mul_f32_e32 v5, v17, v9
	s_waitcnt lgkmcnt(1)
	v_fmac_f32_e32 v56, v5, v4
	v_mov_b32_e32 v49, v56
.LBB170_40:                             ;   in Loop: Header=BB170_3 Depth=1
	v_mul_f32_e32 v4, v10, v18
	s_waitcnt lgkmcnt(0)
	v_fmac_f32_e32 v49, v4, v3
	v_mov_b32_e32 v3, s25
	v_add_co_u32_e32 v22, vcc, s24, v22
	v_addc_co_u32_e32 v23, vcc, v23, v3, vcc
	v_add_co_u32_e32 v24, vcc, s24, v24
	v_addc_co_u32_e32 v25, vcc, v25, v3, vcc
	;; [unrolled: 2-line block ×15, first 2 shown]
	v_add_co_u32_e32 v53, vcc, s24, v53
	s_add_u32 s28, s28, s7
	v_addc_co_u32_e32 v54, vcc, v54, v3, vcc
	v_mov_b32_e32 v3, s12
	s_addc_u32 s29, s29, 0
	v_mov_b32_e32 v4, s13
	v_cmp_lt_i64_e32 vcc, s[28:29], v[3:4]
	s_add_u32 s26, s26, s7
	s_addc_u32 s27, s27, 0
	s_cbranch_vccz .LBB170_50
; %bb.41:                               ;   in Loop: Header=BB170_3 Depth=1
	v_mov_b32_e32 v56, v49
	s_branch .LBB170_3
.LBB170_42:                             ;   in Loop: Header=BB170_3 Depth=1
	v_add_co_u32_e32 v3, vcc, v22, v19
	v_addc_co_u32_e32 v4, vcc, v23, v20, vcc
	global_load_ushort v11, v[3:4], off
	v_add_co_u32_e32 v3, vcc, v24, v19
	v_addc_co_u32_e32 v4, vcc, v25, v20, vcc
	global_load_ushort v15, v[3:4], off
	v_mov_b32_e32 v4, v2
	v_mov_b32_e32 v5, v2
	;; [unrolled: 1-line block ×13, first 2 shown]
	s_waitcnt vmcnt(1)
	v_cvt_f32_f16_e32 v3, v11
	s_waitcnt vmcnt(0)
	v_cvt_f32_f16_e32 v11, v15
	v_mov_b32_e32 v15, v2
	s_or_b64 exec, exec, s[8:9]
	s_and_saveexec_b64 s[8:9], s[2:3]
	s_cbranch_execz .LBB170_32
.LBB170_43:                             ;   in Loop: Header=BB170_3 Depth=1
	v_add_co_u32_e32 v57, vcc, v51, v19
	v_addc_co_u32_e32 v58, vcc, v52, v20, vcc
	global_load_ushort v4, v[57:58], off
	v_add_co_u32_e32 v57, vcc, v53, v19
	v_addc_co_u32_e32 v58, vcc, v54, v20, vcc
	global_load_ushort v12, v[57:58], off
	s_waitcnt vmcnt(1)
	v_cvt_f32_f16_e32 v4, v4
	s_waitcnt vmcnt(0)
	v_cvt_f32_f16_e32 v12, v12
	s_or_b64 exec, exec, s[8:9]
	s_and_saveexec_b64 s[8:9], s[2:3]
	s_cbranch_execz .LBB170_33
.LBB170_44:                             ;   in Loop: Header=BB170_3 Depth=1
	v_add_co_u32_e32 v57, vcc, v46, v19
	v_addc_co_u32_e32 v58, vcc, v47, v20, vcc
	global_load_ushort v5, v[57:58], off
	v_add_co_u32_e32 v57, vcc, v48, v19
	v_addc_co_u32_e32 v58, vcc, v50, v20, vcc
	global_load_ushort v13, v[57:58], off
	s_waitcnt vmcnt(1)
	v_cvt_f32_f16_e32 v5, v5
	s_waitcnt vmcnt(0)
	v_cvt_f32_f16_e32 v13, v13
	s_or_b64 exec, exec, s[8:9]
	s_and_saveexec_b64 s[8:9], s[2:3]
	s_cbranch_execz .LBB170_34
.LBB170_45:                             ;   in Loop: Header=BB170_3 Depth=1
	v_add_co_u32_e32 v57, vcc, v42, v19
	v_addc_co_u32_e32 v58, vcc, v43, v20, vcc
	global_load_ushort v6, v[57:58], off
	v_add_co_u32_e32 v57, vcc, v44, v19
	v_addc_co_u32_e32 v58, vcc, v45, v20, vcc
	global_load_ushort v14, v[57:58], off
	s_waitcnt vmcnt(1)
	v_cvt_f32_f16_e32 v6, v6
	s_waitcnt vmcnt(0)
	v_cvt_f32_f16_e32 v14, v14
	s_or_b64 exec, exec, s[8:9]
	s_and_saveexec_b64 s[8:9], s[2:3]
	s_cbranch_execz .LBB170_35
.LBB170_46:                             ;   in Loop: Header=BB170_3 Depth=1
	v_add_co_u32_e32 v57, vcc, v38, v19
	v_addc_co_u32_e32 v58, vcc, v39, v20, vcc
	global_load_ushort v7, v[57:58], off
	v_add_co_u32_e32 v57, vcc, v40, v19
	v_addc_co_u32_e32 v58, vcc, v41, v20, vcc
	global_load_ushort v15, v[57:58], off
	s_waitcnt vmcnt(1)
	v_cvt_f32_f16_e32 v7, v7
	s_waitcnt vmcnt(0)
	v_cvt_f32_f16_e32 v15, v15
	s_or_b64 exec, exec, s[8:9]
	s_and_saveexec_b64 s[8:9], s[2:3]
	s_cbranch_execz .LBB170_36
.LBB170_47:                             ;   in Loop: Header=BB170_3 Depth=1
	v_add_co_u32_e32 v57, vcc, v34, v19
	v_addc_co_u32_e32 v58, vcc, v35, v20, vcc
	global_load_ushort v8, v[57:58], off
	v_add_co_u32_e32 v57, vcc, v36, v19
	v_addc_co_u32_e32 v58, vcc, v37, v20, vcc
	global_load_ushort v16, v[57:58], off
	s_waitcnt vmcnt(1)
	v_cvt_f32_f16_e32 v8, v8
	s_waitcnt vmcnt(0)
	v_cvt_f32_f16_e32 v16, v16
	s_or_b64 exec, exec, s[8:9]
	s_and_saveexec_b64 s[8:9], s[2:3]
	s_cbranch_execz .LBB170_37
.LBB170_48:                             ;   in Loop: Header=BB170_3 Depth=1
	v_add_co_u32_e32 v57, vcc, v30, v19
	v_addc_co_u32_e32 v58, vcc, v31, v20, vcc
	global_load_ushort v9, v[57:58], off
	v_add_co_u32_e32 v57, vcc, v32, v19
	v_addc_co_u32_e32 v58, vcc, v33, v20, vcc
	global_load_ushort v17, v[57:58], off
	s_waitcnt vmcnt(1)
	v_cvt_f32_f16_e32 v9, v9
	s_waitcnt vmcnt(0)
	v_cvt_f32_f16_e32 v17, v17
	s_or_b64 exec, exec, s[8:9]
	s_and_saveexec_b64 s[8:9], s[2:3]
	s_cbranch_execnz .LBB170_38
	s_branch .LBB170_39
.LBB170_49:
                                        ; implicit-def: $vgpr49
	s_branch .LBB170_51
.LBB170_50:
	s_cbranch_execnz .LBB170_83
.LBB170_51:
	s_and_b64 vcc, exec, s[0:1]
	v_mov_b32_e32 v49, 0
	s_cbranch_vccnz .LBB170_83
; %bb.52:
	v_lshlrev_b32_e32 v50, 3, v1
	v_add_co_u32_e32 v6, vcc, s20, v50
	v_addc_co_u32_e64 v7, s[0:1], 0, 0, vcc
	s_load_dword s7, s[4:5], 0x44
	v_mul_lo_u32 v2, s15, v6
	v_mul_lo_u32 v3, s14, v7
	v_mad_u64_u32 v[4:5], s[0:1], s14, v6, 0
	s_add_u32 s2, s4, 64
	s_addc_u32 s3, s5, 0
	v_add3_u32 v5, v5, v3, v2
	s_waitcnt lgkmcnt(0)
	s_lshl_b32 s7, s7, 6
	v_lshlrev_b64 v[2:3], 1, v[4:5]
	s_mul_i32 s0, s15, s7
	s_mul_hi_u32 s1, s14, s7
	v_mov_b32_e32 v8, s17
	v_add_co_u32_e32 v51, vcc, s16, v2
	s_add_i32 s1, s1, s0
	s_mul_i32 s0, s14, s7
	v_addc_co_u32_e32 v52, vcc, v8, v3, vcc
	s_lshl_b64 s[8:9], s[0:1], 1
	v_mov_b32_e32 v8, s19
	v_add_co_u32_e32 v53, vcc, s18, v2
	s_add_u32 s22, s20, 63
	v_addc_co_u32_e32 v54, vcc, v8, v3, vcc
	s_addc_u32 s23, 0, 0
	v_lshlrev_b32_e32 v2, 4, v1
	s_lshl_b64 s[0:1], s[20:21], 1
	v_mov_b32_e32 v3, s1
	v_add_co_u32_e32 v8, vcc, s0, v2
	v_addc_co_u32_e32 v9, vcc, 0, v3, vcc
	v_add_co_u32_e32 v12, vcc, 2, v8
	v_addc_co_u32_e32 v10, vcc, 0, v9, vcc
	v_mov_b32_e32 v2, s16
	v_mul_lo_u32 v14, s14, v10
	v_mov_b32_e32 v10, s18
	v_mov_b32_e32 v3, s17
	v_mov_b32_e32 v11, s19
	v_mad_u64_u32 v[19:20], s[0:1], s14, v12, v[2:3]
	v_mul_lo_u32 v15, s15, v12
	v_mad_u64_u32 v[21:22], s[0:1], s14, v12, v[10:11]
	v_add_co_u32_e32 v12, vcc, 4, v8
	v_addc_co_u32_e32 v16, vcc, 0, v9, vcc
	v_mov_b32_e32 v13, s15
	v_add_co_u32_e32 v4, vcc, s14, v4
	v_addc_co_u32_e32 v5, vcc, v5, v13, vcc
	v_mul_lo_u32 v17, s15, v12
	v_mad_u64_u32 v[23:24], s[0:1], s14, v12, v[2:3]
	v_mad_u64_u32 v[25:26], s[0:1], s14, v12, v[10:11]
	v_add_co_u32_e32 v12, vcc, 6, v8
	v_addc_co_u32_e32 v13, vcc, 0, v9, vcc
	v_add3_u32 v20, v15, v20, v14
	v_add3_u32 v22, v15, v22, v14
	v_mul_lo_u32 v13, s14, v13
	v_mul_lo_u32 v14, s15, v12
	v_mad_u64_u32 v[27:28], s[0:1], s14, v12, v[2:3]
	v_mad_u64_u32 v[29:30], s[0:1], s14, v12, v[10:11]
	v_add_co_u32_e32 v12, vcc, 8, v8
	v_mul_lo_u32 v16, s14, v16
	v_addc_co_u32_e32 v15, vcc, 0, v9, vcc
	v_mul_lo_u32 v18, s15, v12
	v_mad_u64_u32 v[31:32], s[0:1], s14, v12, v[2:3]
	v_mad_u64_u32 v[33:34], s[0:1], s14, v12, v[10:11]
	v_add_co_u32_e32 v12, vcc, 10, v8
	v_add3_u32 v28, v14, v28, v13
	v_add3_u32 v30, v14, v30, v13
	v_addc_co_u32_e32 v13, vcc, 0, v9, vcc
	v_mul_lo_u32 v14, s15, v12
	v_mad_u64_u32 v[35:36], s[0:1], s14, v12, v[2:3]
	v_mad_u64_u32 v[37:38], s[0:1], s14, v12, v[10:11]
	v_add_co_u32_e32 v12, vcc, 12, v8
	v_add3_u32 v24, v17, v24, v16
	v_add3_u32 v26, v17, v26, v16
	v_addc_co_u32_e32 v16, vcc, 0, v9, vcc
	v_add_co_u32_e32 v8, vcc, 14, v8
	v_addc_co_u32_e32 v9, vcc, 0, v9, vcc
	v_mad_u64_u32 v[39:40], s[0:1], s14, v12, v[2:3]
	v_mad_u64_u32 v[43:44], s[0:1], s14, v8, v[2:3]
	v_add_co_u32_e32 v2, vcc, 7, v6
	v_addc_co_u32_e32 v3, vcc, 0, v7, vcc
	v_mad_u64_u32 v[41:42], s[0:1], s14, v12, v[10:11]
	v_mad_u64_u32 v[45:46], s[0:1], s14, v8, v[10:11]
	v_mul_lo_u32 v10, s14, v3
	v_mul_lo_u32 v11, s15, v2
	v_mad_u64_u32 v[2:3], s[0:1], s14, v2, 0
	v_mul_lo_u32 v9, s14, v9
	v_mul_lo_u32 v8, s15, v8
	v_add3_u32 v3, v3, v10, v11
	v_lshlrev_b64 v[2:3], 1, v[2:3]
	v_mul_lo_u32 v17, s15, v12
	v_add3_u32 v44, v8, v44, v9
	v_add3_u32 v46, v8, v46, v9
	v_mov_b32_e32 v8, s17
	v_add_co_u32_e32 v55, vcc, s16, v2
	v_addc_co_u32_e32 v56, vcc, v8, v3, vcc
	v_add_co_u32_e32 v8, vcc, 6, v6
	v_addc_co_u32_e32 v9, vcc, 0, v7, vcc
	v_mul_lo_u32 v11, s14, v9
	v_mul_lo_u32 v12, s15, v8
	v_mad_u64_u32 v[8:9], s[0:1], s14, v8, 0
	v_mov_b32_e32 v10, s19
	v_add_co_u32_e32 v57, vcc, s18, v2
	v_add3_u32 v9, v9, v11, v12
	v_addc_co_u32_e32 v58, vcc, v10, v3, vcc
	v_lshlrev_b64 v[2:3], 1, v[8:9]
	v_mov_b32_e32 v8, s17
	v_add_co_u32_e32 v59, vcc, s16, v2
	v_addc_co_u32_e32 v60, vcc, v8, v3, vcc
	v_add_co_u32_e32 v8, vcc, 5, v6
	v_addc_co_u32_e32 v9, vcc, 0, v7, vcc
	v_mul_lo_u32 v11, s14, v9
	v_mul_lo_u32 v12, s15, v8
	v_mad_u64_u32 v[8:9], s[0:1], s14, v8, 0
	v_add_co_u32_e32 v61, vcc, s18, v2
	v_add3_u32 v9, v9, v11, v12
	v_addc_co_u32_e32 v62, vcc, v10, v3, vcc
	v_lshlrev_b64 v[2:3], 1, v[8:9]
	v_mov_b32_e32 v8, s17
	v_add_co_u32_e32 v63, vcc, s16, v2
	v_addc_co_u32_e32 v64, vcc, v8, v3, vcc
	v_add_co_u32_e32 v8, vcc, 4, v6
	v_addc_co_u32_e32 v9, vcc, 0, v7, vcc
	v_mul_lo_u32 v11, s14, v9
	v_mul_lo_u32 v12, s15, v8
	v_mad_u64_u32 v[8:9], s[0:1], s14, v8, 0
	v_add_co_u32_e32 v65, vcc, s18, v2
	v_add3_u32 v9, v9, v11, v12
	v_addc_co_u32_e32 v66, vcc, v10, v3, vcc
	v_lshlrev_b64 v[2:3], 1, v[8:9]
	v_mov_b32_e32 v8, s17
	v_add_co_u32_e32 v67, vcc, s16, v2
	v_addc_co_u32_e32 v68, vcc, v8, v3, vcc
	v_add_co_u32_e32 v8, vcc, 3, v6
	v_addc_co_u32_e32 v9, vcc, 0, v7, vcc
	v_mul_lo_u32 v11, s14, v9
	v_mul_lo_u32 v12, s15, v8
	v_mad_u64_u32 v[8:9], s[0:1], s14, v8, 0
	v_add_co_u32_e32 v69, vcc, s18, v2
	v_add3_u32 v9, v9, v11, v12
	v_addc_co_u32_e32 v70, vcc, v10, v3, vcc
	v_lshlrev_b64 v[2:3], 1, v[8:9]
	v_mov_b32_e32 v8, s17
	v_add_co_u32_e32 v71, vcc, s16, v2
	v_addc_co_u32_e32 v72, vcc, v8, v3, vcc
	v_add_co_u32_e32 v6, vcc, 2, v6
	v_addc_co_u32_e32 v7, vcc, 0, v7, vcc
	v_mul_lo_u32 v9, s14, v7
	v_mul_lo_u32 v10, s15, v6
	v_mad_u64_u32 v[6:7], s[0:1], s14, v6, 0
	v_mov_b32_e32 v8, s19
	v_add_co_u32_e32 v73, vcc, s18, v2
	v_add3_u32 v7, v7, v9, v10
	v_addc_co_u32_e32 v74, vcc, v8, v3, vcc
	v_lshlrev_b64 v[2:3], 1, v[6:7]
	v_mov_b32_e32 v6, s17
	v_add_co_u32_e32 v75, vcc, s16, v2
	v_addc_co_u32_e32 v76, vcc, v6, v3, vcc
	v_mov_b32_e32 v6, s19
	v_add_co_u32_e32 v77, vcc, s18, v2
	v_addc_co_u32_e32 v78, vcc, v6, v3, vcc
	v_lshlrev_b64 v[2:3], 1, v[4:5]
	v_mov_b32_e32 v4, s17
	v_add_co_u32_e32 v79, vcc, s16, v2
	v_addc_co_u32_e32 v80, vcc, v4, v3, vcc
	v_mov_b32_e32 v4, s19
	v_add_co_u32_e32 v81, vcc, s18, v2
	v_mov_b32_e32 v2, 0
	v_mul_lo_u32 v15, s14, v15
	v_mul_lo_u32 v13, s14, v13
	;; [unrolled: 1-line block ×3, first 2 shown]
	v_addc_co_u32_e32 v82, vcc, v4, v3, vcc
	v_add_u32_e32 v3, s33, v0
	v_mov_b32_e32 v4, v2
	v_lshlrev_b64 v[47:48], 1, v[3:4]
	v_mbcnt_lo_u32_b32 v3, -1, 0
	v_mbcnt_hi_u32_b32 v3, -1, v3
	v_lshlrev_b32_e32 v3, 2, v3
	v_add3_u32 v32, v18, v32, v15
	v_add3_u32 v34, v18, v34, v15
	;; [unrolled: 1-line block ×6, first 2 shown]
	v_and_b32_e32 v83, 0x100, v3
	v_mov_b32_e32 v84, 0
.LBB170_53:                             ; =>This Inner Loop Header: Depth=1
	v_mov_b32_e32 v3, s12
	v_mov_b32_e32 v4, s13
	v_cmp_ge_i64_e32 vcc, s[22:23], v[3:4]
	v_mov_b32_e32 v3, s23
	v_add_co_u32_e64 v85, s[0:1], s22, v50
	v_addc_co_u32_e64 v86, s[0:1], 0, v3, s[0:1]
	s_mov_b64 s[0:1], -1
                                        ; implicit-def: $vgpr49
	s_cbranch_vccz .LBB170_75
; %bb.54:                               ;   in Loop: Header=BB170_53 Depth=1
	s_load_dword s0, s[2:3], 0xc
	v_mov_b32_e32 v87, 0
	s_waitcnt lgkmcnt(0)
	s_and_b32 s0, s0, 0xffff
	v_mad_u32_u24 v3, v1, s0, v0
	v_and_b32_e32 v3, 63, v3
	v_cmp_gt_u32_e32 vcc, 8, v3
	s_and_saveexec_b64 s[0:1], vcc
	s_cbranch_execz .LBB170_58
; %bb.55:                               ;   in Loop: Header=BB170_53 Depth=1
	v_add_co_u32_e32 v3, vcc, v85, v3
	v_addc_co_u32_e32 v4, vcc, 0, v86, vcc
	v_add_co_u32_e32 v3, vcc, 0xffffffc1, v3
	v_addc_co_u32_e32 v4, vcc, -1, v4, vcc
	v_cmp_gt_i64_e32 vcc, s[12:13], v[3:4]
	v_mov_b32_e32 v87, 0
	s_and_saveexec_b64 s[16:17], vcc
	s_cbranch_execz .LBB170_57
; %bb.56:                               ;   in Loop: Header=BB170_53 Depth=1
	v_lshlrev_b64 v[3:4], 2, v[3:4]
	v_mov_b32_e32 v5, s11
	v_add_co_u32_e32 v3, vcc, s10, v3
	v_addc_co_u32_e32 v4, vcc, v5, v4, vcc
	global_load_dword v87, v[3:4], off
.LBB170_57:                             ;   in Loop: Header=BB170_53 Depth=1
	s_or_b64 exec, exec, s[16:17]
.LBB170_58:                             ;   in Loop: Header=BB170_53 Depth=1
	s_or_b64 exec, exec, s[0:1]
	v_add_co_u32_e32 v3, vcc, 0xffffffc1, v85
	v_addc_co_u32_e32 v4, vcc, -1, v86, vcc
	v_mov_b32_e32 v9, v2
	v_cmp_gt_i64_e32 vcc, s[12:13], v[3:4]
	v_mov_b32_e32 v3, v2
	v_mov_b32_e32 v4, v2
	;; [unrolled: 1-line block ×22, first 2 shown]
	s_and_saveexec_b64 s[0:1], vcc
	s_cbranch_execz .LBB170_60
; %bb.59:                               ;   in Loop: Header=BB170_53 Depth=1
	v_add_co_u32_e32 v3, vcc, v51, v47
	v_addc_co_u32_e32 v4, vcc, v52, v48, vcc
	global_load_ushort v11, v[3:4], off
	v_add_co_u32_e32 v3, vcc, v53, v47
	v_addc_co_u32_e32 v4, vcc, v54, v48, vcc
	global_load_ushort v15, v[3:4], off
	v_mov_b32_e32 v4, v2
	v_mov_b32_e32 v5, v2
	;; [unrolled: 1-line block ×13, first 2 shown]
	s_waitcnt vmcnt(1)
	v_cvt_f32_f16_e32 v3, v11
	s_waitcnt vmcnt(0)
	v_cvt_f32_f16_e32 v11, v15
	v_mov_b32_e32 v15, v2
.LBB170_60:                             ;   in Loop: Header=BB170_53 Depth=1
	s_or_b64 exec, exec, s[0:1]
	v_add_co_u32_e32 v88, vcc, 0xffffffc2, v85
	v_addc_co_u32_e32 v89, vcc, -1, v86, vcc
	v_cmp_gt_i64_e32 vcc, s[12:13], v[88:89]
	s_and_saveexec_b64 s[0:1], vcc
	s_cbranch_execz .LBB170_62
; %bb.61:                               ;   in Loop: Header=BB170_53 Depth=1
	v_add_co_u32_e32 v88, vcc, v79, v47
	v_addc_co_u32_e32 v89, vcc, v80, v48, vcc
	global_load_ushort v4, v[88:89], off
	v_add_co_u32_e32 v88, vcc, v81, v47
	v_addc_co_u32_e32 v89, vcc, v82, v48, vcc
	global_load_ushort v12, v[88:89], off
	s_waitcnt vmcnt(1)
	v_cvt_f32_f16_e32 v4, v4
	s_waitcnt vmcnt(0)
	v_cvt_f32_f16_e32 v12, v12
.LBB170_62:                             ;   in Loop: Header=BB170_53 Depth=1
	s_or_b64 exec, exec, s[0:1]
	v_add_co_u32_e32 v88, vcc, 0xffffffc3, v85
	v_addc_co_u32_e32 v89, vcc, -1, v86, vcc
	v_cmp_gt_i64_e32 vcc, s[12:13], v[88:89]
	s_and_saveexec_b64 s[0:1], vcc
	s_cbranch_execz .LBB170_64
; %bb.63:                               ;   in Loop: Header=BB170_53 Depth=1
	v_add_co_u32_e32 v88, vcc, v75, v47
	v_addc_co_u32_e32 v89, vcc, v76, v48, vcc
	global_load_ushort v5, v[88:89], off
	v_add_co_u32_e32 v88, vcc, v77, v47
	v_addc_co_u32_e32 v89, vcc, v78, v48, vcc
	global_load_ushort v13, v[88:89], off
	s_waitcnt vmcnt(1)
	v_cvt_f32_f16_e32 v5, v5
	s_waitcnt vmcnt(0)
	v_cvt_f32_f16_e32 v13, v13
.LBB170_64:                             ;   in Loop: Header=BB170_53 Depth=1
	;; [unrolled: 18-line block ×7, first 2 shown]
	s_or_b64 exec, exec, s[0:1]
	s_waitcnt vmcnt(0)
	ds_bpermute_b32 v49, v83, v87
	ds_bpermute_b32 v88, v83, v87 offset:4
	v_mul_f32_e32 v3, v11, v3
	ds_bpermute_b32 v11, v83, v87 offset:8
	v_mul_f32_e32 v4, v12, v4
	s_waitcnt lgkmcnt(2)
	v_fma_f32 v49, v3, v49, v84
	s_waitcnt lgkmcnt(1)
	v_fmac_f32_e32 v49, v4, v88
	ds_bpermute_b32 v3, v83, v87 offset:12
	v_mul_f32_e32 v4, v13, v5
	s_waitcnt lgkmcnt(1)
	v_fmac_f32_e32 v49, v4, v11
	ds_bpermute_b32 v4, v83, v87 offset:16
	v_mul_f32_e32 v5, v14, v6
	s_waitcnt lgkmcnt(1)
	v_fmac_f32_e32 v49, v5, v3
	v_mul_f32_e32 v3, v15, v7
	ds_bpermute_b32 v5, v83, v87 offset:20
	s_waitcnt lgkmcnt(1)
	v_fmac_f32_e32 v49, v3, v4
	ds_bpermute_b32 v3, v83, v87 offset:24
	ds_bpermute_b32 v6, v83, v87 offset:28
	v_mul_f32_e32 v4, v16, v8
	s_waitcnt lgkmcnt(2)
	v_fmac_f32_e32 v49, v4, v5
	v_mul_f32_e32 v4, v17, v9
	s_waitcnt lgkmcnt(1)
	v_fmac_f32_e32 v49, v4, v3
	;; [unrolled: 3-line block ×3, first 2 shown]
	s_mov_b64 s[0:1], 0
.LBB170_75:                             ;   in Loop: Header=BB170_53 Depth=1
	s_and_b64 vcc, exec, s[0:1]
	s_cbranch_vccz .LBB170_81
; %bb.76:                               ;   in Loop: Header=BB170_53 Depth=1
	s_load_dword s0, s[2:3], 0x0
	v_mov_b32_e32 v5, 0
	s_waitcnt lgkmcnt(0)
	s_cmp_lt_u32 s6, s0
	s_cselect_b32 s0, 12, 18
	s_add_u32 s0, s2, s0
	s_addc_u32 s1, s3, 0
	global_load_ushort v3, v2, s[0:1]
	s_waitcnt vmcnt(0)
	v_mad_u32_u24 v3, v1, v3, v0
	v_and_b32_e32 v3, 63, v3
	v_cmp_gt_u32_e32 vcc, 8, v3
	s_and_saveexec_b64 s[0:1], vcc
	s_cbranch_execz .LBB170_80
; %bb.77:                               ;   in Loop: Header=BB170_53 Depth=1
	v_add_co_u32_e32 v3, vcc, v85, v3
	v_addc_co_u32_e32 v4, vcc, 0, v86, vcc
	v_add_co_u32_e32 v3, vcc, 0xffffffc1, v3
	v_addc_co_u32_e32 v4, vcc, -1, v4, vcc
	v_cmp_gt_i64_e32 vcc, s[12:13], v[3:4]
	v_mov_b32_e32 v5, 0
	s_and_saveexec_b64 s[16:17], vcc
	s_cbranch_execz .LBB170_79
; %bb.78:                               ;   in Loop: Header=BB170_53 Depth=1
	v_lshlrev_b64 v[3:4], 2, v[3:4]
	v_mov_b32_e32 v5, s11
	v_add_co_u32_e32 v3, vcc, s10, v3
	v_addc_co_u32_e32 v4, vcc, v5, v4, vcc
	global_load_dword v5, v[3:4], off
.LBB170_79:                             ;   in Loop: Header=BB170_53 Depth=1
	s_or_b64 exec, exec, s[16:17]
.LBB170_80:                             ;   in Loop: Header=BB170_53 Depth=1
	s_or_b64 exec, exec, s[0:1]
	v_add_co_u32_e32 v3, vcc, v51, v47
	v_addc_co_u32_e32 v4, vcc, v52, v48, vcc
	global_load_ushort v6, v[3:4], off
	v_add_co_u32_e32 v3, vcc, v53, v47
	v_addc_co_u32_e32 v4, vcc, v54, v48, vcc
	global_load_ushort v7, v[3:4], off
	;; [unrolled: 3-line block ×16, first 2 shown]
	s_waitcnt vmcnt(16)
	ds_bpermute_b32 v86, v83, v5 offset:4
	s_waitcnt vmcnt(15)
	v_cvt_f32_f16_e32 v4, v6
	s_waitcnt vmcnt(14)
	v_cvt_f32_f16_e32 v6, v7
	v_mul_f32_e32 v4, v4, v6
	s_waitcnt vmcnt(13)
	v_cvt_f32_f16_e32 v7, v8
	s_waitcnt vmcnt(12)
	v_cvt_f32_f16_e32 v8, v9
	v_mul_f32_e32 v6, v7, v8
	;; [unrolled: 5-line block ×3, first 2 shown]
	s_waitcnt vmcnt(9)
	v_cvt_f32_f16_e32 v11, v12
	s_waitcnt vmcnt(8)
	v_cvt_f32_f16_e32 v12, v13
	;; [unrolled: 2-line block ×8, first 2 shown]
	ds_bpermute_b32 v49, v83, v5
	s_waitcnt vmcnt(1)
	v_cvt_f32_f16_e32 v85, v85
	s_waitcnt lgkmcnt(0)
	v_fmac_f32_e32 v84, v4, v49
	ds_bpermute_b32 v4, v83, v5 offset:8
	v_fmac_f32_e32 v84, v6, v86
	ds_bpermute_b32 v6, v83, v5 offset:12
	s_waitcnt vmcnt(0)
	v_cvt_f32_f16_e32 v3, v3
	s_waitcnt lgkmcnt(1)
	v_fmac_f32_e32 v84, v7, v4
	ds_bpermute_b32 v4, v83, v5 offset:16
	v_mul_f32_e32 v7, v11, v12
	s_waitcnt lgkmcnt(1)
	v_fmac_f32_e32 v84, v7, v6
	v_mul_f32_e32 v6, v13, v14
	ds_bpermute_b32 v7, v83, v5 offset:20
	s_waitcnt lgkmcnt(1)
	v_fmac_f32_e32 v84, v6, v4
	ds_bpermute_b32 v4, v83, v5 offset:24
	ds_bpermute_b32 v5, v83, v5 offset:28
	v_mul_f32_e32 v6, v15, v16
	s_waitcnt lgkmcnt(2)
	v_fmac_f32_e32 v84, v6, v7
	v_mul_f32_e32 v6, v17, v18
	s_waitcnt lgkmcnt(1)
	v_fmac_f32_e32 v84, v6, v4
	;; [unrolled: 3-line block ×3, first 2 shown]
	v_mov_b32_e32 v49, v84
.LBB170_81:                             ;   in Loop: Header=BB170_53 Depth=1
	v_mov_b32_e32 v5, s9
	v_add_co_u32_e32 v51, vcc, s8, v51
	v_addc_co_u32_e32 v52, vcc, v52, v5, vcc
	v_add_co_u32_e32 v53, vcc, s8, v53
	v_addc_co_u32_e32 v54, vcc, v54, v5, vcc
	;; [unrolled: 2-line block ×28, first 2 shown]
	s_add_u32 s20, s20, s7
	v_add_co_u32_e32 v79, vcc, s8, v79
	v_mov_b32_e32 v3, s12
	s_addc_u32 s21, s21, 0
	v_addc_co_u32_e32 v80, vcc, v80, v5, vcc
	v_mov_b32_e32 v4, s13
	v_cmp_ge_i64_e32 vcc, s[20:21], v[3:4]
	s_add_u32 s22, s22, s7
	v_add_co_u32_e64 v81, s[0:1], s8, v81
	s_addc_u32 s23, s23, 0
	v_addc_co_u32_e64 v82, s[0:1], v82, v5, s[0:1]
	s_cbranch_vccnz .LBB170_83
; %bb.82:                               ;   in Loop: Header=BB170_53 Depth=1
	v_mov_b32_e32 v84, v49
	s_branch .LBB170_53
.LBB170_83:
	s_movk_i32 s0, 0x41
	v_mad_u32_u24 v2, v1, s0, v0
	v_lshl_add_u32 v2, v2, 2, 0
	v_mov_b32_e32 v3, 0
	ds_write_b32 v2, v49
	ds_write_b32 v2, v3 offset:2080
	v_lshrrev_b32_e32 v2, 6, v0
	v_add_u32_e32 v2, v2, v1
	v_cmp_gt_u32_e32 vcc, 64, v2
	s_waitcnt lgkmcnt(0)
	s_barrier
	s_and_saveexec_b64 s[0:1], vcc
	s_cbranch_execz .LBB170_123
; %bb.84:
	s_load_dwordx2 s[4:5], s[4:5], 0x30
	v_and_b32_e32 v1, 63, v0
	v_cmp_gt_u32_e32 vcc, 8, v1
	v_mul_u32_u24_e32 v3, 0x41, v1
                                        ; implicit-def: $vgpr1
	s_and_saveexec_b64 s[0:1], vcc
; %bb.85:
	v_lshlrev_b32_e32 v1, 2, v2
	v_lshlrev_b32_e32 v4, 2, v3
	v_add3_u32 v1, 0, v1, v4
	ds_read_b32 v1, v1
; %bb.86:
	s_or_b64 exec, exec, s[0:1]
	v_mbcnt_lo_u32_b32 v4, -1, 0
	v_mbcnt_hi_u32_b32 v6, -1, v4
	v_and_b32_e32 v4, 64, v6
	v_add_u32_e32 v7, 64, v4
	v_xor_b32_e32 v4, 4, v6
	v_cmp_lt_i32_e64 s[0:1], v4, v7
	v_cndmask_b32_e64 v4, v6, v4, s[0:1]
	v_lshlrev_b32_e32 v4, 2, v4
	s_waitcnt lgkmcnt(0)
	ds_bpermute_b32 v5, v4, v1
	v_xor_b32_e32 v8, 2, v6
	v_cmp_lt_i32_e64 s[0:1], v8, v7
	s_mov_b32 s7, 0
	s_lshl_b64 s[6:7], s[6:7], 6
	s_waitcnt lgkmcnt(0)
	v_add_f32_e32 v1, v1, v5
	v_cndmask_b32_e64 v5, v6, v8, s[0:1]
	v_lshlrev_b32_e32 v5, 2, v5
	ds_bpermute_b32 v8, v5, v1
	v_cmp_ne_u32_e64 s[0:1], 0, v0
	v_xor_b32_e32 v0, 1, v6
	v_cmp_lt_i32_e64 s[2:3], v0, v7
	v_cndmask_b32_e64 v0, v6, v0, s[2:3]
	s_waitcnt lgkmcnt(0)
	v_add_f32_e32 v8, v1, v8
	v_lshlrev_b32_e32 v6, 2, v0
	ds_bpermute_b32 v7, v6, v8
	v_or_b32_e32 v0, s6, v2
	v_mov_b32_e32 v1, s7
	v_cmp_le_i64_e64 s[2:3], s[14:15], v[0:1]
	s_cmp_eq_u64 s[4:5], 0
	s_cselect_b64 s[8:9], -1, 0
	s_or_b64 s[2:3], s[0:1], s[2:3]
	s_waitcnt lgkmcnt(0)
	v_add_f32_e32 v7, v8, v7
	s_nor_b64 s[2:3], s[8:9], s[2:3]
	s_and_saveexec_b64 s[10:11], s[2:3]
	s_cbranch_execz .LBB170_88
; %bb.87:
	v_lshlrev_b64 v[0:1], 1, v[0:1]
	v_cvt_f16_f32_e32 v9, v7
	v_mov_b32_e32 v8, s5
	v_add_co_u32_e64 v0, s[2:3], s4, v0
	v_addc_co_u32_e64 v1, s[2:3], v8, v1, s[2:3]
	global_store_short v[0:1], v9, off
.LBB170_88:
	s_or_b64 exec, exec, s[10:11]
	v_cmp_gt_u32_e64 s[2:3], 56, v2
	s_and_b64 exec, exec, s[2:3]
	s_cbranch_execz .LBB170_123
; %bb.89:
	s_and_saveexec_b64 s[2:3], vcc
; %bb.90:
	v_lshlrev_b32_e32 v0, 2, v2
	v_lshlrev_b32_e32 v1, 2, v3
	v_add3_u32 v0, 0, v0, v1
	ds_read_b32 v7, v0 offset:32
; %bb.91:
	s_or_b64 exec, exec, s[2:3]
	s_waitcnt lgkmcnt(0)
	ds_bpermute_b32 v0, v4, v7
	v_mov_b32_e32 v8, s7
	s_waitcnt lgkmcnt(0)
	v_add_f32_e32 v0, v7, v0
	ds_bpermute_b32 v1, v5, v0
	v_add_u32_e32 v7, 8, v2
	s_waitcnt lgkmcnt(0)
	v_add_f32_e32 v9, v0, v1
	ds_bpermute_b32 v10, v6, v9
	v_add_co_u32_e64 v0, s[2:3], s6, v7
	v_addc_co_u32_e64 v1, s[2:3], 0, v8, s[2:3]
	v_cmp_le_i64_e64 s[2:3], s[14:15], v[0:1]
	s_waitcnt lgkmcnt(0)
	v_add_f32_e32 v0, v9, v10
	s_or_b64 s[2:3], s[0:1], s[2:3]
	s_nor_b64 s[2:3], s[8:9], s[2:3]
	s_and_saveexec_b64 s[10:11], s[2:3]
	s_cbranch_execz .LBB170_93
; %bb.92:
	v_mov_b32_e32 v1, s7
	v_add_co_u32_e64 v7, s[2:3], s6, v2
	v_addc_co_u32_e64 v8, s[2:3], 0, v1, s[2:3]
	v_lshlrev_b64 v[7:8], 1, v[7:8]
	v_cvt_f16_f32_e32 v9, v0
	v_mov_b32_e32 v1, s5
	v_add_co_u32_e64 v7, s[2:3], s4, v7
	v_addc_co_u32_e64 v8, s[2:3], v1, v8, s[2:3]
	global_store_short v[7:8], v9, off offset:16
.LBB170_93:
	s_or_b64 exec, exec, s[10:11]
	v_cmp_gt_u32_e64 s[2:3], 48, v2
	s_and_b64 exec, exec, s[2:3]
	s_cbranch_execz .LBB170_123
; %bb.94:
	s_and_saveexec_b64 s[2:3], vcc
; %bb.95:
	v_lshlrev_b32_e32 v0, 2, v2
	v_lshlrev_b32_e32 v1, 2, v3
	v_add3_u32 v0, 0, v0, v1
	ds_read_b32 v0, v0 offset:64
; %bb.96:
	s_or_b64 exec, exec, s[2:3]
	s_waitcnt lgkmcnt(0)
	ds_bpermute_b32 v1, v4, v0
	v_add_u32_e32 v7, 16, v2
	v_mov_b32_e32 v8, s7
	s_waitcnt lgkmcnt(0)
	v_add_f32_e32 v0, v0, v1
	ds_bpermute_b32 v1, v5, v0
	s_waitcnt lgkmcnt(0)
	v_add_f32_e32 v9, v0, v1
	ds_bpermute_b32 v10, v6, v9
	v_add_co_u32_e64 v0, s[2:3], s6, v7
	v_addc_co_u32_e64 v1, s[2:3], 0, v8, s[2:3]
	v_cmp_le_i64_e64 s[2:3], s[14:15], v[0:1]
	s_waitcnt lgkmcnt(0)
	v_add_f32_e32 v0, v9, v10
	s_or_b64 s[2:3], s[0:1], s[2:3]
	s_nor_b64 s[2:3], s[8:9], s[2:3]
	s_and_saveexec_b64 s[10:11], s[2:3]
	s_cbranch_execz .LBB170_98
; %bb.97:
	v_mov_b32_e32 v1, s7
	v_add_co_u32_e64 v7, s[2:3], s6, v2
	v_addc_co_u32_e64 v8, s[2:3], 0, v1, s[2:3]
	v_lshlrev_b64 v[7:8], 1, v[7:8]
	v_cvt_f16_f32_e32 v9, v0
	v_mov_b32_e32 v1, s5
	v_add_co_u32_e64 v7, s[2:3], s4, v7
	v_addc_co_u32_e64 v8, s[2:3], v1, v8, s[2:3]
	global_store_short v[7:8], v9, off offset:32
.LBB170_98:
	s_or_b64 exec, exec, s[10:11]
	v_cmp_gt_u32_e64 s[2:3], 40, v2
	s_and_b64 exec, exec, s[2:3]
	s_cbranch_execz .LBB170_123
; %bb.99:
	s_and_saveexec_b64 s[2:3], vcc
; %bb.100:
	v_lshlrev_b32_e32 v0, 2, v2
	v_lshlrev_b32_e32 v1, 2, v3
	v_add3_u32 v0, 0, v0, v1
	ds_read_b32 v0, v0 offset:96
; %bb.101:
	s_or_b64 exec, exec, s[2:3]
	s_waitcnt lgkmcnt(0)
	ds_bpermute_b32 v1, v4, v0
	v_add_u32_e32 v7, 24, v2
	v_mov_b32_e32 v8, s7
	s_waitcnt lgkmcnt(0)
	v_add_f32_e32 v0, v0, v1
	ds_bpermute_b32 v1, v5, v0
	s_waitcnt lgkmcnt(0)
	v_add_f32_e32 v9, v0, v1
	ds_bpermute_b32 v10, v6, v9
	v_add_co_u32_e64 v0, s[2:3], s6, v7
	v_addc_co_u32_e64 v1, s[2:3], 0, v8, s[2:3]
	v_cmp_le_i64_e64 s[2:3], s[14:15], v[0:1]
	s_waitcnt lgkmcnt(0)
	v_add_f32_e32 v0, v9, v10
	s_or_b64 s[2:3], s[0:1], s[2:3]
	s_nor_b64 s[2:3], s[8:9], s[2:3]
	s_and_saveexec_b64 s[10:11], s[2:3]
	s_cbranch_execz .LBB170_103
; %bb.102:
	v_mov_b32_e32 v1, s7
	v_add_co_u32_e64 v7, s[2:3], s6, v2
	v_addc_co_u32_e64 v8, s[2:3], 0, v1, s[2:3]
	v_lshlrev_b64 v[7:8], 1, v[7:8]
	v_cvt_f16_f32_e32 v9, v0
	v_mov_b32_e32 v1, s5
	v_add_co_u32_e64 v7, s[2:3], s4, v7
	v_addc_co_u32_e64 v8, s[2:3], v1, v8, s[2:3]
	global_store_short v[7:8], v9, off offset:48
.LBB170_103:
	s_or_b64 exec, exec, s[10:11]
	v_cmp_gt_u32_e64 s[2:3], 32, v2
	s_and_b64 exec, exec, s[2:3]
	s_cbranch_execz .LBB170_123
; %bb.104:
	s_and_saveexec_b64 s[2:3], vcc
; %bb.105:
	v_lshlrev_b32_e32 v0, 2, v2
	v_lshlrev_b32_e32 v1, 2, v3
	v_add3_u32 v0, 0, v0, v1
	ds_read_b32 v0, v0 offset:128
; %bb.106:
	s_or_b64 exec, exec, s[2:3]
	s_waitcnt lgkmcnt(0)
	ds_bpermute_b32 v1, v4, v0
	v_add_u32_e32 v8, 32, v2
	s_waitcnt lgkmcnt(0)
	v_add_f32_e32 v0, v0, v1
	ds_bpermute_b32 v7, v5, v0
	v_mov_b32_e32 v1, s7
	s_waitcnt lgkmcnt(0)
	v_add_f32_e32 v7, v0, v7
	ds_bpermute_b32 v9, v6, v7
	v_or_b32_e32 v0, s6, v8
	v_cmp_le_i64_e64 s[2:3], s[14:15], v[0:1]
	s_or_b64 s[2:3], s[0:1], s[2:3]
	s_waitcnt lgkmcnt(0)
	v_add_f32_e32 v0, v7, v9
	s_nor_b64 s[2:3], s[8:9], s[2:3]
	s_and_saveexec_b64 s[10:11], s[2:3]
	s_cbranch_execz .LBB170_108
; %bb.107:
	v_mov_b32_e32 v1, s7
	v_add_co_u32_e64 v7, s[2:3], s6, v2
	v_addc_co_u32_e64 v8, s[2:3], 0, v1, s[2:3]
	v_lshlrev_b64 v[7:8], 1, v[7:8]
	v_cvt_f16_f32_e32 v9, v0
	v_mov_b32_e32 v1, s5
	v_add_co_u32_e64 v7, s[2:3], s4, v7
	v_addc_co_u32_e64 v8, s[2:3], v1, v8, s[2:3]
	global_store_short v[7:8], v9, off offset:64
.LBB170_108:
	s_or_b64 exec, exec, s[10:11]
	v_cmp_gt_u32_e64 s[2:3], 24, v2
	s_and_b64 exec, exec, s[2:3]
	s_cbranch_execz .LBB170_123
; %bb.109:
	s_and_saveexec_b64 s[2:3], vcc
; %bb.110:
	v_lshlrev_b32_e32 v0, 2, v2
	v_lshlrev_b32_e32 v1, 2, v3
	v_add3_u32 v0, 0, v0, v1
	ds_read_b32 v0, v0 offset:160
; %bb.111:
	s_or_b64 exec, exec, s[2:3]
	s_waitcnt lgkmcnt(0)
	ds_bpermute_b32 v1, v4, v0
	v_add_u32_e32 v7, 40, v2
	v_mov_b32_e32 v8, s7
	s_waitcnt lgkmcnt(0)
	v_add_f32_e32 v0, v0, v1
	ds_bpermute_b32 v1, v5, v0
	s_waitcnt lgkmcnt(0)
	v_add_f32_e32 v9, v0, v1
	ds_bpermute_b32 v10, v6, v9
	v_add_co_u32_e64 v0, s[2:3], s6, v7
	v_addc_co_u32_e64 v1, s[2:3], 0, v8, s[2:3]
	v_cmp_le_i64_e64 s[2:3], s[14:15], v[0:1]
	s_waitcnt lgkmcnt(0)
	v_add_f32_e32 v0, v9, v10
	s_or_b64 s[2:3], s[0:1], s[2:3]
	s_nor_b64 s[2:3], s[8:9], s[2:3]
	s_and_saveexec_b64 s[10:11], s[2:3]
	s_cbranch_execz .LBB170_113
; %bb.112:
	v_mov_b32_e32 v1, s7
	v_add_co_u32_e64 v7, s[2:3], s6, v2
	v_addc_co_u32_e64 v8, s[2:3], 0, v1, s[2:3]
	v_lshlrev_b64 v[7:8], 1, v[7:8]
	v_cvt_f16_f32_e32 v9, v0
	v_mov_b32_e32 v1, s5
	v_add_co_u32_e64 v7, s[2:3], s4, v7
	v_addc_co_u32_e64 v8, s[2:3], v1, v8, s[2:3]
	global_store_short v[7:8], v9, off offset:80
.LBB170_113:
	s_or_b64 exec, exec, s[10:11]
	v_cmp_gt_u32_e64 s[2:3], 16, v2
	s_and_b64 exec, exec, s[2:3]
	s_cbranch_execz .LBB170_123
; %bb.114:
	s_and_saveexec_b64 s[2:3], vcc
; %bb.115:
	v_lshlrev_b32_e32 v0, 2, v2
	v_lshlrev_b32_e32 v1, 2, v3
	v_add3_u32 v0, 0, v0, v1
	ds_read_b32 v0, v0 offset:192
; %bb.116:
	s_or_b64 exec, exec, s[2:3]
	s_waitcnt lgkmcnt(0)
	ds_bpermute_b32 v1, v4, v0
	v_add_u32_e32 v8, 48, v2
	s_waitcnt lgkmcnt(0)
	v_add_f32_e32 v0, v0, v1
	ds_bpermute_b32 v7, v5, v0
	v_mov_b32_e32 v1, s7
	s_waitcnt lgkmcnt(0)
	v_add_f32_e32 v7, v0, v7
	ds_bpermute_b32 v9, v6, v7
	v_or_b32_e32 v0, s6, v8
	v_cmp_le_i64_e64 s[2:3], s[14:15], v[0:1]
	s_or_b64 s[2:3], s[0:1], s[2:3]
	s_waitcnt lgkmcnt(0)
	v_add_f32_e32 v0, v7, v9
	s_nor_b64 s[2:3], s[8:9], s[2:3]
	s_and_saveexec_b64 s[10:11], s[2:3]
	s_cbranch_execz .LBB170_118
; %bb.117:
	v_mov_b32_e32 v1, s7
	v_add_co_u32_e64 v7, s[2:3], s6, v2
	v_addc_co_u32_e64 v8, s[2:3], 0, v1, s[2:3]
	v_lshlrev_b64 v[7:8], 1, v[7:8]
	v_cvt_f16_f32_e32 v9, v0
	v_mov_b32_e32 v1, s5
	v_add_co_u32_e64 v7, s[2:3], s4, v7
	v_addc_co_u32_e64 v8, s[2:3], v1, v8, s[2:3]
	global_store_short v[7:8], v9, off offset:96
.LBB170_118:
	s_or_b64 exec, exec, s[10:11]
	v_cmp_gt_u32_e64 s[2:3], 8, v2
	s_and_b64 exec, exec, s[2:3]
	s_cbranch_execz .LBB170_123
; %bb.119:
	s_and_saveexec_b64 s[2:3], vcc
; %bb.120:
	v_lshlrev_b32_e32 v0, 2, v2
	v_lshlrev_b32_e32 v1, 2, v3
	v_add3_u32 v0, 0, v0, v1
	ds_read_b32 v0, v0 offset:224
; %bb.121:
	s_or_b64 exec, exec, s[2:3]
	s_waitcnt lgkmcnt(0)
	ds_bpermute_b32 v1, v4, v0
	v_add_u32_e32 v3, 56, v2
	v_or_b32_e32 v3, s6, v3
	v_mov_b32_e32 v4, s7
	v_cmp_le_i64_e32 vcc, s[14:15], v[3:4]
	s_waitcnt lgkmcnt(0)
	v_add_f32_e32 v0, v0, v1
	ds_bpermute_b32 v1, v5, v0
	s_or_b64 s[0:1], s[0:1], vcc
	s_nor_b64 s[0:1], s[8:9], s[0:1]
	s_waitcnt lgkmcnt(0)
	v_add_f32_e32 v0, v0, v1
	ds_bpermute_b32 v1, v6, v0
	s_and_saveexec_b64 s[2:3], s[0:1]
	s_xor_b64 s[2:3], exec, s[2:3]
	s_cbranch_execz .LBB170_123
; %bb.122:
	s_waitcnt lgkmcnt(0)
	v_add_f32_e32 v3, v0, v1
	v_mov_b32_e32 v1, s7
	v_add_co_u32_e32 v0, vcc, s6, v2
	v_addc_co_u32_e32 v1, vcc, 0, v1, vcc
	v_lshlrev_b64 v[0:1], 1, v[0:1]
	v_cvt_f16_f32_e32 v3, v3
	v_mov_b32_e32 v2, s5
	v_add_co_u32_e32 v0, vcc, s4, v0
	v_addc_co_u32_e32 v1, vcc, v2, v1, vcc
	global_store_short v[0:1], v3, off offset:112
.LBB170_123:
	s_endpgm
	.section	.rodata,"a",@progbits
	.p2align	6, 0x0
	.amdhsa_kernel _ZN2at6native12_GLOBAL__N_135GammaBetaBackwardCUDAKernelTemplateIN3c104HalfEfLj64ELj8ELj64ELb0ELb0ELb1EEEvllPKT_S7_PKT0_SA_PS5_SB_
		.amdhsa_group_segment_fixed_size 0
		.amdhsa_private_segment_fixed_size 0
		.amdhsa_kernarg_size 320
		.amdhsa_user_sgpr_count 6
		.amdhsa_user_sgpr_private_segment_buffer 1
		.amdhsa_user_sgpr_dispatch_ptr 0
		.amdhsa_user_sgpr_queue_ptr 0
		.amdhsa_user_sgpr_kernarg_segment_ptr 1
		.amdhsa_user_sgpr_dispatch_id 0
		.amdhsa_user_sgpr_flat_scratch_init 0
		.amdhsa_user_sgpr_private_segment_size 0
		.amdhsa_uses_dynamic_stack 0
		.amdhsa_system_sgpr_private_segment_wavefront_offset 0
		.amdhsa_system_sgpr_workgroup_id_x 1
		.amdhsa_system_sgpr_workgroup_id_y 1
		.amdhsa_system_sgpr_workgroup_id_z 0
		.amdhsa_system_sgpr_workgroup_info 0
		.amdhsa_system_vgpr_workitem_id 1
		.amdhsa_next_free_vgpr 90
		.amdhsa_next_free_sgpr 34
		.amdhsa_reserve_vcc 1
		.amdhsa_reserve_flat_scratch 0
		.amdhsa_float_round_mode_32 0
		.amdhsa_float_round_mode_16_64 0
		.amdhsa_float_denorm_mode_32 3
		.amdhsa_float_denorm_mode_16_64 3
		.amdhsa_dx10_clamp 1
		.amdhsa_ieee_mode 1
		.amdhsa_fp16_overflow 0
		.amdhsa_exception_fp_ieee_invalid_op 0
		.amdhsa_exception_fp_denorm_src 0
		.amdhsa_exception_fp_ieee_div_zero 0
		.amdhsa_exception_fp_ieee_overflow 0
		.amdhsa_exception_fp_ieee_underflow 0
		.amdhsa_exception_fp_ieee_inexact 0
		.amdhsa_exception_int_div_zero 0
	.end_amdhsa_kernel
	.section	.text._ZN2at6native12_GLOBAL__N_135GammaBetaBackwardCUDAKernelTemplateIN3c104HalfEfLj64ELj8ELj64ELb0ELb0ELb1EEEvllPKT_S7_PKT0_SA_PS5_SB_,"axG",@progbits,_ZN2at6native12_GLOBAL__N_135GammaBetaBackwardCUDAKernelTemplateIN3c104HalfEfLj64ELj8ELj64ELb0ELb0ELb1EEEvllPKT_S7_PKT0_SA_PS5_SB_,comdat
.Lfunc_end170:
	.size	_ZN2at6native12_GLOBAL__N_135GammaBetaBackwardCUDAKernelTemplateIN3c104HalfEfLj64ELj8ELj64ELb0ELb0ELb1EEEvllPKT_S7_PKT0_SA_PS5_SB_, .Lfunc_end170-_ZN2at6native12_GLOBAL__N_135GammaBetaBackwardCUDAKernelTemplateIN3c104HalfEfLj64ELj8ELj64ELb0ELb0ELb1EEEvllPKT_S7_PKT0_SA_PS5_SB_
                                        ; -- End function
	.set _ZN2at6native12_GLOBAL__N_135GammaBetaBackwardCUDAKernelTemplateIN3c104HalfEfLj64ELj8ELj64ELb0ELb0ELb1EEEvllPKT_S7_PKT0_SA_PS5_SB_.num_vgpr, 90
	.set _ZN2at6native12_GLOBAL__N_135GammaBetaBackwardCUDAKernelTemplateIN3c104HalfEfLj64ELj8ELj64ELb0ELb0ELb1EEEvllPKT_S7_PKT0_SA_PS5_SB_.num_agpr, 0
	.set _ZN2at6native12_GLOBAL__N_135GammaBetaBackwardCUDAKernelTemplateIN3c104HalfEfLj64ELj8ELj64ELb0ELb0ELb1EEEvllPKT_S7_PKT0_SA_PS5_SB_.numbered_sgpr, 34
	.set _ZN2at6native12_GLOBAL__N_135GammaBetaBackwardCUDAKernelTemplateIN3c104HalfEfLj64ELj8ELj64ELb0ELb0ELb1EEEvllPKT_S7_PKT0_SA_PS5_SB_.num_named_barrier, 0
	.set _ZN2at6native12_GLOBAL__N_135GammaBetaBackwardCUDAKernelTemplateIN3c104HalfEfLj64ELj8ELj64ELb0ELb0ELb1EEEvllPKT_S7_PKT0_SA_PS5_SB_.private_seg_size, 0
	.set _ZN2at6native12_GLOBAL__N_135GammaBetaBackwardCUDAKernelTemplateIN3c104HalfEfLj64ELj8ELj64ELb0ELb0ELb1EEEvllPKT_S7_PKT0_SA_PS5_SB_.uses_vcc, 1
	.set _ZN2at6native12_GLOBAL__N_135GammaBetaBackwardCUDAKernelTemplateIN3c104HalfEfLj64ELj8ELj64ELb0ELb0ELb1EEEvllPKT_S7_PKT0_SA_PS5_SB_.uses_flat_scratch, 0
	.set _ZN2at6native12_GLOBAL__N_135GammaBetaBackwardCUDAKernelTemplateIN3c104HalfEfLj64ELj8ELj64ELb0ELb0ELb1EEEvllPKT_S7_PKT0_SA_PS5_SB_.has_dyn_sized_stack, 0
	.set _ZN2at6native12_GLOBAL__N_135GammaBetaBackwardCUDAKernelTemplateIN3c104HalfEfLj64ELj8ELj64ELb0ELb0ELb1EEEvllPKT_S7_PKT0_SA_PS5_SB_.has_recursion, 0
	.set _ZN2at6native12_GLOBAL__N_135GammaBetaBackwardCUDAKernelTemplateIN3c104HalfEfLj64ELj8ELj64ELb0ELb0ELb1EEEvllPKT_S7_PKT0_SA_PS5_SB_.has_indirect_call, 0
	.section	.AMDGPU.csdata,"",@progbits
; Kernel info:
; codeLenInByte = 8036
; TotalNumSgprs: 38
; NumVgprs: 90
; ScratchSize: 0
; MemoryBound: 0
; FloatMode: 240
; IeeeMode: 1
; LDSByteSize: 0 bytes/workgroup (compile time only)
; SGPRBlocks: 4
; VGPRBlocks: 22
; NumSGPRsForWavesPerEU: 38
; NumVGPRsForWavesPerEU: 90
; Occupancy: 2
; WaveLimiterHint : 0
; COMPUTE_PGM_RSRC2:SCRATCH_EN: 0
; COMPUTE_PGM_RSRC2:USER_SGPR: 6
; COMPUTE_PGM_RSRC2:TRAP_HANDLER: 0
; COMPUTE_PGM_RSRC2:TGID_X_EN: 1
; COMPUTE_PGM_RSRC2:TGID_Y_EN: 1
; COMPUTE_PGM_RSRC2:TGID_Z_EN: 0
; COMPUTE_PGM_RSRC2:TIDIG_COMP_CNT: 1
	.section	.text._ZN2at6native12_GLOBAL__N_135GammaBetaBackwardCUDAKernelTemplateIN3c104HalfEfLj64ELj16ELj128ELb0ELb1ELb1EEEvllPKT_S7_PKT0_SA_PS5_SB_,"axG",@progbits,_ZN2at6native12_GLOBAL__N_135GammaBetaBackwardCUDAKernelTemplateIN3c104HalfEfLj64ELj16ELj128ELb0ELb1ELb1EEEvllPKT_S7_PKT0_SA_PS5_SB_,comdat
	.globl	_ZN2at6native12_GLOBAL__N_135GammaBetaBackwardCUDAKernelTemplateIN3c104HalfEfLj64ELj16ELj128ELb0ELb1ELb1EEEvllPKT_S7_PKT0_SA_PS5_SB_ ; -- Begin function _ZN2at6native12_GLOBAL__N_135GammaBetaBackwardCUDAKernelTemplateIN3c104HalfEfLj64ELj16ELj128ELb0ELb1ELb1EEEvllPKT_S7_PKT0_SA_PS5_SB_
	.p2align	8
	.type	_ZN2at6native12_GLOBAL__N_135GammaBetaBackwardCUDAKernelTemplateIN3c104HalfEfLj64ELj16ELj128ELb0ELb1ELb1EEEvllPKT_S7_PKT0_SA_PS5_SB_,@function
_ZN2at6native12_GLOBAL__N_135GammaBetaBackwardCUDAKernelTemplateIN3c104HalfEfLj64ELj16ELj128ELb0ELb1ELb1EEEvllPKT_S7_PKT0_SA_PS5_SB_: ; @_ZN2at6native12_GLOBAL__N_135GammaBetaBackwardCUDAKernelTemplateIN3c104HalfEfLj64ELj16ELj128ELb0ELb1ELb1EEEvllPKT_S7_PKT0_SA_PS5_SB_
; %bb.0:
	s_load_dwordx4 s[8:11], s[4:5], 0x0
	s_lshl_b32 s18, s7, 7
	s_mov_b32 s19, 0
	v_mov_b32_e32 v2, s18
	v_mov_b32_e32 v3, s19
	s_waitcnt lgkmcnt(0)
	v_cmp_gt_i64_e32 vcc, s[8:9], v[2:3]
	s_cbranch_vccnz .LBB171_2
; %bb.1:
	s_mov_b64 s[0:1], 0
	s_branch .LBB171_3
.LBB171_2:
	s_mov_b64 s[0:1], -1
.LBB171_3:
	s_load_dwordx2 s[16:17], s[4:5], 0x30
	v_mov_b32_e32 v3, 0
	s_andn2_b64 vcc, exec, s[0:1]
	v_mbcnt_lo_u32_b32 v8, -1, 0
	s_cbranch_vccnz .LBB171_10
; %bb.4:
	s_load_dword s0, s[4:5], 0x4c
	s_load_dword s7, s[4:5], 0x44
	s_load_dwordx4 s[12:15], s[4:5], 0x10
	s_load_dwordx2 s[2:3], s[4:5], 0x28
	v_lshlrev_b32_e32 v4, 3, v1
	s_waitcnt lgkmcnt(0)
	s_and_b32 s0, s0, 0xffff
	v_mad_u32_u24 v2, v1, s0, v0
	v_and_b32_e32 v5, 63, v2
	v_add_co_u32_e32 v10, vcc, s18, v4
	v_addc_co_u32_e64 v11, s[20:21], 0, 0, vcc
	v_add_co_u32_e32 v4, vcc, v10, v5
	v_cmp_gt_u32_e64 s[0:1], 8, v5
	v_mbcnt_hi_u32_b32 v6, -1, v8
	v_addc_co_u32_e32 v5, vcc, 0, v11, vcc
	v_mul_lo_u32 v14, s11, v10
	v_mul_lo_u32 v15, s10, v11
	v_mad_u64_u32 v[11:12], s[20:21], s10, v10, 0
	v_lshlrev_b32_e32 v6, 2, v6
	v_and_b32_e32 v9, 0x100, v6
	v_lshlrev_b64 v[6:7], 2, v[4:5]
	v_mov_b32_e32 v3, 0
	v_lshl_add_u32 v2, s6, 6, v0
	v_mov_b32_e32 v13, s3
	v_add_co_u32_e32 v6, vcc, s2, v6
	v_add3_u32 v12, v12, v15, v14
	v_addc_co_u32_e32 v7, vcc, v13, v7, vcc
	v_lshlrev_b64 v[11:12], 1, v[11:12]
	v_lshlrev_b64 v[13:14], 1, v[2:3]
	s_lshl_b32 s4, s7, 7
	s_mul_i32 s2, s11, s4
	s_mul_hi_u32 s3, s10, s4
	s_mov_b32 s5, 0
	v_add_co_u32_e32 v2, vcc, v11, v13
	s_add_i32 s3, s3, s2
	s_mul_i32 s2, s10, s4
	v_or_b32_e32 v10, 20, v9
	v_addc_co_u32_e32 v11, vcc, v12, v14, vcc
	v_or_b32_e32 v12, 24, v9
	v_or_b32_e32 v13, 28, v9
	s_lshl_b64 s[20:21], s[4:5], 2
	s_lshl_b64 s[22:23], s[2:3], 1
	;; [unrolled: 1-line block ×3, first 2 shown]
	s_branch .LBB171_7
.LBB171_5:                              ;   in Loop: Header=BB171_7 Depth=1
	s_or_b64 exec, exec, s[24:25]
.LBB171_6:                              ;   in Loop: Header=BB171_7 Depth=1
	s_or_b64 exec, exec, s[2:3]
	v_mov_b32_e32 v15, s13
	v_add_co_u32_e32 v16, vcc, s12, v2
	v_addc_co_u32_e32 v17, vcc, v15, v11, vcc
	v_mov_b32_e32 v15, s11
	v_add_co_u32_e32 v18, vcc, s10, v16
	v_addc_co_u32_e32 v19, vcc, v17, v15, vcc
	global_load_ushort v22, v[16:17], off
	v_mov_b32_e32 v17, s15
	v_add_co_u32_e32 v16, vcc, s14, v2
	v_addc_co_u32_e32 v17, vcc, v17, v11, vcc
	v_add_co_u32_e32 v20, vcc, s10, v16
	global_load_ushort v16, v[16:17], off
	v_addc_co_u32_e32 v21, vcc, v17, v15, vcc
	s_add_u32 s18, s18, s4
	s_addc_u32 s19, s19, 0
	v_add_co_u32_e64 v6, s[2:3], s20, v6
	s_waitcnt vmcnt(1)
	v_cvt_f32_f16_e32 v17, v22
	global_load_ushort v22, v[18:19], off
	s_waitcnt vmcnt(1)
	v_cvt_f32_f16_e32 v16, v16
	v_mul_f32_e32 v16, v17, v16
	ds_bpermute_b32 v17, v9, v14
	s_waitcnt lgkmcnt(0)
	v_fmac_f32_e32 v3, v16, v17
	v_add_co_u32_e32 v16, vcc, s10, v18
	v_addc_co_u32_e32 v17, vcc, v19, v15, vcc
	v_add_co_u32_e32 v18, vcc, s10, v20
	global_load_ushort v20, v[20:21], off
	v_addc_co_u32_e32 v19, vcc, v21, v15, vcc
	s_waitcnt vmcnt(1)
	v_cvt_f32_f16_e32 v21, v22
	global_load_ushort v22, v[16:17], off
	s_waitcnt vmcnt(1)
	v_cvt_f32_f16_e32 v20, v20
	v_mul_f32_e32 v20, v21, v20
	v_or_b32_e32 v21, 4, v9
	ds_bpermute_b32 v21, v21, v14
	s_waitcnt lgkmcnt(0)
	v_fmac_f32_e32 v3, v20, v21
	v_add_co_u32_e32 v20, vcc, s10, v16
	v_addc_co_u32_e32 v21, vcc, v17, v15, vcc
	v_add_co_u32_e32 v16, vcc, s10, v18
	global_load_ushort v18, v[18:19], off
	v_addc_co_u32_e32 v17, vcc, v19, v15, vcc
	s_waitcnt vmcnt(1)
	v_cvt_f32_f16_e32 v19, v22
	global_load_ushort v22, v[20:21], off
	s_waitcnt vmcnt(1)
	v_cvt_f32_f16_e32 v18, v18
	v_mul_f32_e32 v18, v19, v18
	v_or_b32_e32 v19, 8, v9
	;; [unrolled: 15-line block ×4, first 2 shown]
	ds_bpermute_b32 v21, v21, v14
	s_waitcnt lgkmcnt(0)
	v_fmac_f32_e32 v3, v20, v21
	v_add_co_u32_e32 v20, vcc, s10, v16
	v_addc_co_u32_e32 v21, vcc, v17, v15, vcc
	v_add_co_u32_e32 v16, vcc, s10, v18
	global_load_ushort v18, v[18:19], off
	v_addc_co_u32_e32 v17, vcc, v19, v15, vcc
	s_waitcnt vmcnt(1)
	v_cvt_f32_f16_e32 v19, v22
	global_load_ushort v22, v[20:21], off
	s_waitcnt vmcnt(1)
	v_cvt_f32_f16_e32 v18, v18
	v_mul_f32_e32 v18, v19, v18
	ds_bpermute_b32 v19, v10, v14
	s_waitcnt lgkmcnt(0)
	v_fmac_f32_e32 v3, v18, v19
	v_add_co_u32_e32 v18, vcc, s10, v20
	v_addc_co_u32_e32 v19, vcc, v21, v15, vcc
	v_add_co_u32_e32 v20, vcc, s10, v16
	v_addc_co_u32_e32 v21, vcc, v17, v15, vcc
	global_load_ushort v15, v[16:17], off
	s_waitcnt vmcnt(1)
	v_cvt_f32_f16_e32 v16, v22
	s_waitcnt vmcnt(0)
	v_cvt_f32_f16_e32 v15, v15
	v_mul_f32_e32 v15, v16, v15
	ds_bpermute_b32 v16, v12, v14
	ds_bpermute_b32 v14, v13, v14
	s_waitcnt lgkmcnt(1)
	v_fmac_f32_e32 v3, v15, v16
	global_load_ushort v15, v[18:19], off
	global_load_ushort v16, v[20:21], off
	s_waitcnt vmcnt(1)
	v_cvt_f32_f16_e32 v15, v15
	s_waitcnt vmcnt(0)
	v_cvt_f32_f16_e32 v16, v16
	v_mul_f32_e32 v15, v15, v16
	s_waitcnt lgkmcnt(0)
	v_fmac_f32_e32 v3, v15, v14
	v_mov_b32_e32 v15, s9
	v_mov_b32_e32 v14, s8
	v_cmp_lt_i64_e32 vcc, s[18:19], v[14:15]
	v_mov_b32_e32 v14, s21
	v_addc_co_u32_e64 v7, s[2:3], v7, v14, s[2:3]
	v_add_co_u32_e64 v2, s[2:3], s22, v2
	v_mov_b32_e32 v14, s23
	v_addc_co_u32_e64 v11, s[2:3], v11, v14, s[2:3]
	v_add_co_u32_e64 v4, s[2:3], s4, v4
	v_addc_co_u32_e64 v5, s[2:3], 0, v5, s[2:3]
	s_cbranch_vccz .LBB171_10
.LBB171_7:                              ; =>This Inner Loop Header: Depth=1
	v_mov_b32_e32 v14, 0
	s_and_saveexec_b64 s[2:3], s[0:1]
	s_cbranch_execz .LBB171_6
; %bb.8:                                ;   in Loop: Header=BB171_7 Depth=1
	v_cmp_gt_i64_e32 vcc, s[8:9], v[4:5]
	v_mov_b32_e32 v14, 0
	s_and_saveexec_b64 s[24:25], vcc
	s_cbranch_execz .LBB171_5
; %bb.9:                                ;   in Loop: Header=BB171_7 Depth=1
	global_load_dword v14, v[6:7], off
	s_branch .LBB171_5
.LBB171_10:
	s_movk_i32 s0, 0x41
	v_mad_u32_u24 v2, v1, s0, v0
	v_lshl_add_u32 v2, v2, 2, 0
	ds_write_b32 v2, v3
	v_mov_b32_e32 v3, 0
	ds_write_b32 v2, v3 offset:4160
	v_lshrrev_b32_e32 v2, 6, v0
	v_add_u32_e32 v1, v2, v1
	v_cmp_gt_u32_e32 vcc, 64, v1
	s_waitcnt lgkmcnt(0)
	s_barrier
	s_and_saveexec_b64 s[0:1], vcc
	s_cbranch_execz .LBB171_30
; %bb.11:
	v_and_b32_e32 v2, 63, v0
	v_cmp_gt_u32_e32 vcc, 16, v2
	v_mul_u32_u24_e32 v3, 0x41, v2
                                        ; implicit-def: $vgpr2
	s_and_saveexec_b64 s[0:1], vcc
; %bb.12:
	v_lshlrev_b32_e32 v2, 2, v1
	v_lshlrev_b32_e32 v4, 2, v3
	v_add3_u32 v2, 0, v2, v4
	ds_read_b32 v2, v2
; %bb.13:
	s_or_b64 exec, exec, s[0:1]
	v_mbcnt_hi_u32_b32 v7, -1, v8
	v_and_b32_e32 v4, 64, v7
	v_add_u32_e32 v8, 64, v4
	v_xor_b32_e32 v4, 8, v7
	v_cmp_lt_i32_e64 s[0:1], v4, v8
	v_cndmask_b32_e64 v4, v7, v4, s[0:1]
	v_lshlrev_b32_e32 v4, 2, v4
	s_waitcnt lgkmcnt(0)
	ds_bpermute_b32 v5, v4, v2
	v_xor_b32_e32 v6, 4, v7
	v_cmp_lt_i32_e64 s[0:1], v6, v8
	v_xor_b32_e32 v9, 2, v7
	s_cmp_lg_u64 s[16:17], 0
	s_waitcnt lgkmcnt(0)
	v_add_f32_e32 v2, v2, v5
	v_cndmask_b32_e64 v5, v7, v6, s[0:1]
	v_lshlrev_b32_e32 v5, 2, v5
	ds_bpermute_b32 v6, v5, v2
	v_cmp_lt_i32_e64 s[0:1], v9, v8
	s_mov_b32 s7, 0
	s_cselect_b64 s[4:5], -1, 0
	s_waitcnt lgkmcnt(0)
	v_add_f32_e32 v2, v2, v6
	v_cndmask_b32_e64 v6, v7, v9, s[0:1]
	v_lshlrev_b32_e32 v6, 2, v6
	ds_bpermute_b32 v9, v6, v2
	v_cmp_eq_u32_e64 s[0:1], 0, v0
	v_xor_b32_e32 v0, 1, v7
	v_cmp_lt_i32_e64 s[2:3], v0, v8
	v_cndmask_b32_e64 v0, v7, v0, s[2:3]
	s_waitcnt lgkmcnt(0)
	v_add_f32_e32 v2, v2, v9
	v_lshlrev_b32_e32 v0, 2, v0
	ds_bpermute_b32 v7, v0, v2
	s_and_b64 s[2:3], s[0:1], s[4:5]
	s_lshl_b64 s[0:1], s[6:7], 7
	s_add_u32 s6, s16, s0
	s_addc_u32 s7, s17, s1
	s_waitcnt lgkmcnt(0)
	v_add_f32_e32 v7, v2, v7
	s_and_saveexec_b64 s[4:5], s[2:3]
	s_cbranch_execz .LBB171_15
; %bb.14:
	v_mov_b32_e32 v2, 0
	v_lshlrev_b64 v[8:9], 1, v[1:2]
	v_cvt_f16_f32_e32 v10, v7
	v_mov_b32_e32 v2, s7
	v_add_co_u32_e64 v8, s[0:1], s6, v8
	v_addc_co_u32_e64 v9, s[0:1], v2, v9, s[0:1]
	global_store_short v[8:9], v10, off
.LBB171_15:
	s_or_b64 exec, exec, s[4:5]
	v_cmp_gt_u32_e64 s[0:1], 48, v1
	s_and_b64 exec, exec, s[0:1]
	s_cbranch_execz .LBB171_30
; %bb.16:
	s_and_saveexec_b64 s[0:1], vcc
; %bb.17:
	v_lshlrev_b32_e32 v2, 2, v1
	v_lshlrev_b32_e32 v7, 2, v3
	v_add3_u32 v2, 0, v2, v7
	ds_read_b32 v7, v2 offset:64
; %bb.18:
	s_or_b64 exec, exec, s[0:1]
	s_waitcnt lgkmcnt(0)
	ds_bpermute_b32 v2, v4, v7
	s_waitcnt lgkmcnt(0)
	v_add_f32_e32 v2, v7, v2
	ds_bpermute_b32 v7, v5, v2
	s_waitcnt lgkmcnt(0)
	v_add_f32_e32 v2, v2, v7
	;; [unrolled: 3-line block ×4, first 2 shown]
	s_and_saveexec_b64 s[4:5], s[2:3]
	s_cbranch_execz .LBB171_20
; %bb.19:
	v_mov_b32_e32 v2, 0
	v_lshlrev_b64 v[8:9], 1, v[1:2]
	v_cvt_f16_f32_e32 v10, v7
	v_mov_b32_e32 v2, s7
	v_add_co_u32_e64 v8, s[0:1], s6, v8
	v_addc_co_u32_e64 v9, s[0:1], v2, v9, s[0:1]
	global_store_short v[8:9], v10, off offset:32
.LBB171_20:
	s_or_b64 exec, exec, s[4:5]
	v_cmp_gt_u32_e64 s[0:1], 32, v1
	s_and_b64 exec, exec, s[0:1]
	s_cbranch_execz .LBB171_30
; %bb.21:
	s_and_saveexec_b64 s[0:1], vcc
; %bb.22:
	v_lshlrev_b32_e32 v2, 2, v1
	v_lshlrev_b32_e32 v7, 2, v3
	v_add3_u32 v2, 0, v2, v7
	ds_read_b32 v7, v2 offset:128
; %bb.23:
	s_or_b64 exec, exec, s[0:1]
	s_waitcnt lgkmcnt(0)
	ds_bpermute_b32 v2, v4, v7
	s_waitcnt lgkmcnt(0)
	v_add_f32_e32 v2, v7, v2
	ds_bpermute_b32 v7, v5, v2
	s_waitcnt lgkmcnt(0)
	v_add_f32_e32 v2, v2, v7
	ds_bpermute_b32 v7, v6, v2
	s_waitcnt lgkmcnt(0)
	v_add_f32_e32 v2, v2, v7
	ds_bpermute_b32 v7, v0, v2
	s_waitcnt lgkmcnt(0)
	v_add_f32_e32 v7, v2, v7
	s_and_saveexec_b64 s[4:5], s[2:3]
	s_cbranch_execz .LBB171_25
; %bb.24:
	v_mov_b32_e32 v2, 0
	v_lshlrev_b64 v[8:9], 1, v[1:2]
	v_cvt_f16_f32_e32 v10, v7
	v_mov_b32_e32 v2, s7
	v_add_co_u32_e64 v8, s[0:1], s6, v8
	v_addc_co_u32_e64 v9, s[0:1], v2, v9, s[0:1]
	global_store_short v[8:9], v10, off offset:64
.LBB171_25:
	s_or_b64 exec, exec, s[4:5]
	v_cmp_gt_u32_e64 s[0:1], 16, v1
	s_and_b64 exec, exec, s[0:1]
	s_cbranch_execz .LBB171_30
; %bb.26:
	s_and_saveexec_b64 s[0:1], vcc
; %bb.27:
	v_lshlrev_b32_e32 v2, 2, v1
	v_lshlrev_b32_e32 v3, 2, v3
	v_add3_u32 v2, 0, v2, v3
	ds_read_b32 v7, v2 offset:192
; %bb.28:
	s_or_b64 exec, exec, s[0:1]
	s_waitcnt lgkmcnt(0)
	ds_bpermute_b32 v2, v4, v7
	s_waitcnt lgkmcnt(0)
	v_add_f32_e32 v2, v7, v2
	ds_bpermute_b32 v3, v5, v2
	s_waitcnt lgkmcnt(0)
	v_add_f32_e32 v2, v2, v3
	;; [unrolled: 3-line block ×3, first 2 shown]
	ds_bpermute_b32 v0, v0, v2
	s_and_saveexec_b64 s[0:1], s[2:3]
	s_xor_b64 s[0:1], exec, s[0:1]
	s_cbranch_execz .LBB171_30
; %bb.29:
	s_waitcnt lgkmcnt(0)
	v_add_f32_e32 v3, v2, v0
	v_mov_b32_e32 v2, 0
	v_lshlrev_b64 v[0:1], 1, v[1:2]
	v_cvt_f16_f32_e32 v3, v3
	v_mov_b32_e32 v2, s7
	v_add_co_u32_e32 v0, vcc, s6, v0
	v_addc_co_u32_e32 v1, vcc, v2, v1, vcc
	global_store_short v[0:1], v3, off offset:96
.LBB171_30:
	s_endpgm
	.section	.rodata,"a",@progbits
	.p2align	6, 0x0
	.amdhsa_kernel _ZN2at6native12_GLOBAL__N_135GammaBetaBackwardCUDAKernelTemplateIN3c104HalfEfLj64ELj16ELj128ELb0ELb1ELb1EEEvllPKT_S7_PKT0_SA_PS5_SB_
		.amdhsa_group_segment_fixed_size 0
		.amdhsa_private_segment_fixed_size 0
		.amdhsa_kernarg_size 320
		.amdhsa_user_sgpr_count 6
		.amdhsa_user_sgpr_private_segment_buffer 1
		.amdhsa_user_sgpr_dispatch_ptr 0
		.amdhsa_user_sgpr_queue_ptr 0
		.amdhsa_user_sgpr_kernarg_segment_ptr 1
		.amdhsa_user_sgpr_dispatch_id 0
		.amdhsa_user_sgpr_flat_scratch_init 0
		.amdhsa_user_sgpr_private_segment_size 0
		.amdhsa_uses_dynamic_stack 0
		.amdhsa_system_sgpr_private_segment_wavefront_offset 0
		.amdhsa_system_sgpr_workgroup_id_x 1
		.amdhsa_system_sgpr_workgroup_id_y 1
		.amdhsa_system_sgpr_workgroup_id_z 0
		.amdhsa_system_sgpr_workgroup_info 0
		.amdhsa_system_vgpr_workitem_id 1
		.amdhsa_next_free_vgpr 23
		.amdhsa_next_free_sgpr 26
		.amdhsa_reserve_vcc 1
		.amdhsa_reserve_flat_scratch 0
		.amdhsa_float_round_mode_32 0
		.amdhsa_float_round_mode_16_64 0
		.amdhsa_float_denorm_mode_32 3
		.amdhsa_float_denorm_mode_16_64 3
		.amdhsa_dx10_clamp 1
		.amdhsa_ieee_mode 1
		.amdhsa_fp16_overflow 0
		.amdhsa_exception_fp_ieee_invalid_op 0
		.amdhsa_exception_fp_denorm_src 0
		.amdhsa_exception_fp_ieee_div_zero 0
		.amdhsa_exception_fp_ieee_overflow 0
		.amdhsa_exception_fp_ieee_underflow 0
		.amdhsa_exception_fp_ieee_inexact 0
		.amdhsa_exception_int_div_zero 0
	.end_amdhsa_kernel
	.section	.text._ZN2at6native12_GLOBAL__N_135GammaBetaBackwardCUDAKernelTemplateIN3c104HalfEfLj64ELj16ELj128ELb0ELb1ELb1EEEvllPKT_S7_PKT0_SA_PS5_SB_,"axG",@progbits,_ZN2at6native12_GLOBAL__N_135GammaBetaBackwardCUDAKernelTemplateIN3c104HalfEfLj64ELj16ELj128ELb0ELb1ELb1EEEvllPKT_S7_PKT0_SA_PS5_SB_,comdat
.Lfunc_end171:
	.size	_ZN2at6native12_GLOBAL__N_135GammaBetaBackwardCUDAKernelTemplateIN3c104HalfEfLj64ELj16ELj128ELb0ELb1ELb1EEEvllPKT_S7_PKT0_SA_PS5_SB_, .Lfunc_end171-_ZN2at6native12_GLOBAL__N_135GammaBetaBackwardCUDAKernelTemplateIN3c104HalfEfLj64ELj16ELj128ELb0ELb1ELb1EEEvllPKT_S7_PKT0_SA_PS5_SB_
                                        ; -- End function
	.set _ZN2at6native12_GLOBAL__N_135GammaBetaBackwardCUDAKernelTemplateIN3c104HalfEfLj64ELj16ELj128ELb0ELb1ELb1EEEvllPKT_S7_PKT0_SA_PS5_SB_.num_vgpr, 23
	.set _ZN2at6native12_GLOBAL__N_135GammaBetaBackwardCUDAKernelTemplateIN3c104HalfEfLj64ELj16ELj128ELb0ELb1ELb1EEEvllPKT_S7_PKT0_SA_PS5_SB_.num_agpr, 0
	.set _ZN2at6native12_GLOBAL__N_135GammaBetaBackwardCUDAKernelTemplateIN3c104HalfEfLj64ELj16ELj128ELb0ELb1ELb1EEEvllPKT_S7_PKT0_SA_PS5_SB_.numbered_sgpr, 26
	.set _ZN2at6native12_GLOBAL__N_135GammaBetaBackwardCUDAKernelTemplateIN3c104HalfEfLj64ELj16ELj128ELb0ELb1ELb1EEEvllPKT_S7_PKT0_SA_PS5_SB_.num_named_barrier, 0
	.set _ZN2at6native12_GLOBAL__N_135GammaBetaBackwardCUDAKernelTemplateIN3c104HalfEfLj64ELj16ELj128ELb0ELb1ELb1EEEvllPKT_S7_PKT0_SA_PS5_SB_.private_seg_size, 0
	.set _ZN2at6native12_GLOBAL__N_135GammaBetaBackwardCUDAKernelTemplateIN3c104HalfEfLj64ELj16ELj128ELb0ELb1ELb1EEEvllPKT_S7_PKT0_SA_PS5_SB_.uses_vcc, 1
	.set _ZN2at6native12_GLOBAL__N_135GammaBetaBackwardCUDAKernelTemplateIN3c104HalfEfLj64ELj16ELj128ELb0ELb1ELb1EEEvllPKT_S7_PKT0_SA_PS5_SB_.uses_flat_scratch, 0
	.set _ZN2at6native12_GLOBAL__N_135GammaBetaBackwardCUDAKernelTemplateIN3c104HalfEfLj64ELj16ELj128ELb0ELb1ELb1EEEvllPKT_S7_PKT0_SA_PS5_SB_.has_dyn_sized_stack, 0
	.set _ZN2at6native12_GLOBAL__N_135GammaBetaBackwardCUDAKernelTemplateIN3c104HalfEfLj64ELj16ELj128ELb0ELb1ELb1EEEvllPKT_S7_PKT0_SA_PS5_SB_.has_recursion, 0
	.set _ZN2at6native12_GLOBAL__N_135GammaBetaBackwardCUDAKernelTemplateIN3c104HalfEfLj64ELj16ELj128ELb0ELb1ELb1EEEvllPKT_S7_PKT0_SA_PS5_SB_.has_indirect_call, 0
	.section	.AMDGPU.csdata,"",@progbits
; Kernel info:
; codeLenInByte = 1924
; TotalNumSgprs: 30
; NumVgprs: 23
; ScratchSize: 0
; MemoryBound: 0
; FloatMode: 240
; IeeeMode: 1
; LDSByteSize: 0 bytes/workgroup (compile time only)
; SGPRBlocks: 3
; VGPRBlocks: 5
; NumSGPRsForWavesPerEU: 30
; NumVGPRsForWavesPerEU: 23
; Occupancy: 10
; WaveLimiterHint : 0
; COMPUTE_PGM_RSRC2:SCRATCH_EN: 0
; COMPUTE_PGM_RSRC2:USER_SGPR: 6
; COMPUTE_PGM_RSRC2:TRAP_HANDLER: 0
; COMPUTE_PGM_RSRC2:TGID_X_EN: 1
; COMPUTE_PGM_RSRC2:TGID_Y_EN: 1
; COMPUTE_PGM_RSRC2:TGID_Z_EN: 0
; COMPUTE_PGM_RSRC2:TIDIG_COMP_CNT: 1
	.section	.text._ZN2at6native12_GLOBAL__N_135GammaBetaBackwardCUDAKernelTemplateIN3c104HalfEfLj64ELj16ELj128ELb0ELb0ELb1EEEvllPKT_S7_PKT0_SA_PS5_SB_,"axG",@progbits,_ZN2at6native12_GLOBAL__N_135GammaBetaBackwardCUDAKernelTemplateIN3c104HalfEfLj64ELj16ELj128ELb0ELb0ELb1EEEvllPKT_S7_PKT0_SA_PS5_SB_,comdat
	.globl	_ZN2at6native12_GLOBAL__N_135GammaBetaBackwardCUDAKernelTemplateIN3c104HalfEfLj64ELj16ELj128ELb0ELb0ELb1EEEvllPKT_S7_PKT0_SA_PS5_SB_ ; -- Begin function _ZN2at6native12_GLOBAL__N_135GammaBetaBackwardCUDAKernelTemplateIN3c104HalfEfLj64ELj16ELj128ELb0ELb0ELb1EEEvllPKT_S7_PKT0_SA_PS5_SB_
	.p2align	8
	.type	_ZN2at6native12_GLOBAL__N_135GammaBetaBackwardCUDAKernelTemplateIN3c104HalfEfLj64ELj16ELj128ELb0ELb0ELb1EEEvllPKT_S7_PKT0_SA_PS5_SB_,@function
_ZN2at6native12_GLOBAL__N_135GammaBetaBackwardCUDAKernelTemplateIN3c104HalfEfLj64ELj16ELj128ELb0ELb0ELb1EEEvllPKT_S7_PKT0_SA_PS5_SB_: ; @_ZN2at6native12_GLOBAL__N_135GammaBetaBackwardCUDAKernelTemplateIN3c104HalfEfLj64ELj16ELj128ELb0ELb0ELb1EEEvllPKT_S7_PKT0_SA_PS5_SB_
; %bb.0:
	s_mov_b64 s[38:39], s[2:3]
	s_mov_b64 s[36:37], s[0:1]
	s_add_u32 s36, s36, s8
	s_load_dwordx8 s[12:19], s[4:5], 0x0
	s_load_dwordx2 s[10:11], s[4:5], 0x28
	s_addc_u32 s37, s37, 0
	s_lshl_b32 s20, s7, 7
	s_lshl_b32 s33, s6, 6
	s_mov_b32 s21, 0
	v_mov_b32_e32 v2, s20
	s_or_b32 s0, s33, 63
	v_mov_b32_e32 v3, s21
	v_mov_b32_e32 v48, s0
	;; [unrolled: 1-line block ×3, first 2 shown]
	s_waitcnt lgkmcnt(0)
	v_cmp_gt_i64_e64 s[0:1], s[12:13], v[2:3]
	v_cmp_le_i64_e32 vcc, s[14:15], v[48:49]
	v_mov_b32_e32 v60, v0
	v_cndmask_b32_e64 v0, 0, 1, s[0:1]
	v_cmp_ne_u32_e64 s[0:1], 1, v0
	s_cbranch_vccz .LBB172_49
; %bb.1:
	s_and_b64 vcc, exec, s[0:1]
	s_cbranch_vccnz .LBB172_50
; %bb.2:
	v_lshlrev_b32_e32 v0, 3, v1
	v_add_co_u32_e32 v5, vcc, s20, v0
	v_addc_co_u32_e64 v6, s[2:3], 0, 0, vcc
	v_mul_lo_u32 v10, s15, v5
	v_mul_lo_u32 v9, s14, v6
	v_mad_u64_u32 v[3:4], s[2:3], s14, v5, 0
	v_mov_b32_e32 v2, 0
	s_load_dword s7, s[4:5], 0x44
	v_add_u32_e32 v7, s33, v60
	v_mov_b32_e32 v8, v2
	v_add3_u32 v4, v4, v9, v10
	v_cmp_gt_i64_e64 s[2:3], s[14:15], v[7:8]
	v_lshlrev_b64 v[19:20], 1, v[7:8]
	v_lshlrev_b64 v[7:8], 1, v[3:4]
	s_add_u32 s22, s4, 64
	v_mov_b32_e32 v9, s17
	v_add_co_u32_e32 v61, vcc, s16, v7
	s_addc_u32 s23, s5, 0
	s_waitcnt lgkmcnt(0)
	s_lshl_b32 s7, s7, 7
	v_addc_co_u32_e32 v21, vcc, v9, v8, vcc
	s_mul_i32 s8, s15, s7
	s_mul_hi_u32 s9, s14, s7
	v_add_co_u32_e32 v9, vcc, 7, v5
	s_add_i32 s9, s9, s8
	s_mul_i32 s8, s14, s7
	v_addc_co_u32_e32 v10, vcc, 0, v6, vcc
	s_lshl_b64 s[24:25], s[8:9], 1
	v_mul_lo_u32 v12, s15, v9
	v_mul_lo_u32 v13, s14, v10
	v_mad_u64_u32 v[9:10], s[8:9], s14, v9, 0
	v_mov_b32_e32 v11, s19
	v_add_co_u32_e32 v22, vcc, s18, v7
	v_add3_u32 v10, v10, v13, v12
	v_addc_co_u32_e32 v23, vcc, v11, v8, vcc
	v_lshlrev_b64 v[7:8], 1, v[9:10]
	v_mov_b32_e32 v9, s17
	v_add_co_u32_e32 v24, vcc, s16, v7
	v_addc_co_u32_e32 v25, vcc, v9, v8, vcc
	v_add_co_u32_e32 v9, vcc, 6, v5
	v_addc_co_u32_e32 v10, vcc, 0, v6, vcc
	v_mul_lo_u32 v12, s15, v9
	v_mul_lo_u32 v13, s14, v10
	v_mad_u64_u32 v[9:10], s[8:9], s14, v9, 0
	v_add_co_u32_e32 v26, vcc, s18, v7
	v_add3_u32 v10, v10, v13, v12
	v_addc_co_u32_e32 v27, vcc, v11, v8, vcc
	v_lshlrev_b64 v[7:8], 1, v[9:10]
	v_mov_b32_e32 v9, s17
	v_add_co_u32_e32 v28, vcc, s16, v7
	v_addc_co_u32_e32 v29, vcc, v9, v8, vcc
	v_add_co_u32_e32 v9, vcc, 5, v5
	v_addc_co_u32_e32 v10, vcc, 0, v6, vcc
	v_mul_lo_u32 v12, s15, v9
	v_mul_lo_u32 v13, s14, v10
	v_mad_u64_u32 v[9:10], s[8:9], s14, v9, 0
	;; [unrolled: 12-line block ×5, first 2 shown]
	v_mov_b32_e32 v9, s19
	v_add_co_u32_e32 v42, vcc, s18, v7
	v_add3_u32 v6, v6, v11, v10
	v_lshlrev_b64 v[5:6], 1, v[5:6]
	v_addc_co_u32_e32 v43, vcc, v9, v8, vcc
	v_mov_b32_e32 v7, s17
	v_add_co_u32_e32 v44, vcc, s16, v5
	v_addc_co_u32_e32 v45, vcc, v7, v6, vcc
	v_mov_b32_e32 v7, s19
	v_add_co_u32_e32 v46, vcc, s18, v5
	;; [unrolled: 3-line block ×3, first 2 shown]
	v_addc_co_u32_e32 v4, vcc, v4, v5, vcc
	v_lshlrev_b64 v[3:4], 1, v[3:4]
	v_mov_b32_e32 v5, s17
	v_add_co_u32_e32 v48, vcc, s16, v3
	v_addc_co_u32_e32 v50, vcc, v5, v4, vcc
	v_add_co_u32_e32 v51, vcc, s18, v3
	v_mbcnt_lo_u32_b32 v3, -1, 0
	v_mbcnt_hi_u32_b32 v3, -1, v3
	v_mov_b32_e32 v5, s19
	s_add_u32 s26, s20, 0x7f
	v_lshlrev_b32_e32 v3, 2, v3
	v_addc_co_u32_e32 v52, vcc, v5, v4, vcc
	s_addc_u32 s27, 0, 0
	v_and_b32_e32 v53, 0x100, v3
	s_mov_b64 s[28:29], s[20:21]
	v_mov_b32_e32 v54, 0
.LBB172_3:                              ; =>This Inner Loop Header: Depth=1
	v_mov_b32_e32 v3, s12
	v_mov_b32_e32 v4, s13
	v_cmp_ge_i64_e32 vcc, s[26:27], v[3:4]
	v_mov_b32_e32 v3, s27
	v_add_co_u32_e64 v55, s[8:9], s26, v0
	v_addc_co_u32_e64 v56, s[8:9], 0, v3, s[8:9]
	s_mov_b64 s[8:9], -1
	s_and_b64 vcc, exec, vcc
                                        ; implicit-def: $vgpr3_vgpr4_vgpr5_vgpr6_vgpr7_vgpr8_vgpr9_vgpr10
                                        ; implicit-def: $vgpr49
                                        ; implicit-def: $vgpr11_vgpr12_vgpr13_vgpr14_vgpr15_vgpr16_vgpr17_vgpr18
                                        ; implicit-def: $vgpr3
	s_cbranch_vccz .LBB172_25
; %bb.4:                                ;   in Loop: Header=BB172_3 Depth=1
	s_load_dword s8, s[22:23], 0xc
	v_mov_b32_e32 v57, 0
	s_waitcnt lgkmcnt(0)
	s_and_b32 s8, s8, 0xffff
	v_mad_u32_u24 v3, v1, s8, v60
	v_and_b32_e32 v3, 63, v3
	v_cmp_gt_u32_e32 vcc, 8, v3
	s_and_saveexec_b64 s[8:9], vcc
	s_cbranch_execz .LBB172_8
; %bb.5:                                ;   in Loop: Header=BB172_3 Depth=1
	v_add_co_u32_e32 v3, vcc, v55, v3
	v_addc_co_u32_e32 v4, vcc, 0, v56, vcc
	v_add_co_u32_e32 v3, vcc, 0xffffff81, v3
	v_addc_co_u32_e32 v4, vcc, -1, v4, vcc
	v_cmp_gt_i64_e32 vcc, s[12:13], v[3:4]
	v_mov_b32_e32 v57, 0
	s_and_saveexec_b64 s[30:31], vcc
	s_cbranch_execz .LBB172_7
; %bb.6:                                ;   in Loop: Header=BB172_3 Depth=1
	v_lshlrev_b64 v[3:4], 2, v[3:4]
	v_mov_b32_e32 v5, s11
	v_add_co_u32_e32 v3, vcc, s10, v3
	v_addc_co_u32_e32 v4, vcc, v5, v4, vcc
	global_load_dword v57, v[3:4], off
.LBB172_7:                              ;   in Loop: Header=BB172_3 Depth=1
	s_or_b64 exec, exec, s[30:31]
.LBB172_8:                              ;   in Loop: Header=BB172_3 Depth=1
	s_or_b64 exec, exec, s[8:9]
	v_add_co_u32_e32 v3, vcc, 0xffffff81, v55
	v_addc_co_u32_e32 v4, vcc, -1, v56, vcc
	v_mov_b32_e32 v9, v2
	v_cmp_gt_i64_e32 vcc, s[12:13], v[3:4]
	v_mov_b32_e32 v3, v2
	v_mov_b32_e32 v4, v2
	;; [unrolled: 1-line block ×15, first 2 shown]
	s_and_b64 s[30:31], s[2:3], vcc
	v_mov_b32_e32 v9, v8
	v_mov_b32_e32 v8, v7
	;; [unrolled: 1-line block ×7, first 2 shown]
	s_and_saveexec_b64 s[8:9], s[30:31]
	s_cbranch_execz .LBB172_10
; %bb.9:                                ;   in Loop: Header=BB172_3 Depth=1
	v_add_co_u32_e32 v3, vcc, v61, v19
	v_addc_co_u32_e32 v4, vcc, v21, v20, vcc
	global_load_ushort v11, v[3:4], off
	v_add_co_u32_e32 v3, vcc, v22, v19
	v_addc_co_u32_e32 v4, vcc, v23, v20, vcc
	global_load_ushort v15, v[3:4], off
	v_mov_b32_e32 v4, v2
	v_mov_b32_e32 v5, v2
	;; [unrolled: 1-line block ×13, first 2 shown]
	s_waitcnt vmcnt(1)
	v_cvt_f32_f16_e32 v3, v11
	s_waitcnt vmcnt(0)
	v_cvt_f32_f16_e32 v11, v15
	v_mov_b32_e32 v15, v2
.LBB172_10:                             ;   in Loop: Header=BB172_3 Depth=1
	s_or_b64 exec, exec, s[8:9]
	v_add_co_u32_e32 v58, vcc, 0xffffff82, v55
	v_addc_co_u32_e32 v59, vcc, -1, v56, vcc
	v_cmp_gt_i64_e32 vcc, s[12:13], v[58:59]
	s_and_b64 s[30:31], s[2:3], vcc
	s_and_saveexec_b64 s[8:9], s[30:31]
	s_cbranch_execz .LBB172_12
; %bb.11:                               ;   in Loop: Header=BB172_3 Depth=1
	v_add_co_u32_e32 v58, vcc, v48, v19
	v_addc_co_u32_e32 v59, vcc, v50, v20, vcc
	global_load_ushort v4, v[58:59], off
	v_add_co_u32_e32 v58, vcc, v51, v19
	v_addc_co_u32_e32 v59, vcc, v52, v20, vcc
	global_load_ushort v12, v[58:59], off
	s_waitcnt vmcnt(1)
	v_cvt_f32_f16_e32 v4, v4
	s_waitcnt vmcnt(0)
	v_cvt_f32_f16_e32 v12, v12
.LBB172_12:                             ;   in Loop: Header=BB172_3 Depth=1
	s_or_b64 exec, exec, s[8:9]
	v_add_co_u32_e32 v58, vcc, 0xffffff83, v55
	v_addc_co_u32_e32 v59, vcc, -1, v56, vcc
	v_cmp_gt_i64_e32 vcc, s[12:13], v[58:59]
	s_and_b64 s[30:31], s[2:3], vcc
	s_and_saveexec_b64 s[8:9], s[30:31]
	s_cbranch_execz .LBB172_14
; %bb.13:                               ;   in Loop: Header=BB172_3 Depth=1
	v_add_co_u32_e32 v58, vcc, v44, v19
	v_addc_co_u32_e32 v59, vcc, v45, v20, vcc
	global_load_ushort v5, v[58:59], off
	v_add_co_u32_e32 v58, vcc, v46, v19
	v_addc_co_u32_e32 v59, vcc, v47, v20, vcc
	global_load_ushort v13, v[58:59], off
	s_waitcnt vmcnt(1)
	v_cvt_f32_f16_e32 v5, v5
	s_waitcnt vmcnt(0)
	v_cvt_f32_f16_e32 v13, v13
.LBB172_14:                             ;   in Loop: Header=BB172_3 Depth=1
	;; [unrolled: 19-line block ×7, first 2 shown]
	s_or_b64 exec, exec, s[8:9]
	s_waitcnt vmcnt(0)
	ds_bpermute_b32 v49, v53, v57
	ds_bpermute_b32 v58, v53, v57 offset:4
	v_mul_f32_e32 v3, v11, v3
	ds_bpermute_b32 v11, v53, v57 offset:8
	v_mul_f32_e32 v4, v12, v4
	s_waitcnt lgkmcnt(2)
	v_fma_f32 v49, v3, v49, v54
	s_waitcnt lgkmcnt(1)
	v_fmac_f32_e32 v49, v4, v58
	ds_bpermute_b32 v3, v53, v57 offset:12
	v_mul_f32_e32 v4, v13, v5
	s_waitcnt lgkmcnt(1)
	v_fmac_f32_e32 v49, v4, v11
	ds_bpermute_b32 v4, v53, v57 offset:16
	v_mul_f32_e32 v5, v14, v6
	s_waitcnt lgkmcnt(1)
	v_fmac_f32_e32 v49, v5, v3
	v_mul_f32_e32 v3, v15, v7
	ds_bpermute_b32 v5, v53, v57 offset:20
	s_waitcnt lgkmcnt(1)
	v_fmac_f32_e32 v49, v3, v4
	ds_bpermute_b32 v4, v53, v57 offset:24
	ds_bpermute_b32 v3, v53, v57 offset:28
	v_mul_f32_e32 v6, v16, v8
	s_waitcnt lgkmcnt(2)
	v_fmac_f32_e32 v49, v6, v5
	v_mul_f32_e32 v5, v17, v9
	s_waitcnt lgkmcnt(1)
	v_fmac_f32_e32 v49, v5, v4
	s_mov_b64 s[8:9], 0
.LBB172_25:                             ;   in Loop: Header=BB172_3 Depth=1
	s_and_b64 vcc, exec, s[8:9]
	s_cbranch_vccz .LBB172_40
; %bb.26:                               ;   in Loop: Header=BB172_3 Depth=1
	s_load_dword s8, s[22:23], 0x0
	v_mov_b32_e32 v49, 0
	s_waitcnt lgkmcnt(0)
	s_cmp_lt_u32 s6, s8
	s_cselect_b32 s8, 12, 18
	s_add_u32 s8, s22, s8
	s_addc_u32 s9, s23, 0
	global_load_ushort v3, v2, s[8:9]
	s_waitcnt vmcnt(0)
	v_mad_u32_u24 v3, v1, v3, v60
	v_and_b32_e32 v3, 63, v3
	v_cmp_gt_u32_e32 vcc, 8, v3
	s_and_saveexec_b64 s[8:9], vcc
	s_cbranch_execz .LBB172_30
; %bb.27:                               ;   in Loop: Header=BB172_3 Depth=1
	v_add_co_u32_e32 v3, vcc, v55, v3
	v_addc_co_u32_e32 v4, vcc, 0, v56, vcc
	v_add_co_u32_e32 v3, vcc, 0xffffff81, v3
	v_addc_co_u32_e32 v4, vcc, -1, v4, vcc
	v_cmp_gt_i64_e32 vcc, s[12:13], v[3:4]
	v_mov_b32_e32 v49, 0
	s_and_saveexec_b64 s[30:31], vcc
	s_cbranch_execz .LBB172_29
; %bb.28:                               ;   in Loop: Header=BB172_3 Depth=1
	v_lshlrev_b64 v[3:4], 2, v[3:4]
	v_mov_b32_e32 v5, s11
	v_add_co_u32_e32 v3, vcc, s10, v3
	v_addc_co_u32_e32 v4, vcc, v5, v4, vcc
	global_load_dword v49, v[3:4], off
.LBB172_29:                             ;   in Loop: Header=BB172_3 Depth=1
	s_or_b64 exec, exec, s[30:31]
.LBB172_30:                             ;   in Loop: Header=BB172_3 Depth=1
	s_or_b64 exec, exec, s[8:9]
	v_mov_b32_e32 v9, v2
	v_mov_b32_e32 v3, v2
	;; [unrolled: 1-line block ×23, first 2 shown]
	s_and_saveexec_b64 s[8:9], s[2:3]
	s_cbranch_execnz .LBB172_42
; %bb.31:                               ;   in Loop: Header=BB172_3 Depth=1
	s_or_b64 exec, exec, s[8:9]
	s_and_saveexec_b64 s[8:9], s[2:3]
	s_cbranch_execnz .LBB172_43
.LBB172_32:                             ;   in Loop: Header=BB172_3 Depth=1
	s_or_b64 exec, exec, s[8:9]
	s_and_saveexec_b64 s[8:9], s[2:3]
	s_cbranch_execnz .LBB172_44
.LBB172_33:                             ;   in Loop: Header=BB172_3 Depth=1
	s_or_b64 exec, exec, s[8:9]
	s_and_saveexec_b64 s[8:9], s[2:3]
	s_cbranch_execnz .LBB172_45
.LBB172_34:                             ;   in Loop: Header=BB172_3 Depth=1
	s_or_b64 exec, exec, s[8:9]
	s_and_saveexec_b64 s[8:9], s[2:3]
	s_cbranch_execnz .LBB172_46
.LBB172_35:                             ;   in Loop: Header=BB172_3 Depth=1
	s_or_b64 exec, exec, s[8:9]
	s_and_saveexec_b64 s[8:9], s[2:3]
	s_cbranch_execnz .LBB172_47
.LBB172_36:                             ;   in Loop: Header=BB172_3 Depth=1
	s_or_b64 exec, exec, s[8:9]
	s_and_saveexec_b64 s[8:9], s[2:3]
	s_cbranch_execnz .LBB172_48
.LBB172_37:                             ;   in Loop: Header=BB172_3 Depth=1
	s_or_b64 exec, exec, s[8:9]
	s_and_saveexec_b64 s[8:9], s[2:3]
	s_cbranch_execz .LBB172_39
.LBB172_38:                             ;   in Loop: Header=BB172_3 Depth=1
	v_add_co_u32_e32 v55, vcc, v24, v19
	v_addc_co_u32_e32 v56, vcc, v25, v20, vcc
	global_load_ushort v10, v[55:56], off
	v_add_co_u32_e32 v55, vcc, v26, v19
	v_addc_co_u32_e32 v56, vcc, v27, v20, vcc
	global_load_ushort v18, v[55:56], off
	s_waitcnt vmcnt(1)
	v_cvt_f32_f16_e32 v10, v10
	s_waitcnt vmcnt(0)
	v_cvt_f32_f16_e32 v18, v18
.LBB172_39:                             ;   in Loop: Header=BB172_3 Depth=1
	s_or_b64 exec, exec, s[8:9]
	s_waitcnt vmcnt(0)
	ds_bpermute_b32 v55, v53, v49
	ds_bpermute_b32 v56, v53, v49 offset:4
	v_mul_f32_e32 v3, v11, v3
	ds_bpermute_b32 v11, v53, v49 offset:8
	v_mul_f32_e32 v4, v12, v4
	s_waitcnt lgkmcnt(2)
	v_fmac_f32_e32 v54, v3, v55
	s_waitcnt lgkmcnt(1)
	v_fmac_f32_e32 v54, v4, v56
	ds_bpermute_b32 v3, v53, v49 offset:12
	v_mul_f32_e32 v4, v13, v5
	s_waitcnt lgkmcnt(1)
	v_fmac_f32_e32 v54, v4, v11
	ds_bpermute_b32 v4, v53, v49 offset:16
	v_mul_f32_e32 v5, v14, v6
	s_waitcnt lgkmcnt(1)
	v_fmac_f32_e32 v54, v5, v3
	v_mul_f32_e32 v3, v15, v7
	ds_bpermute_b32 v5, v53, v49 offset:20
	s_waitcnt lgkmcnt(1)
	v_fmac_f32_e32 v54, v3, v4
	ds_bpermute_b32 v4, v53, v49 offset:24
	ds_bpermute_b32 v3, v53, v49 offset:28
	v_mul_f32_e32 v6, v16, v8
	s_waitcnt lgkmcnt(2)
	v_fmac_f32_e32 v54, v6, v5
	v_mul_f32_e32 v5, v17, v9
	s_waitcnt lgkmcnt(1)
	v_fmac_f32_e32 v54, v5, v4
	v_mov_b32_e32 v49, v54
.LBB172_40:                             ;   in Loop: Header=BB172_3 Depth=1
	v_mul_f32_e32 v4, v10, v18
	s_waitcnt lgkmcnt(0)
	v_fmac_f32_e32 v49, v4, v3
	v_mov_b32_e32 v3, s25
	v_add_co_u32_e32 v61, vcc, s24, v61
	v_addc_co_u32_e32 v21, vcc, v21, v3, vcc
	v_add_co_u32_e32 v22, vcc, s24, v22
	v_addc_co_u32_e32 v23, vcc, v23, v3, vcc
	;; [unrolled: 2-line block ×15, first 2 shown]
	v_add_co_u32_e32 v51, vcc, s24, v51
	s_add_u32 s28, s28, s7
	v_addc_co_u32_e32 v52, vcc, v52, v3, vcc
	v_mov_b32_e32 v3, s12
	s_addc_u32 s29, s29, 0
	v_mov_b32_e32 v4, s13
	v_cmp_lt_i64_e32 vcc, s[28:29], v[3:4]
	s_add_u32 s26, s26, s7
	s_addc_u32 s27, s27, 0
	s_cbranch_vccz .LBB172_50
; %bb.41:                               ;   in Loop: Header=BB172_3 Depth=1
	v_mov_b32_e32 v54, v49
	s_branch .LBB172_3
.LBB172_42:                             ;   in Loop: Header=BB172_3 Depth=1
	v_add_co_u32_e32 v3, vcc, v61, v19
	v_addc_co_u32_e32 v4, vcc, v21, v20, vcc
	global_load_ushort v11, v[3:4], off
	v_add_co_u32_e32 v3, vcc, v22, v19
	v_addc_co_u32_e32 v4, vcc, v23, v20, vcc
	global_load_ushort v15, v[3:4], off
	v_mov_b32_e32 v4, v2
	v_mov_b32_e32 v5, v2
	;; [unrolled: 1-line block ×13, first 2 shown]
	s_waitcnt vmcnt(1)
	v_cvt_f32_f16_e32 v3, v11
	s_waitcnt vmcnt(0)
	v_cvt_f32_f16_e32 v11, v15
	v_mov_b32_e32 v15, v2
	s_or_b64 exec, exec, s[8:9]
	s_and_saveexec_b64 s[8:9], s[2:3]
	s_cbranch_execz .LBB172_32
.LBB172_43:                             ;   in Loop: Header=BB172_3 Depth=1
	v_add_co_u32_e32 v55, vcc, v48, v19
	v_addc_co_u32_e32 v56, vcc, v50, v20, vcc
	global_load_ushort v4, v[55:56], off
	v_add_co_u32_e32 v55, vcc, v51, v19
	v_addc_co_u32_e32 v56, vcc, v52, v20, vcc
	global_load_ushort v12, v[55:56], off
	s_waitcnt vmcnt(1)
	v_cvt_f32_f16_e32 v4, v4
	s_waitcnt vmcnt(0)
	v_cvt_f32_f16_e32 v12, v12
	s_or_b64 exec, exec, s[8:9]
	s_and_saveexec_b64 s[8:9], s[2:3]
	s_cbranch_execz .LBB172_33
.LBB172_44:                             ;   in Loop: Header=BB172_3 Depth=1
	v_add_co_u32_e32 v55, vcc, v44, v19
	v_addc_co_u32_e32 v56, vcc, v45, v20, vcc
	global_load_ushort v5, v[55:56], off
	v_add_co_u32_e32 v55, vcc, v46, v19
	v_addc_co_u32_e32 v56, vcc, v47, v20, vcc
	global_load_ushort v13, v[55:56], off
	s_waitcnt vmcnt(1)
	v_cvt_f32_f16_e32 v5, v5
	s_waitcnt vmcnt(0)
	v_cvt_f32_f16_e32 v13, v13
	s_or_b64 exec, exec, s[8:9]
	s_and_saveexec_b64 s[8:9], s[2:3]
	s_cbranch_execz .LBB172_34
.LBB172_45:                             ;   in Loop: Header=BB172_3 Depth=1
	v_add_co_u32_e32 v55, vcc, v40, v19
	v_addc_co_u32_e32 v56, vcc, v41, v20, vcc
	global_load_ushort v6, v[55:56], off
	v_add_co_u32_e32 v55, vcc, v42, v19
	v_addc_co_u32_e32 v56, vcc, v43, v20, vcc
	global_load_ushort v14, v[55:56], off
	s_waitcnt vmcnt(1)
	v_cvt_f32_f16_e32 v6, v6
	s_waitcnt vmcnt(0)
	v_cvt_f32_f16_e32 v14, v14
	s_or_b64 exec, exec, s[8:9]
	s_and_saveexec_b64 s[8:9], s[2:3]
	s_cbranch_execz .LBB172_35
.LBB172_46:                             ;   in Loop: Header=BB172_3 Depth=1
	v_add_co_u32_e32 v55, vcc, v36, v19
	v_addc_co_u32_e32 v56, vcc, v37, v20, vcc
	global_load_ushort v7, v[55:56], off
	v_add_co_u32_e32 v55, vcc, v38, v19
	v_addc_co_u32_e32 v56, vcc, v39, v20, vcc
	global_load_ushort v15, v[55:56], off
	s_waitcnt vmcnt(1)
	v_cvt_f32_f16_e32 v7, v7
	s_waitcnt vmcnt(0)
	v_cvt_f32_f16_e32 v15, v15
	s_or_b64 exec, exec, s[8:9]
	s_and_saveexec_b64 s[8:9], s[2:3]
	s_cbranch_execz .LBB172_36
.LBB172_47:                             ;   in Loop: Header=BB172_3 Depth=1
	v_add_co_u32_e32 v55, vcc, v32, v19
	v_addc_co_u32_e32 v56, vcc, v33, v20, vcc
	global_load_ushort v8, v[55:56], off
	v_add_co_u32_e32 v55, vcc, v34, v19
	v_addc_co_u32_e32 v56, vcc, v35, v20, vcc
	global_load_ushort v16, v[55:56], off
	s_waitcnt vmcnt(1)
	v_cvt_f32_f16_e32 v8, v8
	s_waitcnt vmcnt(0)
	v_cvt_f32_f16_e32 v16, v16
	s_or_b64 exec, exec, s[8:9]
	s_and_saveexec_b64 s[8:9], s[2:3]
	s_cbranch_execz .LBB172_37
.LBB172_48:                             ;   in Loop: Header=BB172_3 Depth=1
	v_add_co_u32_e32 v55, vcc, v28, v19
	v_addc_co_u32_e32 v56, vcc, v29, v20, vcc
	global_load_ushort v9, v[55:56], off
	v_add_co_u32_e32 v55, vcc, v30, v19
	v_addc_co_u32_e32 v56, vcc, v31, v20, vcc
	global_load_ushort v17, v[55:56], off
	s_waitcnt vmcnt(1)
	v_cvt_f32_f16_e32 v9, v9
	s_waitcnt vmcnt(0)
	v_cvt_f32_f16_e32 v17, v17
	s_or_b64 exec, exec, s[8:9]
	s_and_saveexec_b64 s[8:9], s[2:3]
	s_cbranch_execnz .LBB172_38
	s_branch .LBB172_39
.LBB172_49:
                                        ; implicit-def: $vgpr49
	s_branch .LBB172_51
.LBB172_50:
	s_cbranch_execnz .LBB172_84
.LBB172_51:
	s_and_b64 vcc, exec, s[0:1]
	v_mov_b32_e32 v49, 0
	s_cbranch_vccnz .LBB172_84
; %bb.52:
	v_lshlrev_b32_e32 v0, 3, v1
	buffer_store_dword v0, off, s[36:39], 0 offset:100 ; 4-byte Folded Spill
	v_add_co_u32_e32 v0, vcc, s20, v0
	v_addc_co_u32_e64 v17, s[0:1], 0, 0, vcc
	v_mul_lo_u32 v2, s15, v0
	v_mul_lo_u32 v3, s14, v17
	v_mad_u64_u32 v[4:5], s[0:1], s14, v0, 0
	s_load_dword s7, s[4:5], 0x44
	s_add_u32 s2, s4, 64
	v_add3_u32 v5, v5, v3, v2
	v_lshlrev_b64 v[2:3], 1, v[4:5]
	s_addc_u32 s3, s5, 0
	s_waitcnt lgkmcnt(0)
	s_lshl_b32 s7, s7, 7
	v_mov_b32_e32 v6, s17
	v_add_co_u32_e32 v7, vcc, s16, v2
	s_mul_i32 s0, s15, s7
	s_mul_hi_u32 s1, s14, s7
	v_addc_co_u32_e32 v6, vcc, v6, v3, vcc
	s_add_i32 s1, s1, s0
	s_mul_i32 s0, s14, s7
	buffer_store_dword v6, off, s[36:39], 0 offset:4 ; 4-byte Folded Spill
	s_lshl_b64 s[8:9], s[0:1], 1
	v_mov_b32_e32 v6, s19
	v_add_co_u32_e32 v2, vcc, s18, v2
	buffer_store_dword v2, off, s[36:39], 0 offset:8 ; 4-byte Folded Spill
	v_addc_co_u32_e32 v2, vcc, v6, v3, vcc
	s_add_u32 s22, s20, 0x7f
	buffer_store_dword v2, off, s[36:39], 0 offset:12 ; 4-byte Folded Spill
	s_addc_u32 s23, 0, 0
	v_lshlrev_b32_e32 v2, 4, v1
	s_lshl_b64 s[0:1], s[20:21], 1
	v_mov_b32_e32 v3, s1
	v_add_co_u32_e32 v6, vcc, s0, v2
	buffer_store_dword v7, off, s[36:39], 0 ; 4-byte Folded Spill
	v_addc_co_u32_e32 v7, vcc, 0, v3, vcc
	v_add_co_u32_e32 v8, vcc, 2, v6
	v_addc_co_u32_e32 v9, vcc, 0, v7, vcc
	v_mov_b32_e32 v2, s16
	v_mul_lo_u32 v12, s14, v9
	v_mov_b32_e32 v9, s18
	v_mov_b32_e32 v3, s17
	;; [unrolled: 1-line block ×3, first 2 shown]
	v_mad_u64_u32 v[19:20], s[0:1], s14, v8, v[2:3]
	v_mul_lo_u32 v13, s15, v8
	v_mad_u64_u32 v[21:22], s[0:1], s14, v8, v[9:10]
	v_add_co_u32_e32 v8, vcc, 4, v6
	v_addc_co_u32_e32 v14, vcc, 0, v7, vcc
	v_mov_b32_e32 v11, s15
	v_add_co_u32_e32 v4, vcc, s14, v4
	v_addc_co_u32_e32 v5, vcc, v5, v11, vcc
	v_mul_lo_u32 v15, s15, v8
	v_mad_u64_u32 v[23:24], s[0:1], s14, v8, v[2:3]
	v_mad_u64_u32 v[25:26], s[0:1], s14, v8, v[9:10]
	v_add_co_u32_e32 v8, vcc, 6, v6
	v_addc_co_u32_e32 v11, vcc, 0, v7, vcc
	v_add3_u32 v20, v13, v20, v12
	v_add3_u32 v22, v13, v22, v12
	v_mul_lo_u32 v11, s14, v11
	v_mul_lo_u32 v12, s15, v8
	v_mad_u64_u32 v[27:28], s[0:1], s14, v8, v[2:3]
	v_mad_u64_u32 v[29:30], s[0:1], s14, v8, v[9:10]
	v_add_co_u32_e32 v8, vcc, 8, v6
	v_mul_lo_u32 v14, s14, v14
	v_addc_co_u32_e32 v13, vcc, 0, v7, vcc
	v_mul_lo_u32 v16, s15, v8
	v_mad_u64_u32 v[31:32], s[0:1], s14, v8, v[2:3]
	v_mad_u64_u32 v[33:34], s[0:1], s14, v8, v[9:10]
	v_add_co_u32_e32 v8, vcc, 10, v6
	v_add3_u32 v28, v12, v28, v11
	v_add3_u32 v30, v12, v30, v11
	v_addc_co_u32_e32 v11, vcc, 0, v7, vcc
	v_mul_lo_u32 v12, s15, v8
	v_mad_u64_u32 v[35:36], s[0:1], s14, v8, v[2:3]
	v_mad_u64_u32 v[37:38], s[0:1], s14, v8, v[9:10]
	v_add_co_u32_e32 v8, vcc, 12, v6
	v_add3_u32 v24, v15, v24, v14
	v_add3_u32 v26, v15, v26, v14
	v_addc_co_u32_e32 v14, vcc, 0, v7, vcc
	v_add_co_u32_e32 v6, vcc, 14, v6
	v_addc_co_u32_e32 v7, vcc, 0, v7, vcc
	v_mad_u64_u32 v[39:40], s[0:1], s14, v8, v[2:3]
	v_mad_u64_u32 v[43:44], s[0:1], s14, v6, v[2:3]
	v_add_co_u32_e32 v2, vcc, 7, v0
	v_addc_co_u32_e32 v3, vcc, 0, v17, vcc
	v_mul_lo_u32 v15, s15, v8
	v_mad_u64_u32 v[41:42], s[0:1], s14, v8, v[9:10]
	v_mad_u64_u32 v[45:46], s[0:1], s14, v6, v[9:10]
	v_mul_lo_u32 v8, s14, v3
	v_mul_lo_u32 v9, s15, v2
	v_mad_u64_u32 v[2:3], s[0:1], s14, v2, 0
	v_mul_lo_u32 v7, s14, v7
	v_mul_lo_u32 v6, s15, v6
	v_add3_u32 v3, v3, v8, v9
	v_lshlrev_b64 v[2:3], 1, v[2:3]
	buffer_store_dword v1, off, s[36:39], 0 offset:96 ; 4-byte Folded Spill
	v_add3_u32 v44, v6, v44, v7
	v_add3_u32 v46, v6, v46, v7
	v_mov_b32_e32 v6, s17
	v_add_co_u32_e32 v1, vcc, s16, v2
	buffer_store_dword v1, off, s[36:39], 0 offset:16 ; 4-byte Folded Spill
	v_addc_co_u32_e32 v1, vcc, v6, v3, vcc
	v_add_co_u32_e32 v6, vcc, 6, v0
	v_addc_co_u32_e32 v7, vcc, 0, v17, vcc
	v_mul_lo_u32 v9, s14, v7
	v_mul_lo_u32 v10, s15, v6
	v_mad_u64_u32 v[6:7], s[0:1], s14, v6, 0
	buffer_store_dword v1, off, s[36:39], 0 offset:20 ; 4-byte Folded Spill
	v_mov_b32_e32 v8, s19
	v_add_co_u32_e32 v1, vcc, s18, v2
	v_add3_u32 v7, v7, v9, v10
	buffer_store_dword v1, off, s[36:39], 0 offset:24 ; 4-byte Folded Spill
	v_addc_co_u32_e32 v1, vcc, v8, v3, vcc
	v_lshlrev_b64 v[2:3], 1, v[6:7]
	buffer_store_dword v1, off, s[36:39], 0 offset:28 ; 4-byte Folded Spill
	v_mov_b32_e32 v6, s17
	v_add_co_u32_e32 v1, vcc, s16, v2
	buffer_store_dword v1, off, s[36:39], 0 offset:32 ; 4-byte Folded Spill
	v_addc_co_u32_e32 v1, vcc, v6, v3, vcc
	v_add_co_u32_e32 v6, vcc, 5, v0
	v_addc_co_u32_e32 v7, vcc, 0, v17, vcc
	v_mul_lo_u32 v9, s14, v7
	v_mul_lo_u32 v10, s15, v6
	v_mad_u64_u32 v[6:7], s[0:1], s14, v6, 0
	buffer_store_dword v1, off, s[36:39], 0 offset:36 ; 4-byte Folded Spill
	v_add_co_u32_e32 v1, vcc, s18, v2
	v_add3_u32 v7, v7, v9, v10
	buffer_store_dword v1, off, s[36:39], 0 offset:40 ; 4-byte Folded Spill
	v_addc_co_u32_e32 v1, vcc, v8, v3, vcc
	v_lshlrev_b64 v[2:3], 1, v[6:7]
	buffer_store_dword v1, off, s[36:39], 0 offset:44 ; 4-byte Folded Spill
	v_mov_b32_e32 v6, s17
	v_add_co_u32_e32 v1, vcc, s16, v2
	buffer_store_dword v1, off, s[36:39], 0 offset:48 ; 4-byte Folded Spill
	v_addc_co_u32_e32 v1, vcc, v6, v3, vcc
	v_add_co_u32_e32 v6, vcc, 4, v0
	v_addc_co_u32_e32 v7, vcc, 0, v17, vcc
	v_mul_lo_u32 v9, s14, v7
	v_mul_lo_u32 v10, s15, v6
	v_mad_u64_u32 v[6:7], s[0:1], s14, v6, 0
	buffer_store_dword v1, off, s[36:39], 0 offset:52 ; 4-byte Folded Spill
	v_add_co_u32_e32 v1, vcc, s18, v2
	v_add3_u32 v7, v7, v9, v10
	buffer_store_dword v1, off, s[36:39], 0 offset:56 ; 4-byte Folded Spill
	v_addc_co_u32_e32 v1, vcc, v8, v3, vcc
	v_lshlrev_b64 v[2:3], 1, v[6:7]
	buffer_store_dword v1, off, s[36:39], 0 offset:60 ; 4-byte Folded Spill
	v_mov_b32_e32 v6, s17
	v_add_co_u32_e32 v1, vcc, s16, v2
	buffer_store_dword v1, off, s[36:39], 0 offset:64 ; 4-byte Folded Spill
	v_addc_co_u32_e32 v1, vcc, v6, v3, vcc
	buffer_store_dword v1, off, s[36:39], 0 offset:68 ; 4-byte Folded Spill
	v_mov_b32_e32 v6, s19
	v_add_co_u32_e32 v1, vcc, s18, v2
	buffer_store_dword v1, off, s[36:39], 0 offset:72 ; 4-byte Folded Spill
	v_addc_co_u32_e32 v1, vcc, v6, v3, vcc
	v_add_co_u32_e32 v2, vcc, 3, v0
	v_addc_co_u32_e32 v3, vcc, 0, v17, vcc
	v_mul_lo_u32 v6, s14, v3
	v_mul_lo_u32 v7, s15, v2
	v_mad_u64_u32 v[2:3], s[0:1], s14, v2, 0
	buffer_store_dword v1, off, s[36:39], 0 offset:76 ; 4-byte Folded Spill
	v_mul_lo_u32 v13, s14, v13
	v_add3_u32 v3, v3, v6, v7
	v_lshlrev_b64 v[2:3], 1, v[2:3]
	v_mov_b32_e32 v6, s17
	v_add_co_u32_e32 v1, vcc, s16, v2
	buffer_store_dword v1, off, s[36:39], 0 offset:80 ; 4-byte Folded Spill
	v_addc_co_u32_e32 v1, vcc, v6, v3, vcc
	buffer_store_dword v1, off, s[36:39], 0 offset:84 ; 4-byte Folded Spill
	v_mov_b32_e32 v6, s19
	v_add_co_u32_e32 v1, vcc, s18, v2
	v_addc_co_u32_e32 v58, vcc, v6, v3, vcc
	v_add_co_u32_e32 v0, vcc, 2, v0
	buffer_store_dword v1, off, s[36:39], 0 offset:88 ; 4-byte Folded Spill
	v_addc_co_u32_e32 v1, vcc, 0, v17, vcc
	v_mul_lo_u32 v2, s14, v1
	v_mul_lo_u32 v3, s15, v0
	v_mad_u64_u32 v[0:1], s[0:1], s14, v0, 0
	v_mul_lo_u32 v11, s14, v11
	v_mul_lo_u32 v14, s14, v14
	v_add3_u32 v1, v1, v2, v3
	v_lshlrev_b64 v[0:1], 1, v[0:1]
	v_mov_b32_e32 v2, s17
	v_add_co_u32_e32 v59, vcc, s16, v0
	v_mov_b32_e32 v3, v60
	v_addc_co_u32_e32 v60, vcc, v2, v1, vcc
	v_mov_b32_e32 v2, s19
	v_add_co_u32_e32 v61, vcc, s18, v0
	v_addc_co_u32_e32 v62, vcc, v2, v1, vcc
	v_lshlrev_b64 v[0:1], 1, v[4:5]
	v_mov_b32_e32 v2, s17
	v_add_co_u32_e32 v63, vcc, s16, v0
	v_addc_co_u32_e32 v50, vcc, v2, v1, vcc
	v_mov_b32_e32 v2, s19
	v_add_co_u32_e32 v51, vcc, s18, v0
	v_addc_co_u32_e32 v1, vcc, v2, v1, vcc
	v_mov_b32_e32 v2, 0
	v_mbcnt_lo_u32_b32 v0, -1, 0
	buffer_store_dword v3, off, s[36:39], 0 offset:92 ; 4-byte Folded Spill
	v_add_u32_e32 v3, s33, v3
	v_mov_b32_e32 v4, v2
	v_mbcnt_hi_u32_b32 v0, -1, v0
	v_lshlrev_b64 v[47:48], 1, v[3:4]
	v_lshlrev_b32_e32 v0, 2, v0
	v_add3_u32 v32, v16, v32, v13
	v_add3_u32 v34, v16, v34, v13
	;; [unrolled: 1-line block ×6, first 2 shown]
	v_and_b32_e32 v0, 0x100, v0
	v_mov_b32_e32 v52, 0
.LBB172_53:                             ; =>This Inner Loop Header: Depth=1
	v_mov_b32_e32 v3, s12
	v_mov_b32_e32 v4, s13
	v_cmp_ge_i64_e32 vcc, s[22:23], v[3:4]
	buffer_load_dword v4, off, s[36:39], 0 offset:100 ; 4-byte Folded Reload
	v_mov_b32_e32 v3, s23
	s_and_b64 vcc, exec, vcc
                                        ; implicit-def: $vgpr49
	s_waitcnt vmcnt(0)
	v_add_co_u32_e64 v53, s[0:1], s22, v4
	v_addc_co_u32_e64 v54, s[0:1], 0, v3, s[0:1]
	s_mov_b64 s[0:1], -1
	s_cbranch_vccz .LBB172_75
; %bb.54:                               ;   in Loop: Header=BB172_53 Depth=1
	s_load_dword s0, s[2:3], 0xc
	buffer_load_dword v3, off, s[36:39], 0 offset:92 ; 4-byte Folded Reload
	buffer_load_dword v4, off, s[36:39], 0 offset:96 ; 4-byte Folded Reload
	v_mov_b32_e32 v55, 0
	s_waitcnt lgkmcnt(0)
	s_and_b32 s0, s0, 0xffff
	s_waitcnt vmcnt(0)
	v_mad_u32_u24 v3, v4, s0, v3
	v_and_b32_e32 v3, 63, v3
	v_cmp_gt_u32_e32 vcc, 8, v3
	s_and_saveexec_b64 s[0:1], vcc
	s_cbranch_execz .LBB172_58
; %bb.55:                               ;   in Loop: Header=BB172_53 Depth=1
	v_add_co_u32_e32 v3, vcc, v53, v3
	v_addc_co_u32_e32 v4, vcc, 0, v54, vcc
	v_add_co_u32_e32 v3, vcc, 0xffffff81, v3
	v_addc_co_u32_e32 v4, vcc, -1, v4, vcc
	v_cmp_gt_i64_e32 vcc, s[12:13], v[3:4]
	v_mov_b32_e32 v55, 0
	s_and_saveexec_b64 s[16:17], vcc
	s_cbranch_execz .LBB172_57
; %bb.56:                               ;   in Loop: Header=BB172_53 Depth=1
	v_lshlrev_b64 v[3:4], 2, v[3:4]
	v_mov_b32_e32 v5, s11
	v_add_co_u32_e32 v3, vcc, s10, v3
	v_addc_co_u32_e32 v4, vcc, v5, v4, vcc
	global_load_dword v55, v[3:4], off
.LBB172_57:                             ;   in Loop: Header=BB172_53 Depth=1
	s_or_b64 exec, exec, s[16:17]
.LBB172_58:                             ;   in Loop: Header=BB172_53 Depth=1
	s_or_b64 exec, exec, s[0:1]
	v_add_co_u32_e32 v3, vcc, 0xffffff81, v53
	v_addc_co_u32_e32 v4, vcc, -1, v54, vcc
	v_mov_b32_e32 v9, v2
	v_cmp_gt_i64_e32 vcc, s[12:13], v[3:4]
	v_mov_b32_e32 v3, v2
	v_mov_b32_e32 v4, v2
	;; [unrolled: 1-line block ×22, first 2 shown]
	s_and_saveexec_b64 s[0:1], vcc
	s_cbranch_execz .LBB172_60
; %bb.59:                               ;   in Loop: Header=BB172_53 Depth=1
	buffer_load_dword v3, off, s[36:39], 0  ; 4-byte Folded Reload
	buffer_load_dword v4, off, s[36:39], 0 offset:4 ; 4-byte Folded Reload
	v_mov_b32_e32 v5, v2
	v_mov_b32_e32 v6, v2
	;; [unrolled: 1-line block ×12, first 2 shown]
	s_waitcnt vmcnt(1)
	v_add_co_u32_e32 v3, vcc, v3, v47
	s_waitcnt vmcnt(0)
	v_addc_co_u32_e32 v4, vcc, v4, v48, vcc
	global_load_ushort v11, v[3:4], off
	s_nop 0
	buffer_load_dword v3, off, s[36:39], 0 offset:8 ; 4-byte Folded Reload
	buffer_load_dword v4, off, s[36:39], 0 offset:12 ; 4-byte Folded Reload
	s_waitcnt vmcnt(1)
	v_add_co_u32_e32 v3, vcc, v3, v47
	s_waitcnt vmcnt(0)
	v_addc_co_u32_e32 v4, vcc, v4, v48, vcc
	global_load_ushort v15, v[3:4], off
	v_cvt_f32_f16_e32 v3, v11
	v_mov_b32_e32 v4, v2
	s_waitcnt vmcnt(0)
	v_cvt_f32_f16_e32 v11, v15
	v_mov_b32_e32 v15, v2
.LBB172_60:                             ;   in Loop: Header=BB172_53 Depth=1
	s_or_b64 exec, exec, s[0:1]
	v_add_co_u32_e32 v56, vcc, 0xffffff82, v53
	v_addc_co_u32_e32 v57, vcc, -1, v54, vcc
	v_cmp_gt_i64_e32 vcc, s[12:13], v[56:57]
	s_and_saveexec_b64 s[0:1], vcc
	s_cbranch_execz .LBB172_62
; %bb.61:                               ;   in Loop: Header=BB172_53 Depth=1
	v_add_co_u32_e32 v56, vcc, v63, v47
	v_addc_co_u32_e32 v57, vcc, v50, v48, vcc
	global_load_ushort v4, v[56:57], off
	v_add_co_u32_e32 v56, vcc, v51, v47
	v_addc_co_u32_e32 v57, vcc, v1, v48, vcc
	global_load_ushort v12, v[56:57], off
	s_waitcnt vmcnt(1)
	v_cvt_f32_f16_e32 v4, v4
	s_waitcnt vmcnt(0)
	v_cvt_f32_f16_e32 v12, v12
.LBB172_62:                             ;   in Loop: Header=BB172_53 Depth=1
	s_or_b64 exec, exec, s[0:1]
	v_add_co_u32_e32 v56, vcc, 0xffffff83, v53
	v_addc_co_u32_e32 v57, vcc, -1, v54, vcc
	v_cmp_gt_i64_e32 vcc, s[12:13], v[56:57]
	s_and_saveexec_b64 s[0:1], vcc
	s_cbranch_execz .LBB172_64
; %bb.63:                               ;   in Loop: Header=BB172_53 Depth=1
	v_add_co_u32_e32 v56, vcc, v59, v47
	v_addc_co_u32_e32 v57, vcc, v60, v48, vcc
	global_load_ushort v5, v[56:57], off
	v_add_co_u32_e32 v56, vcc, v61, v47
	v_addc_co_u32_e32 v57, vcc, v62, v48, vcc
	global_load_ushort v13, v[56:57], off
	s_waitcnt vmcnt(1)
	v_cvt_f32_f16_e32 v5, v5
	s_waitcnt vmcnt(0)
	v_cvt_f32_f16_e32 v13, v13
.LBB172_64:                             ;   in Loop: Header=BB172_53 Depth=1
	s_or_b64 exec, exec, s[0:1]
	v_add_co_u32_e32 v56, vcc, 0xffffff84, v53
	v_addc_co_u32_e32 v57, vcc, -1, v54, vcc
	v_cmp_gt_i64_e32 vcc, s[12:13], v[56:57]
	s_and_saveexec_b64 s[0:1], vcc
	s_cbranch_execz .LBB172_66
; %bb.65:                               ;   in Loop: Header=BB172_53 Depth=1
	buffer_load_dword v6, off, s[36:39], 0 offset:80 ; 4-byte Folded Reload
	buffer_load_dword v14, off, s[36:39], 0 offset:88 ; 4-byte Folded Reload
	s_waitcnt vmcnt(1)
	v_add_co_u32_e32 v56, vcc, v6, v47
	buffer_load_dword v6, off, s[36:39], 0 offset:84 ; 4-byte Folded Reload
	s_waitcnt vmcnt(0)
	v_addc_co_u32_e32 v57, vcc, v6, v48, vcc
	global_load_ushort v6, v[56:57], off
	v_add_co_u32_e32 v56, vcc, v14, v47
	v_addc_co_u32_e32 v57, vcc, v58, v48, vcc
	global_load_ushort v14, v[56:57], off
	s_waitcnt vmcnt(1)
	v_cvt_f32_f16_e32 v6, v6
	s_waitcnt vmcnt(0)
	v_cvt_f32_f16_e32 v14, v14
.LBB172_66:                             ;   in Loop: Header=BB172_53 Depth=1
	s_or_b64 exec, exec, s[0:1]
	v_add_co_u32_e32 v56, vcc, 0xffffff85, v53
	v_addc_co_u32_e32 v57, vcc, -1, v54, vcc
	v_cmp_gt_i64_e32 vcc, s[12:13], v[56:57]
	s_and_saveexec_b64 s[0:1], vcc
	s_cbranch_execz .LBB172_68
; %bb.67:                               ;   in Loop: Header=BB172_53 Depth=1
	buffer_load_dword v7, off, s[36:39], 0 offset:64 ; 4-byte Folded Reload
	buffer_load_dword v15, off, s[36:39], 0 offset:72 ; 4-byte Folded Reload
	s_waitcnt vmcnt(1)
	v_add_co_u32_e32 v56, vcc, v7, v47
	buffer_load_dword v7, off, s[36:39], 0 offset:68 ; 4-byte Folded Reload
	s_waitcnt vmcnt(0)
	v_addc_co_u32_e32 v57, vcc, v7, v48, vcc
	global_load_ushort v7, v[56:57], off
	v_add_co_u32_e32 v56, vcc, v15, v47
	buffer_load_dword v15, off, s[36:39], 0 offset:76 ; 4-byte Folded Reload
	s_waitcnt vmcnt(1)
	v_cvt_f32_f16_e32 v7, v7
	s_waitcnt vmcnt(0)
	v_addc_co_u32_e32 v57, vcc, v15, v48, vcc
	global_load_ushort v15, v[56:57], off
	s_waitcnt vmcnt(0)
	v_cvt_f32_f16_e32 v15, v15
.LBB172_68:                             ;   in Loop: Header=BB172_53 Depth=1
	s_or_b64 exec, exec, s[0:1]
	v_add_co_u32_e32 v56, vcc, 0xffffff86, v53
	v_addc_co_u32_e32 v57, vcc, -1, v54, vcc
	v_cmp_gt_i64_e32 vcc, s[12:13], v[56:57]
	s_and_saveexec_b64 s[0:1], vcc
	s_cbranch_execz .LBB172_70
; %bb.69:                               ;   in Loop: Header=BB172_53 Depth=1
	buffer_load_dword v8, off, s[36:39], 0 offset:48 ; 4-byte Folded Reload
	buffer_load_dword v16, off, s[36:39], 0 offset:56 ; 4-byte Folded Reload
	s_waitcnt vmcnt(1)
	v_add_co_u32_e32 v56, vcc, v8, v47
	buffer_load_dword v8, off, s[36:39], 0 offset:52 ; 4-byte Folded Reload
	s_waitcnt vmcnt(0)
	v_addc_co_u32_e32 v57, vcc, v8, v48, vcc
	global_load_ushort v8, v[56:57], off
	v_add_co_u32_e32 v56, vcc, v16, v47
	buffer_load_dword v16, off, s[36:39], 0 offset:60 ; 4-byte Folded Reload
	s_waitcnt vmcnt(1)
	v_cvt_f32_f16_e32 v8, v8
	s_waitcnt vmcnt(0)
	v_addc_co_u32_e32 v57, vcc, v16, v48, vcc
	global_load_ushort v16, v[56:57], off
	s_waitcnt vmcnt(0)
	v_cvt_f32_f16_e32 v16, v16
.LBB172_70:                             ;   in Loop: Header=BB172_53 Depth=1
	;; [unrolled: 25-line block ×4, first 2 shown]
	s_or_b64 exec, exec, s[0:1]
	s_waitcnt vmcnt(0)
	ds_bpermute_b32 v49, v0, v55
	v_mul_f32_e32 v3, v11, v3
	v_mul_f32_e32 v4, v12, v4
	s_mov_b64 s[0:1], 0
	s_waitcnt lgkmcnt(0)
	v_fma_f32 v49, v3, v49, v52
	ds_bpermute_b32 v3, v0, v55 offset:4
	s_waitcnt lgkmcnt(0)
	v_fmac_f32_e32 v49, v4, v3
	ds_bpermute_b32 v3, v0, v55 offset:8
	v_mul_f32_e32 v4, v13, v5
	s_waitcnt lgkmcnt(0)
	v_fmac_f32_e32 v49, v4, v3
	ds_bpermute_b32 v3, v0, v55 offset:12
	v_mul_f32_e32 v4, v14, v6
	;; [unrolled: 4-line block ×6, first 2 shown]
	s_waitcnt lgkmcnt(0)
	v_fmac_f32_e32 v49, v4, v3
.LBB172_75:                             ;   in Loop: Header=BB172_53 Depth=1
	s_and_b64 vcc, exec, s[0:1]
	s_cbranch_vccz .LBB172_81
; %bb.76:                               ;   in Loop: Header=BB172_53 Depth=1
	s_load_dword s0, s[2:3], 0x0
	s_waitcnt lgkmcnt(0)
	s_cmp_lt_u32 s6, s0
	s_cselect_b32 s0, 12, 18
	s_add_u32 s0, s2, s0
	s_addc_u32 s1, s3, 0
	global_load_ushort v3, v2, s[0:1]
	buffer_load_dword v4, off, s[36:39], 0 offset:92 ; 4-byte Folded Reload
	buffer_load_dword v5, off, s[36:39], 0 offset:96 ; 4-byte Folded Reload
	s_waitcnt vmcnt(0)
	v_mad_u32_u24 v3, v5, v3, v4
	v_and_b32_e32 v3, 63, v3
	v_cmp_gt_u32_e32 vcc, 8, v3
	v_mov_b32_e32 v5, 0
	s_and_saveexec_b64 s[0:1], vcc
	s_cbranch_execz .LBB172_80
; %bb.77:                               ;   in Loop: Header=BB172_53 Depth=1
	v_add_co_u32_e32 v3, vcc, v53, v3
	v_addc_co_u32_e32 v4, vcc, 0, v54, vcc
	v_add_co_u32_e32 v3, vcc, 0xffffff81, v3
	v_addc_co_u32_e32 v4, vcc, -1, v4, vcc
	v_cmp_gt_i64_e32 vcc, s[12:13], v[3:4]
	v_mov_b32_e32 v5, 0
	s_and_saveexec_b64 s[16:17], vcc
	s_cbranch_execz .LBB172_79
; %bb.78:                               ;   in Loop: Header=BB172_53 Depth=1
	v_lshlrev_b64 v[3:4], 2, v[3:4]
	v_mov_b32_e32 v5, s11
	v_add_co_u32_e32 v3, vcc, s10, v3
	v_addc_co_u32_e32 v4, vcc, v5, v4, vcc
	global_load_dword v5, v[3:4], off
.LBB172_79:                             ;   in Loop: Header=BB172_53 Depth=1
	s_or_b64 exec, exec, s[16:17]
.LBB172_80:                             ;   in Loop: Header=BB172_53 Depth=1
	s_or_b64 exec, exec, s[0:1]
	buffer_load_dword v3, off, s[36:39], 0  ; 4-byte Folded Reload
	buffer_load_dword v4, off, s[36:39], 0 offset:4 ; 4-byte Folded Reload
	s_waitcnt vmcnt(1)
	v_add_co_u32_e32 v3, vcc, v3, v47
	s_waitcnt vmcnt(0)
	v_addc_co_u32_e32 v4, vcc, v4, v48, vcc
	global_load_ushort v3, v[3:4], off
	s_waitcnt vmcnt(0)
	v_cvt_f32_f16_e32 v18, v3
	buffer_load_dword v3, off, s[36:39], 0 offset:8 ; 4-byte Folded Reload
	buffer_load_dword v4, off, s[36:39], 0 offset:12 ; 4-byte Folded Reload
	s_waitcnt vmcnt(1)
	v_add_co_u32_e32 v3, vcc, v3, v47
	s_waitcnt vmcnt(0)
	v_addc_co_u32_e32 v4, vcc, v4, v48, vcc
	global_load_ushort v3, v[3:4], off
	s_waitcnt vmcnt(0)
	v_cvt_f32_f16_e32 v49, v3
	v_add_co_u32_e32 v3, vcc, v19, v47
	v_addc_co_u32_e32 v4, vcc, v20, v48, vcc
	v_add_co_u32_e32 v6, vcc, v21, v47
	v_addc_co_u32_e32 v7, vcc, v22, v48, vcc
	global_load_ushort v3, v[3:4], off
	v_mul_f32_e32 v18, v18, v49
	global_load_ushort v4, v[6:7], off
	v_add_co_u32_e32 v6, vcc, v23, v47
	v_addc_co_u32_e32 v7, vcc, v24, v48, vcc
	v_add_co_u32_e32 v9, vcc, v25, v47
	v_addc_co_u32_e32 v10, vcc, v26, v48, vcc
	;; [unrolled: 2-line block ×3, first 2 shown]
	s_waitcnt vmcnt(1)
	v_cvt_f32_f16_e32 v3, v3
	s_waitcnt vmcnt(0)
	v_cvt_f32_f16_e32 v8, v4
	global_load_ushort v4, v[6:7], off
	v_mul_f32_e32 v3, v3, v8
	s_waitcnt vmcnt(0)
	v_cvt_f32_f16_e32 v6, v4
	global_load_ushort v4, v[9:10], off
	s_waitcnt vmcnt(0)
	v_cvt_f32_f16_e32 v10, v4
	global_load_ushort v4, v[11:12], off
	v_add_co_u32_e32 v11, vcc, v29, v47
	v_addc_co_u32_e32 v12, vcc, v30, v48, vcc
	v_mul_f32_e32 v6, v6, v10
	s_waitcnt vmcnt(0)
	v_cvt_f32_f16_e32 v7, v4
	global_load_ushort v4, v[11:12], off
	v_add_co_u32_e32 v11, vcc, v31, v47
	v_addc_co_u32_e32 v12, vcc, v32, v48, vcc
	s_waitcnt vmcnt(0)
	v_cvt_f32_f16_e32 v13, v4
	global_load_ushort v4, v[11:12], off
	v_add_co_u32_e32 v11, vcc, v33, v47
	v_addc_co_u32_e32 v12, vcc, v34, v48, vcc
	global_load_ushort v9, v[11:12], off
	v_add_co_u32_e32 v11, vcc, v35, v47
	v_addc_co_u32_e32 v12, vcc, v36, v48, vcc
	v_add_co_u32_e32 v14, vcc, v37, v47
	v_addc_co_u32_e32 v15, vcc, v38, v48, vcc
	global_load_ushort v11, v[11:12], off
	v_add_co_u32_e32 v16, vcc, v39, v47
	global_load_ushort v12, v[14:15], off
	v_addc_co_u32_e32 v17, vcc, v40, v48, vcc
	s_waitcnt vmcnt(3)
	v_cvt_f32_f16_e32 v4, v4
	s_waitcnt vmcnt(2)
	v_cvt_f32_f16_e32 v9, v9
	v_mul_f32_e32 v4, v4, v9
	s_waitcnt vmcnt(1)
	v_cvt_f32_f16_e32 v11, v11
	s_waitcnt vmcnt(0)
	v_cvt_f32_f16_e32 v15, v12
	global_load_ushort v12, v[16:17], off
	v_add_co_u32_e32 v16, vcc, v41, v47
	v_addc_co_u32_e32 v17, vcc, v42, v48, vcc
	v_add_co_u32_e32 v53, vcc, v43, v47
	v_addc_co_u32_e32 v54, vcc, v44, v48, vcc
	s_waitcnt vmcnt(0)
	v_cvt_f32_f16_e32 v14, v12
	global_load_ushort v12, v[16:17], off
	s_waitcnt vmcnt(0)
	v_cvt_f32_f16_e32 v17, v12
	global_load_ushort v12, v[53:54], off
	v_add_co_u32_e32 v53, vcc, v45, v47
	v_addc_co_u32_e32 v54, vcc, v46, v48, vcc
	global_load_ushort v16, v[53:54], off
	ds_bpermute_b32 v53, v0, v5
	s_waitcnt lgkmcnt(0)
	v_fmac_f32_e32 v52, v18, v53
	ds_bpermute_b32 v18, v0, v5 offset:4
	s_waitcnt lgkmcnt(0)
	v_fmac_f32_e32 v52, v3, v18
	ds_bpermute_b32 v3, v0, v5 offset:8
	;; [unrolled: 3-line block ×3, first 2 shown]
	v_mul_f32_e32 v6, v7, v13
	s_waitcnt lgkmcnt(0)
	v_fmac_f32_e32 v52, v6, v3
	ds_bpermute_b32 v3, v0, v5 offset:16
	s_waitcnt lgkmcnt(0)
	v_fmac_f32_e32 v52, v4, v3
	ds_bpermute_b32 v3, v0, v5 offset:20
	v_mul_f32_e32 v4, v11, v15
	s_waitcnt lgkmcnt(0)
	v_fmac_f32_e32 v52, v4, v3
	ds_bpermute_b32 v3, v0, v5 offset:24
	v_mul_f32_e32 v4, v14, v17
	s_waitcnt lgkmcnt(0)
	v_fmac_f32_e32 v52, v4, v3
	ds_bpermute_b32 v3, v0, v5 offset:28
	s_waitcnt vmcnt(1)
	v_cvt_f32_f16_e32 v12, v12
	s_waitcnt vmcnt(0)
	v_cvt_f32_f16_e32 v16, v16
	v_mul_f32_e32 v4, v12, v16
	s_waitcnt lgkmcnt(0)
	v_fmac_f32_e32 v52, v4, v3
	v_mov_b32_e32 v49, v52
.LBB172_81:                             ;   in Loop: Header=BB172_53 Depth=1
	buffer_load_dword v3, off, s[36:39], 0  ; 4-byte Folded Reload
	buffer_load_dword v4, off, s[36:39], 0 offset:4 ; 4-byte Folded Reload
	s_add_u32 s20, s20, s7
	s_addc_u32 s21, s21, 0
	s_add_u32 s22, s22, s7
	s_addc_u32 s23, s23, 0
	s_waitcnt vmcnt(1)
	v_add_co_u32_e32 v3, vcc, s8, v3
	buffer_store_dword v3, off, s[36:39], 0 ; 4-byte Folded Spill
	v_mov_b32_e32 v3, s9
	s_waitcnt vmcnt(1)
	v_addc_co_u32_e32 v4, vcc, v4, v3, vcc
	buffer_store_dword v4, off, s[36:39], 0 offset:4 ; 4-byte Folded Spill
	buffer_load_dword v4, off, s[36:39], 0 offset:8 ; 4-byte Folded Reload
	s_waitcnt vmcnt(0)
	v_add_co_u32_e32 v4, vcc, s8, v4
	buffer_store_dword v4, off, s[36:39], 0 offset:8 ; 4-byte Folded Spill
	buffer_load_dword v4, off, s[36:39], 0 offset:12 ; 4-byte Folded Reload
	s_waitcnt vmcnt(0)
	v_addc_co_u32_e32 v4, vcc, v4, v3, vcc
	buffer_store_dword v4, off, s[36:39], 0 offset:12 ; 4-byte Folded Spill
	buffer_load_dword v4, off, s[36:39], 0 offset:16 ; 4-byte Folded Reload
	v_add_co_u32_e32 v19, vcc, s8, v19
	v_addc_co_u32_e32 v20, vcc, v20, v3, vcc
	v_add_co_u32_e32 v23, vcc, s8, v23
	v_addc_co_u32_e32 v24, vcc, v24, v3, vcc
	v_add_co_u32_e32 v27, vcc, s8, v27
	v_addc_co_u32_e32 v28, vcc, v28, v3, vcc
	v_add_co_u32_e32 v31, vcc, s8, v31
	v_addc_co_u32_e32 v32, vcc, v32, v3, vcc
	v_add_co_u32_e32 v35, vcc, s8, v35
	v_addc_co_u32_e32 v36, vcc, v36, v3, vcc
	v_add_co_u32_e32 v39, vcc, s8, v39
	v_addc_co_u32_e32 v40, vcc, v40, v3, vcc
	v_add_co_u32_e32 v43, vcc, s8, v43
	v_addc_co_u32_e32 v44, vcc, v44, v3, vcc
	v_add_co_u32_e32 v21, vcc, s8, v21
	v_addc_co_u32_e32 v22, vcc, v22, v3, vcc
	v_add_co_u32_e32 v25, vcc, s8, v25
	v_addc_co_u32_e32 v26, vcc, v26, v3, vcc
	v_add_co_u32_e32 v29, vcc, s8, v29
	v_addc_co_u32_e32 v30, vcc, v30, v3, vcc
	v_add_co_u32_e32 v33, vcc, s8, v33
	v_addc_co_u32_e32 v34, vcc, v34, v3, vcc
	v_add_co_u32_e32 v37, vcc, s8, v37
	v_addc_co_u32_e32 v38, vcc, v38, v3, vcc
	v_add_co_u32_e32 v41, vcc, s8, v41
	v_addc_co_u32_e32 v42, vcc, v42, v3, vcc
	v_add_co_u32_e32 v45, vcc, s8, v45
	v_addc_co_u32_e32 v46, vcc, v46, v3, vcc
	s_waitcnt vmcnt(0)
	v_add_co_u32_e32 v4, vcc, s8, v4
	buffer_store_dword v4, off, s[36:39], 0 offset:16 ; 4-byte Folded Spill
	buffer_load_dword v4, off, s[36:39], 0 offset:20 ; 4-byte Folded Reload
	s_waitcnt vmcnt(0)
	v_addc_co_u32_e32 v4, vcc, v4, v3, vcc
	buffer_store_dword v4, off, s[36:39], 0 offset:20 ; 4-byte Folded Spill
	buffer_load_dword v4, off, s[36:39], 0 offset:24 ; 4-byte Folded Reload
	s_waitcnt vmcnt(0)
	v_add_co_u32_e32 v4, vcc, s8, v4
	buffer_store_dword v4, off, s[36:39], 0 offset:24 ; 4-byte Folded Spill
	buffer_load_dword v4, off, s[36:39], 0 offset:28 ; 4-byte Folded Reload
	s_waitcnt vmcnt(0)
	v_addc_co_u32_e32 v4, vcc, v4, v3, vcc
	buffer_store_dword v4, off, s[36:39], 0 offset:28 ; 4-byte Folded Spill
	buffer_load_dword v4, off, s[36:39], 0 offset:32 ; 4-byte Folded Reload
	;; [unrolled: 8-line block ×9, first 2 shown]
	s_waitcnt vmcnt(0)
	v_add_co_u32_e32 v4, vcc, s8, v4
	v_addc_co_u32_e32 v58, vcc, v58, v3, vcc
	v_add_co_u32_e32 v59, vcc, s8, v59
	v_addc_co_u32_e32 v60, vcc, v60, v3, vcc
	v_add_co_u32_e32 v61, vcc, s8, v61
	v_addc_co_u32_e32 v62, vcc, v62, v3, vcc
	v_add_co_u32_e32 v63, vcc, s8, v63
	v_addc_co_u32_e32 v50, vcc, v50, v3, vcc
	v_add_co_u32_e32 v51, vcc, s8, v51
	buffer_store_dword v4, off, s[36:39], 0 offset:88 ; 4-byte Folded Spill
	v_addc_co_u32_e32 v1, vcc, v1, v3, vcc
	v_mov_b32_e32 v3, s12
	v_mov_b32_e32 v4, s13
	v_cmp_ge_i64_e32 vcc, s[20:21], v[3:4]
	s_cbranch_vccnz .LBB172_83
; %bb.82:                               ;   in Loop: Header=BB172_53 Depth=1
	v_mov_b32_e32 v52, v49
	s_branch .LBB172_53
.LBB172_83:
	buffer_load_dword v60, off, s[36:39], 0 offset:92 ; 4-byte Folded Reload
	buffer_load_dword v1, off, s[36:39], 0 offset:96 ; 4-byte Folded Reload
.LBB172_84:
	s_movk_i32 s0, 0x41
	s_waitcnt vmcnt(0)
	v_mad_u32_u24 v0, v1, s0, v60
	v_lshl_add_u32 v0, v0, 2, 0
	v_mov_b32_e32 v2, 0
	ds_write_b32 v0, v49
	ds_write_b32 v0, v2 offset:4160
	v_lshrrev_b32_e32 v0, 6, v60
	v_add_u32_e32 v2, v0, v1
	v_cmp_gt_u32_e32 vcc, 64, v2
	s_waitcnt lgkmcnt(0)
	s_barrier
	s_and_saveexec_b64 s[0:1], vcc
	s_cbranch_execz .LBB172_104
; %bb.85:
	s_load_dwordx2 s[4:5], s[4:5], 0x30
	v_and_b32_e32 v0, 63, v60
	v_cmp_gt_u32_e32 vcc, 16, v0
	v_mul_u32_u24_e32 v3, 0x41, v0
                                        ; implicit-def: $vgpr0
	s_and_saveexec_b64 s[0:1], vcc
; %bb.86:
	v_lshlrev_b32_e32 v0, 2, v2
	v_lshlrev_b32_e32 v1, 2, v3
	v_add3_u32 v0, 0, v0, v1
	ds_read_b32 v0, v0
; %bb.87:
	s_or_b64 exec, exec, s[0:1]
	v_mbcnt_lo_u32_b32 v1, -1, 0
	v_mbcnt_hi_u32_b32 v1, -1, v1
	v_and_b32_e32 v4, 64, v1
	v_add_u32_e32 v7, 64, v4
	v_xor_b32_e32 v4, 8, v1
	v_cmp_lt_i32_e64 s[0:1], v4, v7
	v_cndmask_b32_e64 v4, v1, v4, s[0:1]
	v_lshlrev_b32_e32 v4, 2, v4
	s_waitcnt lgkmcnt(0)
	ds_bpermute_b32 v5, v4, v0
	v_xor_b32_e32 v6, 4, v1
	v_cmp_lt_i32_e64 s[0:1], v6, v7
	v_xor_b32_e32 v8, 2, v1
	s_mov_b32 s7, 0
	s_waitcnt lgkmcnt(0)
	v_add_f32_e32 v0, v0, v5
	v_cndmask_b32_e64 v5, v1, v6, s[0:1]
	v_lshlrev_b32_e32 v5, 2, v5
	ds_bpermute_b32 v6, v5, v0
	v_cmp_lt_i32_e64 s[0:1], v8, v7
	s_lshl_b64 s[6:7], s[6:7], 6
	s_cmp_eq_u64 s[4:5], 0
	s_cselect_b64 s[8:9], -1, 0
	s_waitcnt lgkmcnt(0)
	v_add_f32_e32 v0, v0, v6
	v_cndmask_b32_e64 v6, v1, v8, s[0:1]
	v_lshlrev_b32_e32 v6, 2, v6
	ds_bpermute_b32 v8, v6, v0
	v_cmp_ne_u32_e64 s[0:1], 0, v60
	s_waitcnt lgkmcnt(0)
	v_add_f32_e32 v8, v0, v8
	v_xor_b32_e32 v0, 1, v1
	v_cmp_lt_i32_e64 s[2:3], v0, v7
	v_cndmask_b32_e64 v0, v1, v0, s[2:3]
	v_lshlrev_b32_e32 v7, 2, v0
	ds_bpermute_b32 v9, v7, v8
	v_or_b32_e32 v0, s6, v2
	v_mov_b32_e32 v1, s7
	v_cmp_le_i64_e64 s[2:3], s[14:15], v[0:1]
	s_or_b64 s[2:3], s[0:1], s[2:3]
	s_waitcnt lgkmcnt(0)
	v_add_f32_e32 v8, v8, v9
	s_nor_b64 s[2:3], s[8:9], s[2:3]
	s_and_saveexec_b64 s[10:11], s[2:3]
	s_cbranch_execz .LBB172_89
; %bb.88:
	v_lshlrev_b64 v[0:1], 1, v[0:1]
	v_cvt_f16_f32_e32 v10, v8
	v_mov_b32_e32 v9, s5
	v_add_co_u32_e64 v0, s[2:3], s4, v0
	v_addc_co_u32_e64 v1, s[2:3], v9, v1, s[2:3]
	global_store_short v[0:1], v10, off
.LBB172_89:
	s_or_b64 exec, exec, s[10:11]
	v_cmp_gt_u32_e64 s[2:3], 48, v2
	s_and_b64 exec, exec, s[2:3]
	s_cbranch_execz .LBB172_104
; %bb.90:
	s_and_saveexec_b64 s[2:3], vcc
; %bb.91:
	v_lshlrev_b32_e32 v0, 2, v2
	v_lshlrev_b32_e32 v1, 2, v3
	v_add3_u32 v0, 0, v0, v1
	ds_read_b32 v8, v0 offset:64
; %bb.92:
	s_or_b64 exec, exec, s[2:3]
	s_waitcnt lgkmcnt(0)
	ds_bpermute_b32 v0, v4, v8
	v_mov_b32_e32 v9, s7
	s_waitcnt lgkmcnt(0)
	v_add_f32_e32 v0, v8, v0
	ds_bpermute_b32 v1, v5, v0
	v_add_u32_e32 v8, 16, v2
	s_waitcnt lgkmcnt(0)
	v_add_f32_e32 v0, v0, v1
	ds_bpermute_b32 v1, v6, v0
	s_waitcnt lgkmcnt(0)
	v_add_f32_e32 v10, v0, v1
	ds_bpermute_b32 v11, v7, v10
	v_add_co_u32_e64 v0, s[2:3], s6, v8
	v_addc_co_u32_e64 v1, s[2:3], 0, v9, s[2:3]
	v_cmp_le_i64_e64 s[2:3], s[14:15], v[0:1]
	s_waitcnt lgkmcnt(0)
	v_add_f32_e32 v0, v10, v11
	s_or_b64 s[2:3], s[0:1], s[2:3]
	s_nor_b64 s[2:3], s[8:9], s[2:3]
	s_and_saveexec_b64 s[10:11], s[2:3]
	s_cbranch_execz .LBB172_94
; %bb.93:
	v_mov_b32_e32 v1, s7
	v_add_co_u32_e64 v8, s[2:3], s6, v2
	v_addc_co_u32_e64 v9, s[2:3], 0, v1, s[2:3]
	v_lshlrev_b64 v[8:9], 1, v[8:9]
	v_cvt_f16_f32_e32 v10, v0
	v_mov_b32_e32 v1, s5
	v_add_co_u32_e64 v8, s[2:3], s4, v8
	v_addc_co_u32_e64 v9, s[2:3], v1, v9, s[2:3]
	global_store_short v[8:9], v10, off offset:32
.LBB172_94:
	s_or_b64 exec, exec, s[10:11]
	v_cmp_gt_u32_e64 s[2:3], 32, v2
	s_and_b64 exec, exec, s[2:3]
	s_cbranch_execz .LBB172_104
; %bb.95:
	s_and_saveexec_b64 s[2:3], vcc
; %bb.96:
	v_lshlrev_b32_e32 v0, 2, v2
	v_lshlrev_b32_e32 v1, 2, v3
	v_add3_u32 v0, 0, v0, v1
	ds_read_b32 v0, v0 offset:128
; %bb.97:
	s_or_b64 exec, exec, s[2:3]
	s_waitcnt lgkmcnt(0)
	ds_bpermute_b32 v1, v4, v0
	v_add_u32_e32 v9, 32, v2
	s_waitcnt lgkmcnt(0)
	v_add_f32_e32 v0, v0, v1
	ds_bpermute_b32 v1, v5, v0
	s_waitcnt lgkmcnt(0)
	v_add_f32_e32 v0, v0, v1
	ds_bpermute_b32 v8, v6, v0
	v_mov_b32_e32 v1, s7
	s_waitcnt lgkmcnt(0)
	v_add_f32_e32 v8, v0, v8
	ds_bpermute_b32 v10, v7, v8
	v_or_b32_e32 v0, s6, v9
	v_cmp_le_i64_e64 s[2:3], s[14:15], v[0:1]
	s_or_b64 s[2:3], s[0:1], s[2:3]
	s_waitcnt lgkmcnt(0)
	v_add_f32_e32 v0, v8, v10
	s_nor_b64 s[2:3], s[8:9], s[2:3]
	s_and_saveexec_b64 s[10:11], s[2:3]
	s_cbranch_execz .LBB172_99
; %bb.98:
	v_mov_b32_e32 v1, s7
	v_add_co_u32_e64 v8, s[2:3], s6, v2
	v_addc_co_u32_e64 v9, s[2:3], 0, v1, s[2:3]
	v_lshlrev_b64 v[8:9], 1, v[8:9]
	v_cvt_f16_f32_e32 v10, v0
	v_mov_b32_e32 v1, s5
	v_add_co_u32_e64 v8, s[2:3], s4, v8
	v_addc_co_u32_e64 v9, s[2:3], v1, v9, s[2:3]
	global_store_short v[8:9], v10, off offset:64
.LBB172_99:
	s_or_b64 exec, exec, s[10:11]
	v_cmp_gt_u32_e64 s[2:3], 16, v2
	s_and_b64 exec, exec, s[2:3]
	s_cbranch_execz .LBB172_104
; %bb.100:
	s_and_saveexec_b64 s[2:3], vcc
; %bb.101:
	v_lshlrev_b32_e32 v0, 2, v2
	v_lshlrev_b32_e32 v1, 2, v3
	v_add3_u32 v0, 0, v0, v1
	ds_read_b32 v0, v0 offset:192
; %bb.102:
	s_or_b64 exec, exec, s[2:3]
	s_waitcnt lgkmcnt(0)
	ds_bpermute_b32 v1, v4, v0
	v_add_u32_e32 v3, 48, v2
	v_or_b32_e32 v3, s6, v3
	v_mov_b32_e32 v4, s7
	v_cmp_le_i64_e32 vcc, s[14:15], v[3:4]
	s_waitcnt lgkmcnt(0)
	v_add_f32_e32 v0, v0, v1
	ds_bpermute_b32 v1, v5, v0
	s_or_b64 s[0:1], s[0:1], vcc
	s_nor_b64 s[0:1], s[8:9], s[0:1]
	s_waitcnt lgkmcnt(0)
	v_add_f32_e32 v0, v0, v1
	ds_bpermute_b32 v1, v6, v0
	s_waitcnt lgkmcnt(0)
	v_add_f32_e32 v0, v0, v1
	ds_bpermute_b32 v1, v7, v0
	s_and_saveexec_b64 s[2:3], s[0:1]
	s_xor_b64 s[2:3], exec, s[2:3]
	s_cbranch_execz .LBB172_104
; %bb.103:
	s_waitcnt lgkmcnt(0)
	v_add_f32_e32 v3, v0, v1
	v_mov_b32_e32 v1, s7
	v_add_co_u32_e32 v0, vcc, s6, v2
	v_addc_co_u32_e32 v1, vcc, 0, v1, vcc
	v_lshlrev_b64 v[0:1], 1, v[0:1]
	v_cvt_f16_f32_e32 v3, v3
	v_mov_b32_e32 v2, s5
	v_add_co_u32_e32 v0, vcc, s4, v0
	v_addc_co_u32_e32 v1, vcc, v2, v1, vcc
	global_store_short v[0:1], v3, off offset:96
.LBB172_104:
	s_endpgm
	.section	.rodata,"a",@progbits
	.p2align	6, 0x0
	.amdhsa_kernel _ZN2at6native12_GLOBAL__N_135GammaBetaBackwardCUDAKernelTemplateIN3c104HalfEfLj64ELj16ELj128ELb0ELb0ELb1EEEvllPKT_S7_PKT0_SA_PS5_SB_
		.amdhsa_group_segment_fixed_size 0
		.amdhsa_private_segment_fixed_size 108
		.amdhsa_kernarg_size 320
		.amdhsa_user_sgpr_count 6
		.amdhsa_user_sgpr_private_segment_buffer 1
		.amdhsa_user_sgpr_dispatch_ptr 0
		.amdhsa_user_sgpr_queue_ptr 0
		.amdhsa_user_sgpr_kernarg_segment_ptr 1
		.amdhsa_user_sgpr_dispatch_id 0
		.amdhsa_user_sgpr_flat_scratch_init 0
		.amdhsa_user_sgpr_private_segment_size 0
		.amdhsa_uses_dynamic_stack 0
		.amdhsa_system_sgpr_private_segment_wavefront_offset 1
		.amdhsa_system_sgpr_workgroup_id_x 1
		.amdhsa_system_sgpr_workgroup_id_y 1
		.amdhsa_system_sgpr_workgroup_id_z 0
		.amdhsa_system_sgpr_workgroup_info 0
		.amdhsa_system_vgpr_workitem_id 1
		.amdhsa_next_free_vgpr 64
		.amdhsa_next_free_sgpr 40
		.amdhsa_reserve_vcc 1
		.amdhsa_reserve_flat_scratch 0
		.amdhsa_float_round_mode_32 0
		.amdhsa_float_round_mode_16_64 0
		.amdhsa_float_denorm_mode_32 3
		.amdhsa_float_denorm_mode_16_64 3
		.amdhsa_dx10_clamp 1
		.amdhsa_ieee_mode 1
		.amdhsa_fp16_overflow 0
		.amdhsa_exception_fp_ieee_invalid_op 0
		.amdhsa_exception_fp_denorm_src 0
		.amdhsa_exception_fp_ieee_div_zero 0
		.amdhsa_exception_fp_ieee_overflow 0
		.amdhsa_exception_fp_ieee_underflow 0
		.amdhsa_exception_fp_ieee_inexact 0
		.amdhsa_exception_int_div_zero 0
	.end_amdhsa_kernel
	.section	.text._ZN2at6native12_GLOBAL__N_135GammaBetaBackwardCUDAKernelTemplateIN3c104HalfEfLj64ELj16ELj128ELb0ELb0ELb1EEEvllPKT_S7_PKT0_SA_PS5_SB_,"axG",@progbits,_ZN2at6native12_GLOBAL__N_135GammaBetaBackwardCUDAKernelTemplateIN3c104HalfEfLj64ELj16ELj128ELb0ELb0ELb1EEEvllPKT_S7_PKT0_SA_PS5_SB_,comdat
.Lfunc_end172:
	.size	_ZN2at6native12_GLOBAL__N_135GammaBetaBackwardCUDAKernelTemplateIN3c104HalfEfLj64ELj16ELj128ELb0ELb0ELb1EEEvllPKT_S7_PKT0_SA_PS5_SB_, .Lfunc_end172-_ZN2at6native12_GLOBAL__N_135GammaBetaBackwardCUDAKernelTemplateIN3c104HalfEfLj64ELj16ELj128ELb0ELb0ELb1EEEvllPKT_S7_PKT0_SA_PS5_SB_
                                        ; -- End function
	.set _ZN2at6native12_GLOBAL__N_135GammaBetaBackwardCUDAKernelTemplateIN3c104HalfEfLj64ELj16ELj128ELb0ELb0ELb1EEEvllPKT_S7_PKT0_SA_PS5_SB_.num_vgpr, 64
	.set _ZN2at6native12_GLOBAL__N_135GammaBetaBackwardCUDAKernelTemplateIN3c104HalfEfLj64ELj16ELj128ELb0ELb0ELb1EEEvllPKT_S7_PKT0_SA_PS5_SB_.num_agpr, 0
	.set _ZN2at6native12_GLOBAL__N_135GammaBetaBackwardCUDAKernelTemplateIN3c104HalfEfLj64ELj16ELj128ELb0ELb0ELb1EEEvllPKT_S7_PKT0_SA_PS5_SB_.numbered_sgpr, 40
	.set _ZN2at6native12_GLOBAL__N_135GammaBetaBackwardCUDAKernelTemplateIN3c104HalfEfLj64ELj16ELj128ELb0ELb0ELb1EEEvllPKT_S7_PKT0_SA_PS5_SB_.num_named_barrier, 0
	.set _ZN2at6native12_GLOBAL__N_135GammaBetaBackwardCUDAKernelTemplateIN3c104HalfEfLj64ELj16ELj128ELb0ELb0ELb1EEEvllPKT_S7_PKT0_SA_PS5_SB_.private_seg_size, 108
	.set _ZN2at6native12_GLOBAL__N_135GammaBetaBackwardCUDAKernelTemplateIN3c104HalfEfLj64ELj16ELj128ELb0ELb0ELb1EEEvllPKT_S7_PKT0_SA_PS5_SB_.uses_vcc, 1
	.set _ZN2at6native12_GLOBAL__N_135GammaBetaBackwardCUDAKernelTemplateIN3c104HalfEfLj64ELj16ELj128ELb0ELb0ELb1EEEvllPKT_S7_PKT0_SA_PS5_SB_.uses_flat_scratch, 0
	.set _ZN2at6native12_GLOBAL__N_135GammaBetaBackwardCUDAKernelTemplateIN3c104HalfEfLj64ELj16ELj128ELb0ELb0ELb1EEEvllPKT_S7_PKT0_SA_PS5_SB_.has_dyn_sized_stack, 0
	.set _ZN2at6native12_GLOBAL__N_135GammaBetaBackwardCUDAKernelTemplateIN3c104HalfEfLj64ELj16ELj128ELb0ELb0ELb1EEEvllPKT_S7_PKT0_SA_PS5_SB_.has_recursion, 0
	.set _ZN2at6native12_GLOBAL__N_135GammaBetaBackwardCUDAKernelTemplateIN3c104HalfEfLj64ELj16ELj128ELb0ELb0ELb1EEEvllPKT_S7_PKT0_SA_PS5_SB_.has_indirect_call, 0
	.section	.AMDGPU.csdata,"",@progbits
; Kernel info:
; codeLenInByte = 8364
; TotalNumSgprs: 44
; NumVgprs: 64
; ScratchSize: 108
; MemoryBound: 0
; FloatMode: 240
; IeeeMode: 1
; LDSByteSize: 0 bytes/workgroup (compile time only)
; SGPRBlocks: 5
; VGPRBlocks: 15
; NumSGPRsForWavesPerEU: 44
; NumVGPRsForWavesPerEU: 64
; Occupancy: 4
; WaveLimiterHint : 0
; COMPUTE_PGM_RSRC2:SCRATCH_EN: 1
; COMPUTE_PGM_RSRC2:USER_SGPR: 6
; COMPUTE_PGM_RSRC2:TRAP_HANDLER: 0
; COMPUTE_PGM_RSRC2:TGID_X_EN: 1
; COMPUTE_PGM_RSRC2:TGID_Y_EN: 1
; COMPUTE_PGM_RSRC2:TGID_Z_EN: 0
; COMPUTE_PGM_RSRC2:TIDIG_COMP_CNT: 1
	.section	.text._ZN2at6native12_GLOBAL__N_135GammaBetaBackwardCUDAKernelTemplateIN3c104HalfEfLj64ELj16ELj256ELb0ELb1ELb1EEEvllPKT_S7_PKT0_SA_PS5_SB_,"axG",@progbits,_ZN2at6native12_GLOBAL__N_135GammaBetaBackwardCUDAKernelTemplateIN3c104HalfEfLj64ELj16ELj256ELb0ELb1ELb1EEEvllPKT_S7_PKT0_SA_PS5_SB_,comdat
	.globl	_ZN2at6native12_GLOBAL__N_135GammaBetaBackwardCUDAKernelTemplateIN3c104HalfEfLj64ELj16ELj256ELb0ELb1ELb1EEEvllPKT_S7_PKT0_SA_PS5_SB_ ; -- Begin function _ZN2at6native12_GLOBAL__N_135GammaBetaBackwardCUDAKernelTemplateIN3c104HalfEfLj64ELj16ELj256ELb0ELb1ELb1EEEvllPKT_S7_PKT0_SA_PS5_SB_
	.p2align	8
	.type	_ZN2at6native12_GLOBAL__N_135GammaBetaBackwardCUDAKernelTemplateIN3c104HalfEfLj64ELj16ELj256ELb0ELb1ELb1EEEvllPKT_S7_PKT0_SA_PS5_SB_,@function
_ZN2at6native12_GLOBAL__N_135GammaBetaBackwardCUDAKernelTemplateIN3c104HalfEfLj64ELj16ELj256ELb0ELb1ELb1EEEvllPKT_S7_PKT0_SA_PS5_SB_: ; @_ZN2at6native12_GLOBAL__N_135GammaBetaBackwardCUDAKernelTemplateIN3c104HalfEfLj64ELj16ELj256ELb0ELb1ELb1EEEvllPKT_S7_PKT0_SA_PS5_SB_
; %bb.0:
	s_load_dwordx4 s[8:11], s[4:5], 0x0
	s_lshl_b32 s18, s7, 8
	s_mov_b32 s19, 0
	v_mov_b32_e32 v2, s18
	v_mov_b32_e32 v3, s19
	s_waitcnt lgkmcnt(0)
	v_cmp_gt_i64_e32 vcc, s[8:9], v[2:3]
	s_cbranch_vccnz .LBB173_2
; %bb.1:
	s_mov_b64 s[0:1], 0
	s_branch .LBB173_3
.LBB173_2:
	s_mov_b64 s[0:1], -1
.LBB173_3:
	s_load_dwordx2 s[16:17], s[4:5], 0x30
	v_mov_b32_e32 v3, 0
	s_andn2_b64 vcc, exec, s[0:1]
	v_mbcnt_lo_u32_b32 v12, -1, 0
	s_cbranch_vccnz .LBB173_10
; %bb.4:
	s_load_dword s0, s[4:5], 0x4c
	s_load_dword s7, s[4:5], 0x44
	s_load_dwordx4 s[12:15], s[4:5], 0x10
	s_load_dwordx2 s[2:3], s[4:5], 0x28
	v_lshlrev_b32_e32 v4, 4, v1
	s_waitcnt lgkmcnt(0)
	s_and_b32 s0, s0, 0xffff
	v_mad_u32_u24 v2, v1, s0, v0
	v_and_b32_e32 v5, 63, v2
	v_add_co_u32_e32 v8, vcc, s18, v4
	v_addc_co_u32_e64 v9, s[20:21], 0, 0, vcc
	v_add_co_u32_e32 v4, vcc, v8, v5
	v_cmp_gt_u32_e64 s[0:1], 16, v5
	v_mbcnt_hi_u32_b32 v6, -1, v12
	v_addc_co_u32_e32 v5, vcc, 0, v9, vcc
	v_mul_lo_u32 v11, s11, v8
	v_mul_lo_u32 v15, s10, v9
	v_mad_u64_u32 v[8:9], s[20:21], s10, v8, 0
	v_lshlrev_b32_e32 v6, 2, v6
	v_and_b32_e32 v13, 0x100, v6
	v_lshlrev_b64 v[6:7], 2, v[4:5]
	v_mov_b32_e32 v3, 0
	v_lshl_add_u32 v2, s6, 6, v0
	v_mov_b32_e32 v10, s3
	v_add_co_u32_e32 v6, vcc, s2, v6
	v_add3_u32 v9, v9, v15, v11
	v_addc_co_u32_e32 v7, vcc, v10, v7, vcc
	v_lshlrev_b64 v[8:9], 1, v[8:9]
	v_lshlrev_b64 v[10:11], 1, v[2:3]
	s_lshl_b32 s4, s7, 8
	s_mul_i32 s2, s11, s4
	s_mul_hi_u32 s3, s10, s4
	s_mov_b32 s5, 0
	v_add_co_u32_e32 v2, vcc, v8, v10
	s_add_i32 s3, s3, s2
	s_mul_i32 s2, s10, s4
	v_or_b32_e32 v14, 20, v13
	v_addc_co_u32_e32 v15, vcc, v9, v11, vcc
	v_or_b32_e32 v16, 24, v13
	v_or_b32_e32 v17, 28, v13
	;; [unrolled: 1-line block ×3, first 2 shown]
	s_lshl_b64 s[20:21], s[4:5], 2
	s_lshl_b64 s[22:23], s[2:3], 1
	;; [unrolled: 1-line block ×3, first 2 shown]
	v_or_b32_e32 v19, 36, v13
	v_or_b32_e32 v20, 40, v13
	;; [unrolled: 1-line block ×7, first 2 shown]
	s_branch .LBB173_7
.LBB173_5:                              ;   in Loop: Header=BB173_7 Depth=1
	s_or_b64 exec, exec, s[24:25]
.LBB173_6:                              ;   in Loop: Header=BB173_7 Depth=1
	s_or_b64 exec, exec, s[2:3]
	v_mov_b32_e32 v8, s13
	v_add_co_u32_e32 v10, vcc, s12, v2
	v_addc_co_u32_e32 v11, vcc, v8, v15, vcc
	v_mov_b32_e32 v27, s11
	v_add_co_u32_e32 v8, vcc, s10, v10
	v_addc_co_u32_e32 v9, vcc, v11, v27, vcc
	global_load_ushort v30, v[10:11], off
	v_mov_b32_e32 v10, s15
	v_add_co_u32_e32 v28, vcc, s14, v2
	v_addc_co_u32_e32 v29, vcc, v10, v15, vcc
	v_add_co_u32_e32 v10, vcc, s10, v28
	v_addc_co_u32_e32 v11, vcc, v29, v27, vcc
	global_load_ushort v29, v[28:29], off
	s_add_u32 s18, s18, s4
	s_addc_u32 s19, s19, 0
	v_add_co_u32_e64 v6, s[2:3], s20, v6
	s_waitcnt vmcnt(1)
	v_cvt_f32_f16_e32 v28, v30
	global_load_ushort v30, v[8:9], off
	s_waitcnt vmcnt(1)
	v_cvt_f32_f16_e32 v29, v29
	v_mul_f32_e32 v28, v28, v29
	ds_bpermute_b32 v29, v13, v26
	s_waitcnt lgkmcnt(0)
	v_fmac_f32_e32 v3, v28, v29
	v_add_co_u32_e32 v28, vcc, s10, v8
	v_addc_co_u32_e32 v29, vcc, v9, v27, vcc
	v_add_co_u32_e32 v8, vcc, s10, v10
	global_load_ushort v10, v[10:11], off
	v_addc_co_u32_e32 v9, vcc, v11, v27, vcc
	s_waitcnt vmcnt(1)
	v_cvt_f32_f16_e32 v11, v30
	global_load_ushort v30, v[28:29], off
	s_waitcnt vmcnt(1)
	v_cvt_f32_f16_e32 v10, v10
	v_mul_f32_e32 v10, v11, v10
	v_or_b32_e32 v11, 4, v13
	ds_bpermute_b32 v11, v11, v26
	s_waitcnt lgkmcnt(0)
	v_fmac_f32_e32 v3, v10, v11
	v_add_co_u32_e32 v10, vcc, s10, v28
	v_addc_co_u32_e32 v11, vcc, v29, v27, vcc
	v_add_co_u32_e32 v28, vcc, s10, v8
	global_load_ushort v8, v[8:9], off
	v_addc_co_u32_e32 v29, vcc, v9, v27, vcc
	s_waitcnt vmcnt(1)
	v_cvt_f32_f16_e32 v9, v30
	global_load_ushort v30, v[10:11], off
	s_waitcnt vmcnt(1)
	v_cvt_f32_f16_e32 v8, v8
	v_mul_f32_e32 v8, v9, v8
	v_or_b32_e32 v9, 8, v13
	;; [unrolled: 15-line block ×4, first 2 shown]
	ds_bpermute_b32 v11, v11, v26
	s_waitcnt lgkmcnt(0)
	v_fmac_f32_e32 v3, v10, v11
	v_add_co_u32_e32 v10, vcc, s10, v28
	v_addc_co_u32_e32 v11, vcc, v29, v27, vcc
	v_add_co_u32_e32 v28, vcc, s10, v8
	global_load_ushort v8, v[8:9], off
	v_addc_co_u32_e32 v29, vcc, v9, v27, vcc
	s_waitcnt vmcnt(1)
	v_cvt_f32_f16_e32 v9, v30
	global_load_ushort v30, v[10:11], off
	s_waitcnt vmcnt(1)
	v_cvt_f32_f16_e32 v8, v8
	v_mul_f32_e32 v8, v9, v8
	ds_bpermute_b32 v9, v14, v26
	s_waitcnt lgkmcnt(0)
	v_fmac_f32_e32 v3, v8, v9
	v_add_co_u32_e32 v8, vcc, s10, v10
	v_addc_co_u32_e32 v9, vcc, v11, v27, vcc
	v_add_co_u32_e32 v10, vcc, s10, v28
	global_load_ushort v28, v[28:29], off
	v_addc_co_u32_e32 v11, vcc, v29, v27, vcc
	s_waitcnt vmcnt(1)
	v_cvt_f32_f16_e32 v29, v30
	global_load_ushort v30, v[8:9], off
	s_waitcnt vmcnt(1)
	v_cvt_f32_f16_e32 v28, v28
	v_mul_f32_e32 v28, v29, v28
	;; [unrolled: 14-line block ×9, first 2 shown]
	ds_bpermute_b32 v11, v23, v26
	s_waitcnt lgkmcnt(0)
	v_fmac_f32_e32 v3, v10, v11
	v_add_co_u32_e32 v10, vcc, s10, v28
	v_addc_co_u32_e32 v11, vcc, v29, v27, vcc
	v_add_co_u32_e32 v28, vcc, s10, v8
	global_load_ushort v8, v[8:9], off
	v_addc_co_u32_e32 v29, vcc, v9, v27, vcc
	s_waitcnt vmcnt(1)
	v_cvt_f32_f16_e32 v9, v30
	s_waitcnt vmcnt(0)
	v_cvt_f32_f16_e32 v8, v8
	v_mul_f32_e32 v8, v9, v8
	ds_bpermute_b32 v9, v24, v26
	s_waitcnt lgkmcnt(0)
	v_fmac_f32_e32 v3, v8, v9
	global_load_ushort v8, v[10:11], off
	global_load_ushort v9, v[28:29], off
	s_waitcnt vmcnt(1)
	v_cvt_f32_f16_e32 v8, v8
	s_waitcnt vmcnt(0)
	v_cvt_f32_f16_e32 v9, v9
	v_mul_f32_e32 v8, v8, v9
	ds_bpermute_b32 v9, v25, v26
	s_waitcnt lgkmcnt(0)
	v_fmac_f32_e32 v3, v8, v9
	v_mov_b32_e32 v8, s8
	v_mov_b32_e32 v9, s9
	v_cmp_lt_i64_e32 vcc, s[18:19], v[8:9]
	v_mov_b32_e32 v8, s21
	v_addc_co_u32_e64 v7, s[2:3], v7, v8, s[2:3]
	v_add_co_u32_e64 v2, s[2:3], s22, v2
	v_mov_b32_e32 v8, s23
	v_addc_co_u32_e64 v15, s[2:3], v15, v8, s[2:3]
	v_add_co_u32_e64 v4, s[2:3], s4, v4
	v_addc_co_u32_e64 v5, s[2:3], 0, v5, s[2:3]
	s_cbranch_vccz .LBB173_10
.LBB173_7:                              ; =>This Inner Loop Header: Depth=1
	v_mov_b32_e32 v26, 0
	s_and_saveexec_b64 s[2:3], s[0:1]
	s_cbranch_execz .LBB173_6
; %bb.8:                                ;   in Loop: Header=BB173_7 Depth=1
	v_cmp_gt_i64_e32 vcc, s[8:9], v[4:5]
	v_mov_b32_e32 v26, 0
	s_and_saveexec_b64 s[24:25], vcc
	s_cbranch_execz .LBB173_5
; %bb.9:                                ;   in Loop: Header=BB173_7 Depth=1
	global_load_dword v26, v[6:7], off
	s_branch .LBB173_5
.LBB173_10:
	s_movk_i32 s0, 0x41
	v_mad_u32_u24 v2, v1, s0, v0
	v_lshl_add_u32 v2, v2, 2, 0
	ds_write_b32 v2, v3
	v_mov_b32_e32 v3, 0
	ds_write_b32 v2, v3 offset:4160
	v_lshrrev_b32_e32 v2, 6, v0
	v_add_u32_e32 v1, v2, v1
	v_cmp_gt_u32_e32 vcc, 64, v1
	s_waitcnt lgkmcnt(0)
	s_barrier
	s_and_saveexec_b64 s[0:1], vcc
	s_cbranch_execz .LBB173_30
; %bb.11:
	v_and_b32_e32 v2, 63, v0
	v_cmp_gt_u32_e32 vcc, 16, v2
	v_mul_u32_u24_e32 v3, 0x41, v2
                                        ; implicit-def: $vgpr2
	s_and_saveexec_b64 s[0:1], vcc
; %bb.12:
	v_lshlrev_b32_e32 v2, 2, v1
	v_lshlrev_b32_e32 v4, 2, v3
	v_add3_u32 v2, 0, v2, v4
	ds_read_b32 v2, v2
; %bb.13:
	s_or_b64 exec, exec, s[0:1]
	v_mbcnt_hi_u32_b32 v7, -1, v12
	v_and_b32_e32 v4, 64, v7
	v_add_u32_e32 v8, 64, v4
	v_xor_b32_e32 v4, 8, v7
	v_cmp_lt_i32_e64 s[0:1], v4, v8
	v_cndmask_b32_e64 v4, v7, v4, s[0:1]
	v_lshlrev_b32_e32 v4, 2, v4
	s_waitcnt lgkmcnt(0)
	ds_bpermute_b32 v5, v4, v2
	v_xor_b32_e32 v6, 4, v7
	v_cmp_lt_i32_e64 s[0:1], v6, v8
	v_xor_b32_e32 v9, 2, v7
	s_cmp_lg_u64 s[16:17], 0
	s_waitcnt lgkmcnt(0)
	v_add_f32_e32 v2, v2, v5
	v_cndmask_b32_e64 v5, v7, v6, s[0:1]
	v_lshlrev_b32_e32 v5, 2, v5
	ds_bpermute_b32 v6, v5, v2
	v_cmp_lt_i32_e64 s[0:1], v9, v8
	s_mov_b32 s7, 0
	s_cselect_b64 s[4:5], -1, 0
	s_waitcnt lgkmcnt(0)
	v_add_f32_e32 v2, v2, v6
	v_cndmask_b32_e64 v6, v7, v9, s[0:1]
	v_lshlrev_b32_e32 v6, 2, v6
	ds_bpermute_b32 v9, v6, v2
	v_cmp_eq_u32_e64 s[0:1], 0, v0
	v_xor_b32_e32 v0, 1, v7
	v_cmp_lt_i32_e64 s[2:3], v0, v8
	v_cndmask_b32_e64 v0, v7, v0, s[2:3]
	s_waitcnt lgkmcnt(0)
	v_add_f32_e32 v2, v2, v9
	v_lshlrev_b32_e32 v0, 2, v0
	ds_bpermute_b32 v7, v0, v2
	s_and_b64 s[2:3], s[0:1], s[4:5]
	s_lshl_b64 s[0:1], s[6:7], 7
	s_add_u32 s6, s16, s0
	s_addc_u32 s7, s17, s1
	s_waitcnt lgkmcnt(0)
	v_add_f32_e32 v7, v2, v7
	s_and_saveexec_b64 s[4:5], s[2:3]
	s_cbranch_execz .LBB173_15
; %bb.14:
	v_mov_b32_e32 v2, 0
	v_lshlrev_b64 v[8:9], 1, v[1:2]
	v_cvt_f16_f32_e32 v10, v7
	v_mov_b32_e32 v2, s7
	v_add_co_u32_e64 v8, s[0:1], s6, v8
	v_addc_co_u32_e64 v9, s[0:1], v2, v9, s[0:1]
	global_store_short v[8:9], v10, off
.LBB173_15:
	s_or_b64 exec, exec, s[4:5]
	v_cmp_gt_u32_e64 s[0:1], 48, v1
	s_and_b64 exec, exec, s[0:1]
	s_cbranch_execz .LBB173_30
; %bb.16:
	s_and_saveexec_b64 s[0:1], vcc
; %bb.17:
	v_lshlrev_b32_e32 v2, 2, v1
	v_lshlrev_b32_e32 v7, 2, v3
	v_add3_u32 v2, 0, v2, v7
	ds_read_b32 v7, v2 offset:64
; %bb.18:
	s_or_b64 exec, exec, s[0:1]
	s_waitcnt lgkmcnt(0)
	ds_bpermute_b32 v2, v4, v7
	s_waitcnt lgkmcnt(0)
	v_add_f32_e32 v2, v7, v2
	ds_bpermute_b32 v7, v5, v2
	s_waitcnt lgkmcnt(0)
	v_add_f32_e32 v2, v2, v7
	;; [unrolled: 3-line block ×4, first 2 shown]
	s_and_saveexec_b64 s[4:5], s[2:3]
	s_cbranch_execz .LBB173_20
; %bb.19:
	v_mov_b32_e32 v2, 0
	v_lshlrev_b64 v[8:9], 1, v[1:2]
	v_cvt_f16_f32_e32 v10, v7
	v_mov_b32_e32 v2, s7
	v_add_co_u32_e64 v8, s[0:1], s6, v8
	v_addc_co_u32_e64 v9, s[0:1], v2, v9, s[0:1]
	global_store_short v[8:9], v10, off offset:32
.LBB173_20:
	s_or_b64 exec, exec, s[4:5]
	v_cmp_gt_u32_e64 s[0:1], 32, v1
	s_and_b64 exec, exec, s[0:1]
	s_cbranch_execz .LBB173_30
; %bb.21:
	s_and_saveexec_b64 s[0:1], vcc
; %bb.22:
	v_lshlrev_b32_e32 v2, 2, v1
	v_lshlrev_b32_e32 v7, 2, v3
	v_add3_u32 v2, 0, v2, v7
	ds_read_b32 v7, v2 offset:128
; %bb.23:
	s_or_b64 exec, exec, s[0:1]
	s_waitcnt lgkmcnt(0)
	ds_bpermute_b32 v2, v4, v7
	s_waitcnt lgkmcnt(0)
	v_add_f32_e32 v2, v7, v2
	ds_bpermute_b32 v7, v5, v2
	s_waitcnt lgkmcnt(0)
	v_add_f32_e32 v2, v2, v7
	;; [unrolled: 3-line block ×4, first 2 shown]
	s_and_saveexec_b64 s[4:5], s[2:3]
	s_cbranch_execz .LBB173_25
; %bb.24:
	v_mov_b32_e32 v2, 0
	v_lshlrev_b64 v[8:9], 1, v[1:2]
	v_cvt_f16_f32_e32 v10, v7
	v_mov_b32_e32 v2, s7
	v_add_co_u32_e64 v8, s[0:1], s6, v8
	v_addc_co_u32_e64 v9, s[0:1], v2, v9, s[0:1]
	global_store_short v[8:9], v10, off offset:64
.LBB173_25:
	s_or_b64 exec, exec, s[4:5]
	v_cmp_gt_u32_e64 s[0:1], 16, v1
	s_and_b64 exec, exec, s[0:1]
	s_cbranch_execz .LBB173_30
; %bb.26:
	s_and_saveexec_b64 s[0:1], vcc
; %bb.27:
	v_lshlrev_b32_e32 v2, 2, v1
	v_lshlrev_b32_e32 v3, 2, v3
	v_add3_u32 v2, 0, v2, v3
	ds_read_b32 v7, v2 offset:192
; %bb.28:
	s_or_b64 exec, exec, s[0:1]
	s_waitcnt lgkmcnt(0)
	ds_bpermute_b32 v2, v4, v7
	s_waitcnt lgkmcnt(0)
	v_add_f32_e32 v2, v7, v2
	ds_bpermute_b32 v3, v5, v2
	s_waitcnt lgkmcnt(0)
	v_add_f32_e32 v2, v2, v3
	;; [unrolled: 3-line block ×3, first 2 shown]
	ds_bpermute_b32 v0, v0, v2
	s_and_saveexec_b64 s[0:1], s[2:3]
	s_xor_b64 s[0:1], exec, s[0:1]
	s_cbranch_execz .LBB173_30
; %bb.29:
	s_waitcnt lgkmcnt(0)
	v_add_f32_e32 v3, v2, v0
	v_mov_b32_e32 v2, 0
	v_lshlrev_b64 v[0:1], 1, v[1:2]
	v_cvt_f16_f32_e32 v3, v3
	v_mov_b32_e32 v2, s7
	v_add_co_u32_e32 v0, vcc, s6, v0
	v_addc_co_u32_e32 v1, vcc, v2, v1, vcc
	global_store_short v[0:1], v3, off offset:96
.LBB173_30:
	s_endpgm
	.section	.rodata,"a",@progbits
	.p2align	6, 0x0
	.amdhsa_kernel _ZN2at6native12_GLOBAL__N_135GammaBetaBackwardCUDAKernelTemplateIN3c104HalfEfLj64ELj16ELj256ELb0ELb1ELb1EEEvllPKT_S7_PKT0_SA_PS5_SB_
		.amdhsa_group_segment_fixed_size 0
		.amdhsa_private_segment_fixed_size 0
		.amdhsa_kernarg_size 320
		.amdhsa_user_sgpr_count 6
		.amdhsa_user_sgpr_private_segment_buffer 1
		.amdhsa_user_sgpr_dispatch_ptr 0
		.amdhsa_user_sgpr_queue_ptr 0
		.amdhsa_user_sgpr_kernarg_segment_ptr 1
		.amdhsa_user_sgpr_dispatch_id 0
		.amdhsa_user_sgpr_flat_scratch_init 0
		.amdhsa_user_sgpr_private_segment_size 0
		.amdhsa_uses_dynamic_stack 0
		.amdhsa_system_sgpr_private_segment_wavefront_offset 0
		.amdhsa_system_sgpr_workgroup_id_x 1
		.amdhsa_system_sgpr_workgroup_id_y 1
		.amdhsa_system_sgpr_workgroup_id_z 0
		.amdhsa_system_sgpr_workgroup_info 0
		.amdhsa_system_vgpr_workitem_id 1
		.amdhsa_next_free_vgpr 31
		.amdhsa_next_free_sgpr 26
		.amdhsa_reserve_vcc 1
		.amdhsa_reserve_flat_scratch 0
		.amdhsa_float_round_mode_32 0
		.amdhsa_float_round_mode_16_64 0
		.amdhsa_float_denorm_mode_32 3
		.amdhsa_float_denorm_mode_16_64 3
		.amdhsa_dx10_clamp 1
		.amdhsa_ieee_mode 1
		.amdhsa_fp16_overflow 0
		.amdhsa_exception_fp_ieee_invalid_op 0
		.amdhsa_exception_fp_denorm_src 0
		.amdhsa_exception_fp_ieee_div_zero 0
		.amdhsa_exception_fp_ieee_overflow 0
		.amdhsa_exception_fp_ieee_underflow 0
		.amdhsa_exception_fp_ieee_inexact 0
		.amdhsa_exception_int_div_zero 0
	.end_amdhsa_kernel
	.section	.text._ZN2at6native12_GLOBAL__N_135GammaBetaBackwardCUDAKernelTemplateIN3c104HalfEfLj64ELj16ELj256ELb0ELb1ELb1EEEvllPKT_S7_PKT0_SA_PS5_SB_,"axG",@progbits,_ZN2at6native12_GLOBAL__N_135GammaBetaBackwardCUDAKernelTemplateIN3c104HalfEfLj64ELj16ELj256ELb0ELb1ELb1EEEvllPKT_S7_PKT0_SA_PS5_SB_,comdat
.Lfunc_end173:
	.size	_ZN2at6native12_GLOBAL__N_135GammaBetaBackwardCUDAKernelTemplateIN3c104HalfEfLj64ELj16ELj256ELb0ELb1ELb1EEEvllPKT_S7_PKT0_SA_PS5_SB_, .Lfunc_end173-_ZN2at6native12_GLOBAL__N_135GammaBetaBackwardCUDAKernelTemplateIN3c104HalfEfLj64ELj16ELj256ELb0ELb1ELb1EEEvllPKT_S7_PKT0_SA_PS5_SB_
                                        ; -- End function
	.set _ZN2at6native12_GLOBAL__N_135GammaBetaBackwardCUDAKernelTemplateIN3c104HalfEfLj64ELj16ELj256ELb0ELb1ELb1EEEvllPKT_S7_PKT0_SA_PS5_SB_.num_vgpr, 31
	.set _ZN2at6native12_GLOBAL__N_135GammaBetaBackwardCUDAKernelTemplateIN3c104HalfEfLj64ELj16ELj256ELb0ELb1ELb1EEEvllPKT_S7_PKT0_SA_PS5_SB_.num_agpr, 0
	.set _ZN2at6native12_GLOBAL__N_135GammaBetaBackwardCUDAKernelTemplateIN3c104HalfEfLj64ELj16ELj256ELb0ELb1ELb1EEEvllPKT_S7_PKT0_SA_PS5_SB_.numbered_sgpr, 26
	.set _ZN2at6native12_GLOBAL__N_135GammaBetaBackwardCUDAKernelTemplateIN3c104HalfEfLj64ELj16ELj256ELb0ELb1ELb1EEEvllPKT_S7_PKT0_SA_PS5_SB_.num_named_barrier, 0
	.set _ZN2at6native12_GLOBAL__N_135GammaBetaBackwardCUDAKernelTemplateIN3c104HalfEfLj64ELj16ELj256ELb0ELb1ELb1EEEvllPKT_S7_PKT0_SA_PS5_SB_.private_seg_size, 0
	.set _ZN2at6native12_GLOBAL__N_135GammaBetaBackwardCUDAKernelTemplateIN3c104HalfEfLj64ELj16ELj256ELb0ELb1ELb1EEEvllPKT_S7_PKT0_SA_PS5_SB_.uses_vcc, 1
	.set _ZN2at6native12_GLOBAL__N_135GammaBetaBackwardCUDAKernelTemplateIN3c104HalfEfLj64ELj16ELj256ELb0ELb1ELb1EEEvllPKT_S7_PKT0_SA_PS5_SB_.uses_flat_scratch, 0
	.set _ZN2at6native12_GLOBAL__N_135GammaBetaBackwardCUDAKernelTemplateIN3c104HalfEfLj64ELj16ELj256ELb0ELb1ELb1EEEvllPKT_S7_PKT0_SA_PS5_SB_.has_dyn_sized_stack, 0
	.set _ZN2at6native12_GLOBAL__N_135GammaBetaBackwardCUDAKernelTemplateIN3c104HalfEfLj64ELj16ELj256ELb0ELb1ELb1EEEvllPKT_S7_PKT0_SA_PS5_SB_.has_recursion, 0
	.set _ZN2at6native12_GLOBAL__N_135GammaBetaBackwardCUDAKernelTemplateIN3c104HalfEfLj64ELj16ELj256ELb0ELb1ELb1EEEvllPKT_S7_PKT0_SA_PS5_SB_.has_indirect_call, 0
	.section	.AMDGPU.csdata,"",@progbits
; Kernel info:
; codeLenInByte = 2500
; TotalNumSgprs: 30
; NumVgprs: 31
; ScratchSize: 0
; MemoryBound: 0
; FloatMode: 240
; IeeeMode: 1
; LDSByteSize: 0 bytes/workgroup (compile time only)
; SGPRBlocks: 3
; VGPRBlocks: 7
; NumSGPRsForWavesPerEU: 30
; NumVGPRsForWavesPerEU: 31
; Occupancy: 8
; WaveLimiterHint : 0
; COMPUTE_PGM_RSRC2:SCRATCH_EN: 0
; COMPUTE_PGM_RSRC2:USER_SGPR: 6
; COMPUTE_PGM_RSRC2:TRAP_HANDLER: 0
; COMPUTE_PGM_RSRC2:TGID_X_EN: 1
; COMPUTE_PGM_RSRC2:TGID_Y_EN: 1
; COMPUTE_PGM_RSRC2:TGID_Z_EN: 0
; COMPUTE_PGM_RSRC2:TIDIG_COMP_CNT: 1
	.section	.text._ZN2at6native12_GLOBAL__N_135GammaBetaBackwardCUDAKernelTemplateIN3c104HalfEfLj64ELj16ELj256ELb0ELb0ELb1EEEvllPKT_S7_PKT0_SA_PS5_SB_,"axG",@progbits,_ZN2at6native12_GLOBAL__N_135GammaBetaBackwardCUDAKernelTemplateIN3c104HalfEfLj64ELj16ELj256ELb0ELb0ELb1EEEvllPKT_S7_PKT0_SA_PS5_SB_,comdat
	.globl	_ZN2at6native12_GLOBAL__N_135GammaBetaBackwardCUDAKernelTemplateIN3c104HalfEfLj64ELj16ELj256ELb0ELb0ELb1EEEvllPKT_S7_PKT0_SA_PS5_SB_ ; -- Begin function _ZN2at6native12_GLOBAL__N_135GammaBetaBackwardCUDAKernelTemplateIN3c104HalfEfLj64ELj16ELj256ELb0ELb0ELb1EEEvllPKT_S7_PKT0_SA_PS5_SB_
	.p2align	8
	.type	_ZN2at6native12_GLOBAL__N_135GammaBetaBackwardCUDAKernelTemplateIN3c104HalfEfLj64ELj16ELj256ELb0ELb0ELb1EEEvllPKT_S7_PKT0_SA_PS5_SB_,@function
_ZN2at6native12_GLOBAL__N_135GammaBetaBackwardCUDAKernelTemplateIN3c104HalfEfLj64ELj16ELj256ELb0ELb0ELb1EEEvllPKT_S7_PKT0_SA_PS5_SB_: ; @_ZN2at6native12_GLOBAL__N_135GammaBetaBackwardCUDAKernelTemplateIN3c104HalfEfLj64ELj16ELj256ELb0ELb0ELb1EEEvllPKT_S7_PKT0_SA_PS5_SB_
; %bb.0:
	s_mov_b64 s[38:39], s[2:3]
	s_mov_b64 s[36:37], s[0:1]
	s_add_u32 s36, s36, s8
	s_addc_u32 s37, s37, 0
	buffer_store_dword v1, off, s[36:39], 0 offset:208 ; 4-byte Folded Spill
	s_load_dwordx8 s[12:19], s[4:5], 0x0
	s_load_dwordx2 s[10:11], s[4:5], 0x28
	s_lshl_b32 s20, s7, 8
	v_mov_b32_e32 v42, v0
	s_lshl_b32 s33, s6, 6
	s_mov_b32 s21, 0
	v_mov_b32_e32 v0, s20
	s_or_b32 s0, s33, 63
	v_mov_b32_e32 v1, s21
	v_mov_b32_e32 v35, s0
	v_mov_b32_e32 v36, 0
	s_waitcnt lgkmcnt(0)
	v_cmp_gt_i64_e64 s[0:1], s[12:13], v[0:1]
	v_cmp_le_i64_e32 vcc, s[14:15], v[35:36]
	v_cndmask_b32_e64 v0, 0, 1, s[0:1]
	v_cmp_ne_u32_e64 s[0:1], 1, v0
	s_cbranch_vccz .LBB174_81
; %bb.1:
	s_and_b64 vcc, exec, s[0:1]
	s_cbranch_vccnz .LBB174_83
; %bb.2:
	buffer_load_dword v0, off, s[36:39], 0 offset:208 ; 4-byte Folded Reload
	v_mov_b32_e32 v6, s17
	v_mov_b32_e32 v8, s19
	s_load_dword s7, s[4:5], 0x44
	s_add_u32 s22, s4, 64
	s_addc_u32 s23, s5, 0
	buffer_store_dword v42, off, s[36:39], 0 offset:228 ; 4-byte Folded Spill
	s_mov_b64 s[28:29], s[20:21]
	s_waitcnt lgkmcnt(0)
	s_lshl_b32 s7, s7, 8
	s_mul_i32 s8, s15, s7
	s_mul_hi_u32 s9, s14, s7
	s_add_i32 s9, s9, s8
	s_mul_i32 s8, s14, s7
	s_lshl_b64 s[24:25], s[8:9], 1
	s_add_u32 s26, s20, 0xff
	s_addc_u32 s27, 0, 0
	s_waitcnt vmcnt(1)
	v_lshlrev_b32_e32 v59, 4, v0
	v_add_co_u32_e32 v2, vcc, s20, v59
	v_addc_co_u32_e64 v3, s[2:3], 0, 0, vcc
	v_mul_lo_u32 v4, s15, v2
	v_mul_lo_u32 v5, s14, v3
	v_mad_u64_u32 v[0:1], s[2:3], s14, v2, 0
	buffer_store_dword v59, off, s[36:39], 0 offset:232 ; 4-byte Folded Spill
	v_add3_u32 v1, v1, v5, v4
	v_lshlrev_b64 v[4:5], 1, v[0:1]
	v_add_co_u32_e32 v7, vcc, s16, v4
	v_addc_co_u32_e32 v6, vcc, v6, v5, vcc
	buffer_store_dword v6, off, s[36:39], 0 offset:4 ; 4-byte Folded Spill
	v_add_co_u32_e32 v6, vcc, 15, v2
	buffer_store_dword v7, off, s[36:39], 0 ; 4-byte Folded Spill
	v_addc_co_u32_e32 v7, vcc, 0, v3, vcc
	v_mul_lo_u32 v9, s15, v6
	v_mul_lo_u32 v10, s14, v7
	v_mad_u64_u32 v[6:7], s[2:3], s14, v6, 0
	v_add_co_u32_e32 v4, vcc, s18, v4
	buffer_store_dword v4, off, s[36:39], 0 offset:8 ; 4-byte Folded Spill
	v_addc_co_u32_e32 v4, vcc, v8, v5, vcc
	v_add3_u32 v7, v7, v10, v9
	buffer_store_dword v4, off, s[36:39], 0 offset:12 ; 4-byte Folded Spill
	v_lshlrev_b64 v[4:5], 1, v[6:7]
	v_mov_b32_e32 v6, s17
	v_add_co_u32_e32 v7, vcc, s16, v4
	v_addc_co_u32_e32 v6, vcc, v6, v5, vcc
	buffer_store_dword v6, off, s[36:39], 0 offset:24 ; 4-byte Folded Spill
	v_add_co_u32_e32 v6, vcc, 14, v2
	buffer_store_dword v7, off, s[36:39], 0 offset:16 ; 4-byte Folded Spill
	v_addc_co_u32_e32 v7, vcc, 0, v3, vcc
	v_mul_lo_u32 v9, s15, v6
	v_mul_lo_u32 v10, s14, v7
	v_mad_u64_u32 v[6:7], s[2:3], s14, v6, 0
	v_add_co_u32_e32 v4, vcc, s18, v4
	buffer_store_dword v4, off, s[36:39], 0 offset:32 ; 4-byte Folded Spill
	v_addc_co_u32_e32 v4, vcc, v8, v5, vcc
	v_add3_u32 v7, v7, v10, v9
	buffer_store_dword v4, off, s[36:39], 0 offset:40 ; 4-byte Folded Spill
	v_lshlrev_b64 v[4:5], 1, v[6:7]
	v_mov_b32_e32 v6, s17
	v_add_co_u32_e32 v7, vcc, s16, v4
	v_addc_co_u32_e32 v6, vcc, v6, v5, vcc
	buffer_store_dword v6, off, s[36:39], 0 offset:56 ; 4-byte Folded Spill
	v_add_co_u32_e32 v6, vcc, 13, v2
	buffer_store_dword v7, off, s[36:39], 0 offset:48 ; 4-byte Folded Spill
	;; [unrolled: 16-line block ×9, first 2 shown]
	v_addc_co_u32_e32 v7, vcc, 0, v3, vcc
	v_mul_lo_u32 v9, s15, v6
	v_mul_lo_u32 v10, s14, v7
	v_mad_u64_u32 v[6:7], s[2:3], s14, v6, 0
	v_add_co_u32_e32 v4, vcc, s18, v4
	buffer_store_dword v4, off, s[36:39], 0 offset:200 ; 4-byte Folded Spill
	v_addc_co_u32_e32 v4, vcc, v8, v5, vcc
	v_add3_u32 v7, v7, v10, v9
	buffer_store_dword v4, off, s[36:39], 0 offset:204 ; 4-byte Folded Spill
	v_lshlrev_b64 v[4:5], 1, v[6:7]
	v_mov_b32_e32 v6, s17
	v_add_co_u32_e32 v61, vcc, s16, v4
	v_addc_co_u32_e32 v62, vcc, v6, v5, vcc
	v_add_co_u32_e32 v6, vcc, 5, v2
	v_addc_co_u32_e32 v7, vcc, 0, v3, vcc
	v_mul_lo_u32 v9, s15, v6
	v_mul_lo_u32 v10, s14, v7
	v_mad_u64_u32 v[6:7], s[2:3], s14, v6, 0
	v_add_co_u32_e32 v63, vcc, s18, v4
	v_add3_u32 v7, v7, v10, v9
	v_addc_co_u32_e32 v19, vcc, v8, v5, vcc
	v_lshlrev_b64 v[4:5], 1, v[6:7]
	v_mov_b32_e32 v6, s17
	v_add_co_u32_e32 v20, vcc, s16, v4
	v_addc_co_u32_e32 v21, vcc, v6, v5, vcc
	v_mov_b32_e32 v6, s19
	v_add_co_u32_e32 v22, vcc, s18, v4
	v_addc_co_u32_e32 v23, vcc, v6, v5, vcc
	v_add_co_u32_e32 v4, vcc, 4, v2
	v_addc_co_u32_e32 v5, vcc, 0, v3, vcc
	v_mul_lo_u32 v6, s15, v4
	v_mul_lo_u32 v7, s14, v5
	v_mad_u64_u32 v[4:5], s[2:3], s14, v4, 0
	v_add_co_u32_e32 v0, vcc, s14, v0
	v_add3_u32 v5, v5, v7, v6
	v_lshlrev_b64 v[4:5], 1, v[4:5]
	v_mov_b32_e32 v6, s15
	v_addc_co_u32_e32 v1, vcc, v1, v6, vcc
	v_mov_b32_e32 v6, s17
	v_add_co_u32_e32 v24, vcc, s16, v4
	v_addc_co_u32_e32 v25, vcc, v6, v5, vcc
	v_mov_b32_e32 v6, s19
	v_add_co_u32_e32 v26, vcc, s18, v4
	v_addc_co_u32_e32 v27, vcc, v6, v5, vcc
	v_add_co_u32_e32 v4, vcc, 3, v2
	v_addc_co_u32_e32 v5, vcc, 0, v3, vcc
	v_mul_lo_u32 v6, s14, v5
	v_mul_lo_u32 v7, s15, v4
	v_mad_u64_u32 v[4:5], s[2:3], s14, v4, 0
	v_lshlrev_b64 v[0:1], 1, v[0:1]
	v_add3_u32 v5, v5, v6, v7
	v_lshlrev_b64 v[4:5], 1, v[4:5]
	v_mov_b32_e32 v6, s17
	v_add_co_u32_e32 v28, vcc, s16, v4
	v_addc_co_u32_e32 v29, vcc, v6, v5, vcc
	v_mov_b32_e32 v6, s19
	v_add_co_u32_e32 v30, vcc, s18, v4
	v_addc_co_u32_e32 v31, vcc, v6, v5, vcc
	v_add_co_u32_e32 v2, vcc, 2, v2
	v_addc_co_u32_e32 v3, vcc, 0, v3, vcc
	v_mul_lo_u32 v4, s14, v3
	v_mul_lo_u32 v5, s15, v2
	v_mad_u64_u32 v[2:3], s[2:3], s14, v2, 0
	v_add3_u32 v3, v3, v4, v5
	v_lshlrev_b64 v[2:3], 1, v[2:3]
	v_mov_b32_e32 v4, s17
	v_add_co_u32_e32 v32, vcc, s16, v2
	v_addc_co_u32_e32 v33, vcc, v4, v3, vcc
	v_mov_b32_e32 v4, s19
	v_add_co_u32_e32 v34, vcc, s18, v2
	v_addc_co_u32_e32 v35, vcc, v4, v3, vcc
	;; [unrolled: 3-line block ×4, first 2 shown]
	v_mov_b32_e32 v2, 0
	v_mbcnt_lo_u32_b32 v3, -1, 0
	v_add_u32_e32 v0, s33, v42
	v_mov_b32_e32 v1, v2
	v_mbcnt_hi_u32_b32 v3, -1, v3
	v_cmp_gt_i64_e64 s[2:3], s[14:15], v[0:1]
	v_lshlrev_b64 v[0:1], 1, v[0:1]
	v_lshlrev_b32_e32 v3, 2, v3
	v_and_b32_e32 v41, 0x100, v3
	v_mov_b32_e32 v42, 0
.LBB174_3:                              ; =>This Inner Loop Header: Depth=1
	v_mov_b32_e32 v3, s12
	v_mov_b32_e32 v4, s13
	v_cmp_ge_i64_e32 vcc, s[26:27], v[3:4]
	v_mov_b32_e32 v3, s27
	v_add_co_u32_e64 v43, s[8:9], s26, v59
	v_addc_co_u32_e64 v44, s[8:9], 0, v3, s[8:9]
	s_mov_b64 s[8:9], -1
	s_and_b64 vcc, exec, vcc
                                        ; implicit-def: $vgpr3_vgpr4_vgpr5_vgpr6_vgpr7_vgpr8_vgpr9_vgpr10_vgpr11_vgpr12_vgpr13_vgpr14_vgpr15_vgpr16_vgpr17_vgpr18
                                        ; implicit-def: $vgpr36
                                        ; implicit-def: $vgpr46
                                        ; implicit-def: $vgpr3
	s_cbranch_vccz .LBB174_41
; %bb.4:                                ;   in Loop: Header=BB174_3 Depth=1
	s_load_dword s8, s[22:23], 0xc
	buffer_load_dword v3, off, s[36:39], 0 offset:228 ; 4-byte Folded Reload
	buffer_load_dword v4, off, s[36:39], 0 offset:208 ; 4-byte Folded Reload
	v_mov_b32_e32 v36, 0
	v_mov_b32_e32 v45, 0
	s_waitcnt lgkmcnt(0)
	s_and_b32 s8, s8, 0xffff
	s_waitcnt vmcnt(0)
	v_mad_u32_u24 v3, v4, s8, v3
	v_and_b32_e32 v3, 63, v3
	v_cmp_gt_u32_e32 vcc, 16, v3
	s_and_saveexec_b64 s[8:9], vcc
	s_cbranch_execz .LBB174_8
; %bb.5:                                ;   in Loop: Header=BB174_3 Depth=1
	v_add_co_u32_e32 v3, vcc, v43, v3
	v_addc_co_u32_e32 v4, vcc, 0, v44, vcc
	v_add_co_u32_e32 v3, vcc, 0xffffff01, v3
	v_addc_co_u32_e32 v4, vcc, -1, v4, vcc
	v_cmp_gt_i64_e32 vcc, s[12:13], v[3:4]
	v_mov_b32_e32 v45, 0
	s_and_saveexec_b64 s[30:31], vcc
	s_cbranch_execz .LBB174_7
; %bb.6:                                ;   in Loop: Header=BB174_3 Depth=1
	v_lshlrev_b64 v[3:4], 2, v[3:4]
	v_mov_b32_e32 v5, s11
	v_add_co_u32_e32 v3, vcc, s10, v3
	v_addc_co_u32_e32 v4, vcc, v5, v4, vcc
	global_load_dword v45, v[3:4], off
.LBB174_7:                              ;   in Loop: Header=BB174_3 Depth=1
	s_or_b64 exec, exec, s[30:31]
.LBB174_8:                              ;   in Loop: Header=BB174_3 Depth=1
	s_or_b64 exec, exec, s[8:9]
	v_add_co_u32_e32 v3, vcc, 0xffffff01, v43
	v_addc_co_u32_e32 v4, vcc, -1, v44, vcc
	v_cmp_gt_i64_e32 vcc, s[12:13], v[3:4]
	v_mov_b32_e32 v3, v2
	v_mov_b32_e32 v4, v2
	;; [unrolled: 1-line block ×31, first 2 shown]
	s_and_b64 s[30:31], s[2:3], vcc
	s_and_saveexec_b64 s[8:9], s[30:31]
	s_cbranch_execz .LBB174_10
; %bb.9:                                ;   in Loop: Header=BB174_3 Depth=1
	buffer_load_dword v3, off, s[36:39], 0  ; 4-byte Folded Reload
	buffer_load_dword v4, off, s[36:39], 0 offset:4 ; 4-byte Folded Reload
	v_mov_b32_e32 v5, v2
	v_mov_b32_e32 v6, v2
	;; [unrolled: 1-line block ×12, first 2 shown]
	s_waitcnt vmcnt(1)
	v_add_co_u32_e32 v3, vcc, v3, v0
	s_waitcnt vmcnt(0)
	v_addc_co_u32_e32 v4, vcc, v4, v1, vcc
	global_load_ushort v16, v[3:4], off
	s_nop 0
	buffer_load_dword v3, off, s[36:39], 0 offset:8 ; 4-byte Folded Reload
	buffer_load_dword v4, off, s[36:39], 0 offset:12 ; 4-byte Folded Reload
	s_waitcnt vmcnt(1)
	v_add_co_u32_e32 v3, vcc, v3, v0
	s_waitcnt vmcnt(0)
	v_addc_co_u32_e32 v4, vcc, v4, v1, vcc
	global_load_ushort v17, v[3:4], off
	v_cvt_f32_f16_e32 v3, v16
	v_mov_b32_e32 v4, v2
	v_mov_b32_e32 v16, v2
	s_waitcnt vmcnt(0)
	v_cvt_f32_f16_e32 v36, v17
	v_mov_b32_e32 v17, v2
.LBB174_10:                             ;   in Loop: Header=BB174_3 Depth=1
	s_or_b64 exec, exec, s[8:9]
	v_add_co_u32_e32 v46, vcc, 0xffffff02, v43
	v_addc_co_u32_e32 v47, vcc, -1, v44, vcc
	v_cmp_gt_i64_e32 vcc, s[12:13], v[46:47]
	v_mov_b32_e32 v46, 0
	s_and_b64 s[30:31], s[2:3], vcc
	buffer_store_dword v46, off, s[36:39], 0 offset:212 ; 4-byte Folded Spill
	v_mov_b32_e32 v46, 0
	buffer_store_dword v46, off, s[36:39], 0 offset:216 ; 4-byte Folded Spill
	s_and_saveexec_b64 s[8:9], s[30:31]
	s_cbranch_execz .LBB174_12
; %bb.11:                               ;   in Loop: Header=BB174_3 Depth=1
	v_add_co_u32_e32 v46, vcc, v37, v0
	v_addc_co_u32_e32 v47, vcc, v38, v1, vcc
	global_load_ushort v4, v[46:47], off
	v_add_co_u32_e32 v46, vcc, v39, v0
	v_addc_co_u32_e32 v47, vcc, v40, v1, vcc
	global_load_ushort v46, v[46:47], off
	s_waitcnt vmcnt(1)
	v_cvt_f32_f16_e32 v4, v4
	s_waitcnt vmcnt(0)
	v_cvt_f32_f16_e32 v46, v46
	buffer_store_dword v46, off, s[36:39], 0 offset:216 ; 4-byte Folded Spill
.LBB174_12:                             ;   in Loop: Header=BB174_3 Depth=1
	s_or_b64 exec, exec, s[8:9]
	v_add_co_u32_e32 v46, vcc, 0xffffff03, v43
	v_addc_co_u32_e32 v47, vcc, -1, v44, vcc
	v_cmp_gt_i64_e32 vcc, s[12:13], v[46:47]
	s_and_b64 s[30:31], s[2:3], vcc
	s_and_saveexec_b64 s[8:9], s[30:31]
	s_cbranch_execz .LBB174_14
; %bb.13:                               ;   in Loop: Header=BB174_3 Depth=1
	v_add_co_u32_e32 v46, vcc, v32, v0
	v_addc_co_u32_e32 v47, vcc, v33, v1, vcc
	global_load_ushort v5, v[46:47], off
	v_add_co_u32_e32 v46, vcc, v34, v0
	v_addc_co_u32_e32 v47, vcc, v35, v1, vcc
	global_load_ushort v46, v[46:47], off
	s_waitcnt vmcnt(1)
	v_cvt_f32_f16_e32 v5, v5
	s_waitcnt vmcnt(0)
	v_cvt_f32_f16_e32 v46, v46
	buffer_store_dword v46, off, s[36:39], 0 offset:212 ; 4-byte Folded Spill
.LBB174_14:                             ;   in Loop: Header=BB174_3 Depth=1
	s_or_b64 exec, exec, s[8:9]
	v_add_co_u32_e32 v46, vcc, 0xffffff04, v43
	v_addc_co_u32_e32 v47, vcc, -1, v44, vcc
	v_cmp_gt_i64_e32 vcc, s[12:13], v[46:47]
	v_mov_b32_e32 v46, 0
	s_and_b64 s[30:31], s[2:3], vcc
	buffer_store_dword v46, off, s[36:39], 0 offset:220 ; 4-byte Folded Spill
	v_mov_b32_e32 v46, 0
	buffer_store_dword v46, off, s[36:39], 0 offset:224 ; 4-byte Folded Spill
	s_and_saveexec_b64 s[8:9], s[30:31]
	s_cbranch_execz .LBB174_16
; %bb.15:                               ;   in Loop: Header=BB174_3 Depth=1
	v_add_co_u32_e32 v46, vcc, v28, v0
	v_addc_co_u32_e32 v47, vcc, v29, v1, vcc
	global_load_ushort v6, v[46:47], off
	v_add_co_u32_e32 v46, vcc, v30, v0
	v_addc_co_u32_e32 v47, vcc, v31, v1, vcc
	global_load_ushort v46, v[46:47], off
	s_waitcnt vmcnt(1)
	v_cvt_f32_f16_e32 v6, v6
	s_waitcnt vmcnt(0)
	v_cvt_f32_f16_e32 v46, v46
	buffer_store_dword v46, off, s[36:39], 0 offset:224 ; 4-byte Folded Spill
.LBB174_16:                             ;   in Loop: Header=BB174_3 Depth=1
	s_or_b64 exec, exec, s[8:9]
	v_add_co_u32_e32 v46, vcc, 0xffffff05, v43
	v_addc_co_u32_e32 v47, vcc, -1, v44, vcc
	v_cmp_gt_i64_e32 vcc, s[12:13], v[46:47]
	s_and_b64 s[30:31], s[2:3], vcc
	s_and_saveexec_b64 s[8:9], s[30:31]
	s_cbranch_execz .LBB174_18
; %bb.17:                               ;   in Loop: Header=BB174_3 Depth=1
	v_add_co_u32_e32 v46, vcc, v24, v0
	v_addc_co_u32_e32 v47, vcc, v25, v1, vcc
	global_load_ushort v7, v[46:47], off
	v_add_co_u32_e32 v46, vcc, v26, v0
	v_addc_co_u32_e32 v47, vcc, v27, v1, vcc
	global_load_ushort v46, v[46:47], off
	s_waitcnt vmcnt(1)
	v_cvt_f32_f16_e32 v7, v7
	s_waitcnt vmcnt(0)
	v_cvt_f32_f16_e32 v46, v46
	buffer_store_dword v46, off, s[36:39], 0 offset:220 ; 4-byte Folded Spill
.LBB174_18:                             ;   in Loop: Header=BB174_3 Depth=1
	s_or_b64 exec, exec, s[8:9]
	v_add_co_u32_e32 v46, vcc, 0xffffff06, v43
	v_addc_co_u32_e32 v47, vcc, -1, v44, vcc
	v_cmp_gt_i64_e32 vcc, s[12:13], v[46:47]
	v_mov_b32_e32 v47, 0
	s_and_b64 s[30:31], s[2:3], vcc
	v_mov_b32_e32 v48, 0
	s_and_saveexec_b64 s[8:9], s[30:31]
	s_cbranch_execz .LBB174_20
; %bb.19:                               ;   in Loop: Header=BB174_3 Depth=1
	v_add_co_u32_e32 v48, vcc, v20, v0
	v_addc_co_u32_e32 v49, vcc, v21, v1, vcc
	global_load_ushort v8, v[48:49], off
	v_add_co_u32_e32 v48, vcc, v22, v0
	v_addc_co_u32_e32 v49, vcc, v23, v1, vcc
	global_load_ushort v46, v[48:49], off
	s_waitcnt vmcnt(1)
	v_cvt_f32_f16_e32 v8, v8
	s_waitcnt vmcnt(0)
	v_cvt_f32_f16_e32 v48, v46
.LBB174_20:                             ;   in Loop: Header=BB174_3 Depth=1
	s_or_b64 exec, exec, s[8:9]
	v_add_co_u32_e32 v49, vcc, 0xffffff07, v43
	v_addc_co_u32_e32 v50, vcc, -1, v44, vcc
	v_cmp_gt_i64_e32 vcc, s[12:13], v[49:50]
	s_and_b64 s[30:31], s[2:3], vcc
	s_and_saveexec_b64 s[8:9], s[30:31]
	s_cbranch_execz .LBB174_22
; %bb.21:                               ;   in Loop: Header=BB174_3 Depth=1
	v_add_co_u32_e32 v46, vcc, v61, v0
	v_addc_co_u32_e32 v47, vcc, v62, v1, vcc
	global_load_ushort v9, v[46:47], off
	v_add_co_u32_e32 v46, vcc, v63, v0
	v_addc_co_u32_e32 v47, vcc, v19, v1, vcc
	global_load_ushort v46, v[46:47], off
	s_waitcnt vmcnt(1)
	v_cvt_f32_f16_e32 v9, v9
	s_waitcnt vmcnt(0)
	v_cvt_f32_f16_e32 v47, v46
.LBB174_22:                             ;   in Loop: Header=BB174_3 Depth=1
	s_or_b64 exec, exec, s[8:9]
	v_add_co_u32_e32 v49, vcc, 0xffffff08, v43
	v_addc_co_u32_e32 v50, vcc, -1, v44, vcc
	v_cmp_gt_i64_e32 vcc, s[12:13], v[49:50]
	v_mov_b32_e32 v49, 0
	s_and_b64 s[30:31], s[2:3], vcc
	v_mov_b32_e32 v50, 0
	s_and_saveexec_b64 s[8:9], s[30:31]
	s_cbranch_execz .LBB174_24
; %bb.23:                               ;   in Loop: Header=BB174_3 Depth=1
	buffer_load_dword v10, off, s[36:39], 0 offset:192 ; 4-byte Folded Reload
	buffer_load_dword v46, off, s[36:39], 0 offset:200 ; 4-byte Folded Reload
	s_waitcnt vmcnt(1)
	v_add_co_u32_e32 v50, vcc, v10, v0
	buffer_load_dword v10, off, s[36:39], 0 offset:196 ; 4-byte Folded Reload
	s_waitcnt vmcnt(0)
	v_addc_co_u32_e32 v51, vcc, v10, v1, vcc
	global_load_ushort v10, v[50:51], off
	v_add_co_u32_e32 v50, vcc, v46, v0
	buffer_load_dword v46, off, s[36:39], 0 offset:204 ; 4-byte Folded Reload
	s_waitcnt vmcnt(1)
	v_cvt_f32_f16_e32 v10, v10
	s_waitcnt vmcnt(0)
	v_addc_co_u32_e32 v51, vcc, v46, v1, vcc
	global_load_ushort v46, v[50:51], off
	s_waitcnt vmcnt(0)
	v_cvt_f32_f16_e32 v50, v46
.LBB174_24:                             ;   in Loop: Header=BB174_3 Depth=1
	s_or_b64 exec, exec, s[8:9]
	v_add_co_u32_e32 v51, vcc, 0xffffff09, v43
	v_addc_co_u32_e32 v52, vcc, -1, v44, vcc
	v_cmp_gt_i64_e32 vcc, s[12:13], v[51:52]
	s_and_b64 s[30:31], s[2:3], vcc
	s_and_saveexec_b64 s[8:9], s[30:31]
	s_cbranch_execz .LBB174_26
; %bb.25:                               ;   in Loop: Header=BB174_3 Depth=1
	buffer_load_dword v11, off, s[36:39], 0 offset:176 ; 4-byte Folded Reload
	buffer_load_dword v46, off, s[36:39], 0 offset:184 ; 4-byte Folded Reload
	s_waitcnt vmcnt(1)
	v_add_co_u32_e32 v51, vcc, v11, v0
	buffer_load_dword v11, off, s[36:39], 0 offset:180 ; 4-byte Folded Reload
	s_waitcnt vmcnt(0)
	v_addc_co_u32_e32 v52, vcc, v11, v1, vcc
	global_load_ushort v11, v[51:52], off
	v_add_co_u32_e32 v51, vcc, v46, v0
	buffer_load_dword v46, off, s[36:39], 0 offset:188 ; 4-byte Folded Reload
	s_waitcnt vmcnt(1)
	v_cvt_f32_f16_e32 v11, v11
	s_waitcnt vmcnt(0)
	v_addc_co_u32_e32 v52, vcc, v46, v1, vcc
	global_load_ushort v46, v[51:52], off
	s_waitcnt vmcnt(0)
	v_cvt_f32_f16_e32 v49, v46
.LBB174_26:                             ;   in Loop: Header=BB174_3 Depth=1
	s_or_b64 exec, exec, s[8:9]
	v_add_co_u32_e32 v51, vcc, 0xffffff0a, v43
	v_addc_co_u32_e32 v52, vcc, -1, v44, vcc
	v_cmp_gt_i64_e32 vcc, s[12:13], v[51:52]
	v_mov_b32_e32 v51, 0
	s_and_b64 s[30:31], s[2:3], vcc
	v_mov_b32_e32 v52, 0
	s_and_saveexec_b64 s[8:9], s[30:31]
	s_cbranch_execz .LBB174_28
; %bb.27:                               ;   in Loop: Header=BB174_3 Depth=1
	buffer_load_dword v12, off, s[36:39], 0 offset:160 ; 4-byte Folded Reload
	buffer_load_dword v46, off, s[36:39], 0 offset:168 ; 4-byte Folded Reload
	s_waitcnt vmcnt(1)
	v_add_co_u32_e32 v52, vcc, v12, v0
	buffer_load_dword v12, off, s[36:39], 0 offset:164 ; 4-byte Folded Reload
	s_waitcnt vmcnt(0)
	v_addc_co_u32_e32 v53, vcc, v12, v1, vcc
	global_load_ushort v12, v[52:53], off
	v_add_co_u32_e32 v52, vcc, v46, v0
	buffer_load_dword v46, off, s[36:39], 0 offset:172 ; 4-byte Folded Reload
	s_waitcnt vmcnt(1)
	v_cvt_f32_f16_e32 v12, v12
	s_waitcnt vmcnt(0)
	v_addc_co_u32_e32 v53, vcc, v46, v1, vcc
	global_load_ushort v46, v[52:53], off
	s_waitcnt vmcnt(0)
	v_cvt_f32_f16_e32 v52, v46
.LBB174_28:                             ;   in Loop: Header=BB174_3 Depth=1
	s_or_b64 exec, exec, s[8:9]
	v_add_co_u32_e32 v53, vcc, 0xffffff0b, v43
	v_addc_co_u32_e32 v54, vcc, -1, v44, vcc
	v_cmp_gt_i64_e32 vcc, s[12:13], v[53:54]
	s_and_b64 s[30:31], s[2:3], vcc
	s_and_saveexec_b64 s[8:9], s[30:31]
	s_cbranch_execz .LBB174_30
; %bb.29:                               ;   in Loop: Header=BB174_3 Depth=1
	buffer_load_dword v13, off, s[36:39], 0 offset:144 ; 4-byte Folded Reload
	buffer_load_dword v46, off, s[36:39], 0 offset:152 ; 4-byte Folded Reload
	s_waitcnt vmcnt(1)
	v_add_co_u32_e32 v53, vcc, v13, v0
	buffer_load_dword v13, off, s[36:39], 0 offset:148 ; 4-byte Folded Reload
	s_waitcnt vmcnt(0)
	v_addc_co_u32_e32 v54, vcc, v13, v1, vcc
	global_load_ushort v13, v[53:54], off
	v_add_co_u32_e32 v53, vcc, v46, v0
	buffer_load_dword v46, off, s[36:39], 0 offset:156 ; 4-byte Folded Reload
	s_waitcnt vmcnt(1)
	v_cvt_f32_f16_e32 v13, v13
	s_waitcnt vmcnt(0)
	v_addc_co_u32_e32 v54, vcc, v46, v1, vcc
	global_load_ushort v46, v[53:54], off
	s_waitcnt vmcnt(0)
	v_cvt_f32_f16_e32 v51, v46
.LBB174_30:                             ;   in Loop: Header=BB174_3 Depth=1
	s_or_b64 exec, exec, s[8:9]
	v_add_co_u32_e32 v53, vcc, 0xffffff0c, v43
	v_addc_co_u32_e32 v54, vcc, -1, v44, vcc
	v_cmp_gt_i64_e32 vcc, s[12:13], v[53:54]
	v_mov_b32_e32 v53, 0
	s_and_b64 s[30:31], s[2:3], vcc
	v_mov_b32_e32 v54, 0
	s_and_saveexec_b64 s[8:9], s[30:31]
	s_cbranch_execz .LBB174_32
; %bb.31:                               ;   in Loop: Header=BB174_3 Depth=1
	buffer_load_dword v14, off, s[36:39], 0 offset:128 ; 4-byte Folded Reload
	buffer_load_dword v46, off, s[36:39], 0 offset:136 ; 4-byte Folded Reload
	s_waitcnt vmcnt(1)
	v_add_co_u32_e32 v54, vcc, v14, v0
	buffer_load_dword v14, off, s[36:39], 0 offset:132 ; 4-byte Folded Reload
	s_waitcnt vmcnt(0)
	v_addc_co_u32_e32 v55, vcc, v14, v1, vcc
	global_load_ushort v14, v[54:55], off
	v_add_co_u32_e32 v54, vcc, v46, v0
	buffer_load_dword v46, off, s[36:39], 0 offset:140 ; 4-byte Folded Reload
	s_waitcnt vmcnt(1)
	v_cvt_f32_f16_e32 v14, v14
	s_waitcnt vmcnt(0)
	v_addc_co_u32_e32 v55, vcc, v46, v1, vcc
	global_load_ushort v46, v[54:55], off
	s_waitcnt vmcnt(0)
	v_cvt_f32_f16_e32 v54, v46
.LBB174_32:                             ;   in Loop: Header=BB174_3 Depth=1
	s_or_b64 exec, exec, s[8:9]
	v_add_co_u32_e32 v55, vcc, 0xffffff0d, v43
	v_addc_co_u32_e32 v56, vcc, -1, v44, vcc
	v_cmp_gt_i64_e32 vcc, s[12:13], v[55:56]
	s_and_b64 s[30:31], s[2:3], vcc
	s_and_saveexec_b64 s[8:9], s[30:31]
	s_cbranch_execz .LBB174_34
; %bb.33:                               ;   in Loop: Header=BB174_3 Depth=1
	buffer_load_dword v15, off, s[36:39], 0 offset:112 ; 4-byte Folded Reload
	buffer_load_dword v46, off, s[36:39], 0 offset:120 ; 4-byte Folded Reload
	s_waitcnt vmcnt(1)
	v_add_co_u32_e32 v55, vcc, v15, v0
	buffer_load_dword v15, off, s[36:39], 0 offset:116 ; 4-byte Folded Reload
	s_waitcnt vmcnt(0)
	v_addc_co_u32_e32 v56, vcc, v15, v1, vcc
	global_load_ushort v15, v[55:56], off
	v_add_co_u32_e32 v55, vcc, v46, v0
	buffer_load_dword v46, off, s[36:39], 0 offset:124 ; 4-byte Folded Reload
	s_waitcnt vmcnt(1)
	v_cvt_f32_f16_e32 v15, v15
	s_waitcnt vmcnt(0)
	v_addc_co_u32_e32 v56, vcc, v46, v1, vcc
	global_load_ushort v46, v[55:56], off
	s_waitcnt vmcnt(0)
	v_cvt_f32_f16_e32 v53, v46
.LBB174_34:                             ;   in Loop: Header=BB174_3 Depth=1
	s_or_b64 exec, exec, s[8:9]
	v_add_co_u32_e32 v55, vcc, 0xffffff0e, v43
	v_addc_co_u32_e32 v56, vcc, -1, v44, vcc
	v_cmp_gt_i64_e32 vcc, s[12:13], v[55:56]
	v_mov_b32_e32 v55, 0
	s_and_b64 s[30:31], s[2:3], vcc
	v_mov_b32_e32 v56, 0
	s_and_saveexec_b64 s[8:9], s[30:31]
	s_cbranch_execz .LBB174_36
; %bb.35:                               ;   in Loop: Header=BB174_3 Depth=1
	buffer_load_dword v16, off, s[36:39], 0 offset:80 ; 4-byte Folded Reload
	buffer_load_dword v46, off, s[36:39], 0 offset:96 ; 4-byte Folded Reload
	s_waitcnt vmcnt(1)
	v_add_co_u32_e32 v56, vcc, v16, v0
	buffer_load_dword v16, off, s[36:39], 0 offset:88 ; 4-byte Folded Reload
	s_waitcnt vmcnt(0)
	v_addc_co_u32_e32 v57, vcc, v16, v1, vcc
	global_load_ushort v16, v[56:57], off
	v_add_co_u32_e32 v56, vcc, v46, v0
	buffer_load_dword v46, off, s[36:39], 0 offset:104 ; 4-byte Folded Reload
	s_waitcnt vmcnt(1)
	v_cvt_f32_f16_e32 v16, v16
	s_waitcnt vmcnt(0)
	v_addc_co_u32_e32 v57, vcc, v46, v1, vcc
	global_load_ushort v46, v[56:57], off
	s_waitcnt vmcnt(0)
	v_cvt_f32_f16_e32 v56, v46
.LBB174_36:                             ;   in Loop: Header=BB174_3 Depth=1
	s_or_b64 exec, exec, s[8:9]
	v_add_co_u32_e32 v57, vcc, 0xffffff0f, v43
	v_addc_co_u32_e32 v58, vcc, -1, v44, vcc
	v_cmp_gt_i64_e32 vcc, s[12:13], v[57:58]
	s_and_b64 s[30:31], s[2:3], vcc
	s_and_saveexec_b64 s[8:9], s[30:31]
	s_cbranch_execz .LBB174_38
; %bb.37:                               ;   in Loop: Header=BB174_3 Depth=1
	buffer_load_dword v17, off, s[36:39], 0 offset:48 ; 4-byte Folded Reload
	buffer_load_dword v46, off, s[36:39], 0 offset:64 ; 4-byte Folded Reload
	s_waitcnt vmcnt(1)
	v_add_co_u32_e32 v57, vcc, v17, v0
	buffer_load_dword v17, off, s[36:39], 0 offset:56 ; 4-byte Folded Reload
	s_waitcnt vmcnt(0)
	v_addc_co_u32_e32 v58, vcc, v17, v1, vcc
	global_load_ushort v17, v[57:58], off
	v_add_co_u32_e32 v57, vcc, v46, v0
	buffer_load_dword v46, off, s[36:39], 0 offset:72 ; 4-byte Folded Reload
	s_waitcnt vmcnt(1)
	v_cvt_f32_f16_e32 v17, v17
	s_waitcnt vmcnt(0)
	v_addc_co_u32_e32 v58, vcc, v46, v1, vcc
	global_load_ushort v46, v[57:58], off
	s_waitcnt vmcnt(0)
	v_cvt_f32_f16_e32 v55, v46
.LBB174_38:                             ;   in Loop: Header=BB174_3 Depth=1
	s_or_b64 exec, exec, s[8:9]
	v_add_co_u32_e32 v57, vcc, 0xffffff10, v43
	v_addc_co_u32_e32 v58, vcc, -1, v44, vcc
	v_cmp_gt_i64_e32 vcc, s[12:13], v[57:58]
	v_mov_b32_e32 v46, 0
	s_and_b64 s[30:31], s[2:3], vcc
	s_and_saveexec_b64 s[8:9], s[30:31]
	s_cbranch_execz .LBB174_40
; %bb.39:                               ;   in Loop: Header=BB174_3 Depth=1
	buffer_load_dword v18, off, s[36:39], 0 offset:16 ; 4-byte Folded Reload
	buffer_load_dword v46, off, s[36:39], 0 offset:32 ; 4-byte Folded Reload
	s_waitcnt vmcnt(1)
	v_add_co_u32_e32 v57, vcc, v18, v0
	buffer_load_dword v18, off, s[36:39], 0 offset:24 ; 4-byte Folded Reload
	s_waitcnt vmcnt(0)
	v_addc_co_u32_e32 v58, vcc, v18, v1, vcc
	global_load_ushort v18, v[57:58], off
	v_add_co_u32_e32 v57, vcc, v46, v0
	buffer_load_dword v46, off, s[36:39], 0 offset:40 ; 4-byte Folded Reload
	s_waitcnt vmcnt(1)
	v_cvt_f32_f16_e32 v18, v18
	s_waitcnt vmcnt(0)
	v_addc_co_u32_e32 v58, vcc, v46, v1, vcc
	global_load_ushort v46, v[57:58], off
	s_waitcnt vmcnt(0)
	v_cvt_f32_f16_e32 v46, v46
.LBB174_40:                             ;   in Loop: Header=BB174_3 Depth=1
	s_or_b64 exec, exec, s[8:9]
	s_waitcnt vmcnt(4)
	ds_bpermute_b32 v57, v41, v45
	v_mul_f32_e32 v3, v36, v3
	s_mov_b64 s[8:9], 0
	s_waitcnt lgkmcnt(0)
	v_fma_f32 v36, v3, v57, v42
	buffer_load_dword v57, off, s[36:39], 0 offset:216 ; 4-byte Folded Reload
	ds_bpermute_b32 v3, v41, v45 offset:4
	s_waitcnt vmcnt(0)
	v_mul_f32_e32 v4, v57, v4
	s_waitcnt lgkmcnt(0)
	v_fmac_f32_e32 v36, v4, v3
	buffer_load_dword v4, off, s[36:39], 0 offset:212 ; 4-byte Folded Reload
	ds_bpermute_b32 v3, v41, v45 offset:8
	s_waitcnt vmcnt(0)
	v_mul_f32_e32 v4, v4, v5
	s_waitcnt lgkmcnt(0)
	v_fmac_f32_e32 v36, v4, v3
	;; [unrolled: 6-line block ×4, first 2 shown]
	ds_bpermute_b32 v3, v41, v45 offset:20
	v_mul_f32_e32 v4, v48, v8
	s_waitcnt lgkmcnt(0)
	v_fmac_f32_e32 v36, v4, v3
	ds_bpermute_b32 v3, v41, v45 offset:24
	v_mul_f32_e32 v4, v47, v9
	s_waitcnt lgkmcnt(0)
	v_fmac_f32_e32 v36, v4, v3
	;; [unrolled: 4-line block ×10, first 2 shown]
	ds_bpermute_b32 v3, v41, v45 offset:60
.LBB174_41:                             ;   in Loop: Header=BB174_3 Depth=1
	s_and_b64 vcc, exec, s[8:9]
	s_cbranch_vccz .LBB174_77
; %bb.42:                               ;   in Loop: Header=BB174_3 Depth=1
	s_load_dword s8, s[22:23], 0x0
	v_mov_b32_e32 v60, 0
	v_mov_b32_e32 v36, 0
	s_waitcnt lgkmcnt(0)
	s_cmp_lt_u32 s6, s8
	s_cselect_b32 s8, 12, 18
	s_add_u32 s8, s22, s8
	s_addc_u32 s9, s23, 0
	global_load_ushort v3, v2, s[8:9]
	buffer_load_dword v4, off, s[36:39], 0 offset:228 ; 4-byte Folded Reload
	buffer_load_dword v5, off, s[36:39], 0 offset:208 ; 4-byte Folded Reload
	s_waitcnt vmcnt(0)
	v_mad_u32_u24 v3, v5, v3, v4
	v_and_b32_e32 v3, 63, v3
	v_cmp_gt_u32_e32 vcc, 16, v3
	s_and_saveexec_b64 s[8:9], vcc
	s_cbranch_execz .LBB174_46
; %bb.43:                               ;   in Loop: Header=BB174_3 Depth=1
	v_add_co_u32_e32 v3, vcc, v43, v3
	v_addc_co_u32_e32 v4, vcc, 0, v44, vcc
	v_add_co_u32_e32 v3, vcc, 0xffffff01, v3
	v_addc_co_u32_e32 v4, vcc, -1, v4, vcc
	v_cmp_gt_i64_e32 vcc, s[12:13], v[3:4]
	v_mov_b32_e32 v36, 0
	s_and_saveexec_b64 s[30:31], vcc
	s_cbranch_execz .LBB174_45
; %bb.44:                               ;   in Loop: Header=BB174_3 Depth=1
	v_lshlrev_b64 v[3:4], 2, v[3:4]
	v_mov_b32_e32 v5, s11
	v_add_co_u32_e32 v3, vcc, s10, v3
	v_addc_co_u32_e32 v4, vcc, v5, v4, vcc
	global_load_dword v36, v[3:4], off
.LBB174_45:                             ;   in Loop: Header=BB174_3 Depth=1
	s_or_b64 exec, exec, s[30:31]
.LBB174_46:                             ;   in Loop: Header=BB174_3 Depth=1
	s_or_b64 exec, exec, s[8:9]
	v_mov_b32_e32 v3, v2
	v_mov_b32_e32 v4, v2
	;; [unrolled: 1-line block ×31, first 2 shown]
	s_and_saveexec_b64 s[8:9], s[2:3]
	s_cbranch_execz .LBB174_48
; %bb.47:                               ;   in Loop: Header=BB174_3 Depth=1
	buffer_load_dword v3, off, s[36:39], 0  ; 4-byte Folded Reload
	buffer_load_dword v4, off, s[36:39], 0 offset:4 ; 4-byte Folded Reload
	v_mov_b32_e32 v5, v2
	v_mov_b32_e32 v6, v2
	;; [unrolled: 1-line block ×12, first 2 shown]
	s_waitcnt vmcnt(1)
	v_add_co_u32_e32 v3, vcc, v3, v0
	s_waitcnt vmcnt(0)
	v_addc_co_u32_e32 v4, vcc, v4, v1, vcc
	global_load_ushort v16, v[3:4], off
	s_nop 0
	buffer_load_dword v3, off, s[36:39], 0 offset:8 ; 4-byte Folded Reload
	buffer_load_dword v4, off, s[36:39], 0 offset:12 ; 4-byte Folded Reload
	s_waitcnt vmcnt(1)
	v_add_co_u32_e32 v3, vcc, v3, v0
	s_waitcnt vmcnt(0)
	v_addc_co_u32_e32 v4, vcc, v4, v1, vcc
	global_load_ushort v17, v[3:4], off
	v_cvt_f32_f16_e32 v3, v16
	v_mov_b32_e32 v4, v2
	v_mov_b32_e32 v16, v2
	s_waitcnt vmcnt(0)
	v_cvt_f32_f16_e32 v60, v17
	v_mov_b32_e32 v17, v2
.LBB174_48:                             ;   in Loop: Header=BB174_3 Depth=1
	s_or_b64 exec, exec, s[8:9]
	v_mov_b32_e32 v43, 0
	v_mov_b32_e32 v44, 0
	s_and_saveexec_b64 s[8:9], s[2:3]
	s_cbranch_execz .LBB174_50
; %bb.49:                               ;   in Loop: Header=BB174_3 Depth=1
	v_add_co_u32_e32 v44, vcc, v37, v0
	v_addc_co_u32_e32 v45, vcc, v38, v1, vcc
	global_load_ushort v4, v[44:45], off
	v_add_co_u32_e32 v44, vcc, v39, v0
	v_addc_co_u32_e32 v45, vcc, v40, v1, vcc
	global_load_ushort v44, v[44:45], off
	s_waitcnt vmcnt(1)
	v_cvt_f32_f16_e32 v4, v4
	s_waitcnt vmcnt(0)
	v_cvt_f32_f16_e32 v44, v44
.LBB174_50:                             ;   in Loop: Header=BB174_3 Depth=1
	s_or_b64 exec, exec, s[8:9]
	s_and_saveexec_b64 s[8:9], s[2:3]
	s_cbranch_execz .LBB174_52
; %bb.51:                               ;   in Loop: Header=BB174_3 Depth=1
	v_add_co_u32_e32 v45, vcc, v32, v0
	v_addc_co_u32_e32 v46, vcc, v33, v1, vcc
	global_load_ushort v5, v[45:46], off
	v_add_co_u32_e32 v45, vcc, v34, v0
	v_addc_co_u32_e32 v46, vcc, v35, v1, vcc
	global_load_ushort v43, v[45:46], off
	s_waitcnt vmcnt(1)
	v_cvt_f32_f16_e32 v5, v5
	s_waitcnt vmcnt(0)
	v_cvt_f32_f16_e32 v43, v43
.LBB174_52:                             ;   in Loop: Header=BB174_3 Depth=1
	s_or_b64 exec, exec, s[8:9]
	v_mov_b32_e32 v47, 0
	v_mov_b32_e32 v48, 0
	s_and_saveexec_b64 s[8:9], s[2:3]
	s_cbranch_execz .LBB174_54
; %bb.53:                               ;   in Loop: Header=BB174_3 Depth=1
	v_add_co_u32_e32 v45, vcc, v28, v0
	v_addc_co_u32_e32 v46, vcc, v29, v1, vcc
	global_load_ushort v6, v[45:46], off
	v_add_co_u32_e32 v45, vcc, v30, v0
	v_addc_co_u32_e32 v46, vcc, v31, v1, vcc
	global_load_ushort v45, v[45:46], off
	s_waitcnt vmcnt(1)
	v_cvt_f32_f16_e32 v6, v6
	s_waitcnt vmcnt(0)
	v_cvt_f32_f16_e32 v48, v45
.LBB174_54:                             ;   in Loop: Header=BB174_3 Depth=1
	s_or_b64 exec, exec, s[8:9]
	s_and_saveexec_b64 s[8:9], s[2:3]
	s_cbranch_execz .LBB174_56
; %bb.55:                               ;   in Loop: Header=BB174_3 Depth=1
	v_add_co_u32_e32 v45, vcc, v24, v0
	v_addc_co_u32_e32 v46, vcc, v25, v1, vcc
	global_load_ushort v7, v[45:46], off
	v_add_co_u32_e32 v45, vcc, v26, v0
	v_addc_co_u32_e32 v46, vcc, v27, v1, vcc
	global_load_ushort v45, v[45:46], off
	s_waitcnt vmcnt(1)
	v_cvt_f32_f16_e32 v7, v7
	s_waitcnt vmcnt(0)
	v_cvt_f32_f16_e32 v47, v45
.LBB174_56:                             ;   in Loop: Header=BB174_3 Depth=1
	;; [unrolled: 32-line block ×3, first 2 shown]
	s_or_b64 exec, exec, s[8:9]
	v_mov_b32_e32 v51, 0
	v_mov_b32_e32 v52, 0
	s_and_saveexec_b64 s[8:9], s[2:3]
	s_cbranch_execz .LBB174_62
; %bb.61:                               ;   in Loop: Header=BB174_3 Depth=1
	buffer_load_dword v10, off, s[36:39], 0 offset:192 ; 4-byte Folded Reload
	s_waitcnt vmcnt(0)
	v_add_co_u32_e32 v45, vcc, v10, v0
	buffer_load_dword v10, off, s[36:39], 0 offset:196 ; 4-byte Folded Reload
	s_waitcnt vmcnt(0)
	v_addc_co_u32_e32 v46, vcc, v10, v1, vcc
	global_load_ushort v10, v[45:46], off
	s_waitcnt vmcnt(0)
	v_cvt_f32_f16_e32 v10, v10
	buffer_load_dword v45, off, s[36:39], 0 offset:200 ; 4-byte Folded Reload
	buffer_load_dword v46, off, s[36:39], 0 offset:204 ; 4-byte Folded Reload
	s_waitcnt vmcnt(1)
	v_add_co_u32_e32 v45, vcc, v45, v0
	s_waitcnt vmcnt(0)
	v_addc_co_u32_e32 v46, vcc, v46, v1, vcc
	global_load_ushort v45, v[45:46], off
	s_waitcnt vmcnt(0)
	v_cvt_f32_f16_e32 v52, v45
.LBB174_62:                             ;   in Loop: Header=BB174_3 Depth=1
	s_or_b64 exec, exec, s[8:9]
	s_and_saveexec_b64 s[8:9], s[2:3]
	s_cbranch_execz .LBB174_64
; %bb.63:                               ;   in Loop: Header=BB174_3 Depth=1
	buffer_load_dword v11, off, s[36:39], 0 offset:176 ; 4-byte Folded Reload
	s_waitcnt vmcnt(0)
	v_add_co_u32_e32 v45, vcc, v11, v0
	buffer_load_dword v11, off, s[36:39], 0 offset:180 ; 4-byte Folded Reload
	s_waitcnt vmcnt(0)
	v_addc_co_u32_e32 v46, vcc, v11, v1, vcc
	global_load_ushort v11, v[45:46], off
	s_waitcnt vmcnt(0)
	v_cvt_f32_f16_e32 v11, v11
	buffer_load_dword v45, off, s[36:39], 0 offset:184 ; 4-byte Folded Reload
	buffer_load_dword v46, off, s[36:39], 0 offset:188 ; 4-byte Folded Reload
	s_waitcnt vmcnt(1)
	v_add_co_u32_e32 v45, vcc, v45, v0
	s_waitcnt vmcnt(0)
	v_addc_co_u32_e32 v46, vcc, v46, v1, vcc
	global_load_ushort v45, v[45:46], off
	s_waitcnt vmcnt(0)
	v_cvt_f32_f16_e32 v51, v45
.LBB174_64:                             ;   in Loop: Header=BB174_3 Depth=1
	s_or_b64 exec, exec, s[8:9]
	v_mov_b32_e32 v53, 0
	v_mov_b32_e32 v54, 0
	s_and_saveexec_b64 s[8:9], s[2:3]
	s_cbranch_execz .LBB174_66
; %bb.65:                               ;   in Loop: Header=BB174_3 Depth=1
	buffer_load_dword v12, off, s[36:39], 0 offset:160 ; 4-byte Folded Reload
	s_waitcnt vmcnt(0)
	v_add_co_u32_e32 v45, vcc, v12, v0
	buffer_load_dword v12, off, s[36:39], 0 offset:164 ; 4-byte Folded Reload
	s_waitcnt vmcnt(0)
	v_addc_co_u32_e32 v46, vcc, v12, v1, vcc
	global_load_ushort v12, v[45:46], off
	s_waitcnt vmcnt(0)
	v_cvt_f32_f16_e32 v12, v12
	buffer_load_dword v45, off, s[36:39], 0 offset:168 ; 4-byte Folded Reload
	buffer_load_dword v46, off, s[36:39], 0 offset:172 ; 4-byte Folded Reload
	s_waitcnt vmcnt(1)
	v_add_co_u32_e32 v45, vcc, v45, v0
	s_waitcnt vmcnt(0)
	v_addc_co_u32_e32 v46, vcc, v46, v1, vcc
	global_load_ushort v45, v[45:46], off
	s_waitcnt vmcnt(0)
	v_cvt_f32_f16_e32 v54, v45
.LBB174_66:                             ;   in Loop: Header=BB174_3 Depth=1
	s_or_b64 exec, exec, s[8:9]
	s_and_saveexec_b64 s[8:9], s[2:3]
	s_cbranch_execz .LBB174_68
; %bb.67:                               ;   in Loop: Header=BB174_3 Depth=1
	buffer_load_dword v13, off, s[36:39], 0 offset:144 ; 4-byte Folded Reload
	s_waitcnt vmcnt(0)
	v_add_co_u32_e32 v45, vcc, v13, v0
	buffer_load_dword v13, off, s[36:39], 0 offset:148 ; 4-byte Folded Reload
	s_waitcnt vmcnt(0)
	v_addc_co_u32_e32 v46, vcc, v13, v1, vcc
	global_load_ushort v13, v[45:46], off
	s_waitcnt vmcnt(0)
	v_cvt_f32_f16_e32 v13, v13
	buffer_load_dword v45, off, s[36:39], 0 offset:152 ; 4-byte Folded Reload
	buffer_load_dword v46, off, s[36:39], 0 offset:156 ; 4-byte Folded Reload
	s_waitcnt vmcnt(1)
	v_add_co_u32_e32 v45, vcc, v45, v0
	s_waitcnt vmcnt(0)
	v_addc_co_u32_e32 v46, vcc, v46, v1, vcc
	global_load_ushort v45, v[45:46], off
	s_waitcnt vmcnt(0)
	v_cvt_f32_f16_e32 v53, v45
.LBB174_68:                             ;   in Loop: Header=BB174_3 Depth=1
	s_or_b64 exec, exec, s[8:9]
	v_mov_b32_e32 v45, 0
	v_mov_b32_e32 v55, 0
	s_and_saveexec_b64 s[8:9], s[2:3]
	s_cbranch_execz .LBB174_70
; %bb.69:                               ;   in Loop: Header=BB174_3 Depth=1
	buffer_load_dword v14, off, s[36:39], 0 offset:128 ; 4-byte Folded Reload
	buffer_load_dword v46, off, s[36:39], 0 offset:136 ; 4-byte Folded Reload
	s_waitcnt vmcnt(1)
	v_add_co_u32_e32 v55, vcc, v14, v0
	buffer_load_dword v14, off, s[36:39], 0 offset:132 ; 4-byte Folded Reload
	s_waitcnt vmcnt(0)
	v_addc_co_u32_e32 v56, vcc, v14, v1, vcc
	global_load_ushort v14, v[55:56], off
	v_add_co_u32_e32 v55, vcc, v46, v0
	buffer_load_dword v46, off, s[36:39], 0 offset:140 ; 4-byte Folded Reload
	s_waitcnt vmcnt(1)
	v_cvt_f32_f16_e32 v14, v14
	s_waitcnt vmcnt(0)
	v_addc_co_u32_e32 v56, vcc, v46, v1, vcc
	global_load_ushort v46, v[55:56], off
	s_waitcnt vmcnt(0)
	v_cvt_f32_f16_e32 v55, v46
.LBB174_70:                             ;   in Loop: Header=BB174_3 Depth=1
	s_or_b64 exec, exec, s[8:9]
	s_and_saveexec_b64 s[8:9], s[2:3]
	s_cbranch_execz .LBB174_72
; %bb.71:                               ;   in Loop: Header=BB174_3 Depth=1
	buffer_load_dword v15, off, s[36:39], 0 offset:112 ; 4-byte Folded Reload
	s_waitcnt vmcnt(0)
	v_add_co_u32_e32 v45, vcc, v15, v0
	buffer_load_dword v15, off, s[36:39], 0 offset:116 ; 4-byte Folded Reload
	s_waitcnt vmcnt(0)
	v_addc_co_u32_e32 v46, vcc, v15, v1, vcc
	global_load_ushort v15, v[45:46], off
	s_waitcnt vmcnt(0)
	v_cvt_f32_f16_e32 v15, v15
	buffer_load_dword v45, off, s[36:39], 0 offset:120 ; 4-byte Folded Reload
	buffer_load_dword v46, off, s[36:39], 0 offset:124 ; 4-byte Folded Reload
	s_waitcnt vmcnt(1)
	v_add_co_u32_e32 v45, vcc, v45, v0
	s_waitcnt vmcnt(0)
	v_addc_co_u32_e32 v46, vcc, v46, v1, vcc
	global_load_ushort v45, v[45:46], off
	s_waitcnt vmcnt(0)
	v_cvt_f32_f16_e32 v45, v45
.LBB174_72:                             ;   in Loop: Header=BB174_3 Depth=1
	s_or_b64 exec, exec, s[8:9]
	v_mov_b32_e32 v56, 0
	v_mov_b32_e32 v57, 0
	s_and_saveexec_b64 s[8:9], s[2:3]
	s_cbranch_execnz .LBB174_79
; %bb.73:                               ;   in Loop: Header=BB174_3 Depth=1
	s_or_b64 exec, exec, s[8:9]
	s_and_saveexec_b64 s[8:9], s[2:3]
	s_cbranch_execnz .LBB174_80
.LBB174_74:                             ;   in Loop: Header=BB174_3 Depth=1
	s_or_b64 exec, exec, s[8:9]
	v_mov_b32_e32 v46, 0
	s_and_saveexec_b64 s[8:9], s[2:3]
	s_cbranch_execz .LBB174_76
.LBB174_75:                             ;   in Loop: Header=BB174_3 Depth=1
	buffer_load_dword v18, off, s[36:39], 0 offset:16 ; 4-byte Folded Reload
	buffer_load_dword v46, off, s[36:39], 0 offset:32 ; 4-byte Folded Reload
	s_waitcnt vmcnt(1)
	v_add_co_u32_e32 v58, vcc, v18, v0
	buffer_load_dword v18, off, s[36:39], 0 offset:24 ; 4-byte Folded Reload
	s_waitcnt vmcnt(0)
	v_addc_co_u32_e32 v59, vcc, v18, v1, vcc
	global_load_ushort v18, v[58:59], off
	v_add_co_u32_e32 v58, vcc, v46, v0
	buffer_load_dword v46, off, s[36:39], 0 offset:40 ; 4-byte Folded Reload
	s_waitcnt vmcnt(1)
	v_cvt_f32_f16_e32 v18, v18
	s_waitcnt vmcnt(0)
	v_addc_co_u32_e32 v59, vcc, v46, v1, vcc
	global_load_ushort v46, v[58:59], off
	s_waitcnt vmcnt(0)
	v_cvt_f32_f16_e32 v46, v46
	buffer_load_dword v59, off, s[36:39], 0 offset:232 ; 4-byte Folded Reload
.LBB174_76:                             ;   in Loop: Header=BB174_3 Depth=1
	s_or_b64 exec, exec, s[8:9]
	s_waitcnt vmcnt(0)
	ds_bpermute_b32 v58, v41, v36
	v_mul_f32_e32 v3, v60, v3
	v_mul_f32_e32 v4, v44, v4
	s_waitcnt lgkmcnt(0)
	v_fmac_f32_e32 v42, v3, v58
	ds_bpermute_b32 v3, v41, v36 offset:4
	s_waitcnt lgkmcnt(0)
	v_fmac_f32_e32 v42, v4, v3
	ds_bpermute_b32 v3, v41, v36 offset:8
	v_mul_f32_e32 v4, v43, v5
	s_waitcnt lgkmcnt(0)
	v_fmac_f32_e32 v42, v4, v3
	ds_bpermute_b32 v3, v41, v36 offset:12
	v_mul_f32_e32 v4, v48, v6
	;; [unrolled: 4-line block ×13, first 2 shown]
	s_waitcnt lgkmcnt(0)
	v_fmac_f32_e32 v42, v4, v3
	ds_bpermute_b32 v3, v41, v36 offset:60
	v_mov_b32_e32 v36, v42
.LBB174_77:                             ;   in Loop: Header=BB174_3 Depth=1
	v_mul_f32_e32 v4, v46, v18
	s_waitcnt lgkmcnt(0)
	v_fmac_f32_e32 v36, v4, v3
	buffer_load_dword v3, off, s[36:39], 0  ; 4-byte Folded Reload
	buffer_load_dword v4, off, s[36:39], 0 offset:4 ; 4-byte Folded Reload
	s_add_u32 s28, s28, s7
	s_addc_u32 s29, s29, 0
	s_add_u32 s26, s26, s7
	s_addc_u32 s27, s27, 0
	s_waitcnt vmcnt(1)
	v_add_co_u32_e32 v3, vcc, s24, v3
	buffer_store_dword v3, off, s[36:39], 0 ; 4-byte Folded Spill
	v_mov_b32_e32 v3, s25
	s_waitcnt vmcnt(1)
	v_addc_co_u32_e32 v4, vcc, v4, v3, vcc
	buffer_store_dword v4, off, s[36:39], 0 offset:4 ; 4-byte Folded Spill
	buffer_load_dword v4, off, s[36:39], 0 offset:8 ; 4-byte Folded Reload
	s_waitcnt vmcnt(0)
	v_add_co_u32_e32 v4, vcc, s24, v4
	buffer_store_dword v4, off, s[36:39], 0 offset:8 ; 4-byte Folded Spill
	buffer_load_dword v4, off, s[36:39], 0 offset:12 ; 4-byte Folded Reload
	s_waitcnt vmcnt(0)
	v_addc_co_u32_e32 v4, vcc, v4, v3, vcc
	buffer_store_dword v4, off, s[36:39], 0 offset:12 ; 4-byte Folded Spill
	buffer_load_dword v4, off, s[36:39], 0 offset:16 ; 4-byte Folded Reload
	s_waitcnt vmcnt(0)
	v_add_co_u32_e32 v4, vcc, s24, v4
	buffer_store_dword v4, off, s[36:39], 0 offset:16 ; 4-byte Folded Spill
	buffer_load_dword v4, off, s[36:39], 0 offset:24 ; 4-byte Folded Reload
	;; [unrolled: 8-line block ×19, first 2 shown]
	s_waitcnt vmcnt(0)
	v_addc_co_u32_e32 v4, vcc, v4, v3, vcc
	v_add_co_u32_e32 v61, vcc, s24, v61
	v_addc_co_u32_e32 v62, vcc, v62, v3, vcc
	v_add_co_u32_e32 v63, vcc, s24, v63
	;; [unrolled: 2-line block ×12, first 2 shown]
	buffer_store_dword v4, off, s[36:39], 0 offset:204 ; 4-byte Folded Spill
	v_addc_co_u32_e32 v40, vcc, v40, v3, vcc
	v_mov_b32_e32 v3, s12
	v_mov_b32_e32 v4, s13
	v_cmp_lt_i64_e32 vcc, s[28:29], v[3:4]
	s_cbranch_vccz .LBB174_82
; %bb.78:                               ;   in Loop: Header=BB174_3 Depth=1
	v_mov_b32_e32 v42, v36
	s_branch .LBB174_3
.LBB174_79:                             ;   in Loop: Header=BB174_3 Depth=1
	buffer_load_dword v16, off, s[36:39], 0 offset:80 ; 4-byte Folded Reload
	buffer_load_dword v46, off, s[36:39], 0 offset:96 ; 4-byte Folded Reload
	s_waitcnt vmcnt(1)
	v_add_co_u32_e32 v57, vcc, v16, v0
	buffer_load_dword v16, off, s[36:39], 0 offset:88 ; 4-byte Folded Reload
	s_waitcnt vmcnt(0)
	v_addc_co_u32_e32 v58, vcc, v16, v1, vcc
	global_load_ushort v16, v[57:58], off
	v_add_co_u32_e32 v57, vcc, v46, v0
	buffer_load_dword v46, off, s[36:39], 0 offset:104 ; 4-byte Folded Reload
	s_waitcnt vmcnt(1)
	v_cvt_f32_f16_e32 v16, v16
	s_waitcnt vmcnt(0)
	v_addc_co_u32_e32 v58, vcc, v46, v1, vcc
	global_load_ushort v46, v[57:58], off
	s_waitcnt vmcnt(0)
	v_cvt_f32_f16_e32 v57, v46
	s_or_b64 exec, exec, s[8:9]
	s_and_saveexec_b64 s[8:9], s[2:3]
	s_cbranch_execz .LBB174_74
.LBB174_80:                             ;   in Loop: Header=BB174_3 Depth=1
	buffer_load_dword v17, off, s[36:39], 0 offset:48 ; 4-byte Folded Reload
	buffer_load_dword v46, off, s[36:39], 0 offset:64 ; 4-byte Folded Reload
	s_waitcnt vmcnt(1)
	v_add_co_u32_e32 v58, vcc, v17, v0
	buffer_load_dword v17, off, s[36:39], 0 offset:56 ; 4-byte Folded Reload
	s_waitcnt vmcnt(0)
	v_addc_co_u32_e32 v59, vcc, v17, v1, vcc
	global_load_ushort v17, v[58:59], off
	v_add_co_u32_e32 v58, vcc, v46, v0
	buffer_load_dword v46, off, s[36:39], 0 offset:72 ; 4-byte Folded Reload
	s_waitcnt vmcnt(1)
	v_cvt_f32_f16_e32 v17, v17
	s_waitcnt vmcnt(0)
	v_addc_co_u32_e32 v59, vcc, v46, v1, vcc
	global_load_ushort v46, v[58:59], off
	s_waitcnt vmcnt(0)
	v_cvt_f32_f16_e32 v56, v46
	buffer_load_dword v59, off, s[36:39], 0 offset:232 ; 4-byte Folded Reload
	s_or_b64 exec, exec, s[8:9]
	v_mov_b32_e32 v46, 0
	s_and_saveexec_b64 s[8:9], s[2:3]
	s_cbranch_execnz .LBB174_75
	s_branch .LBB174_76
.LBB174_81:
                                        ; implicit-def: $vgpr36
	s_branch .LBB174_84
.LBB174_82:
	buffer_load_dword v42, off, s[36:39], 0 offset:228 ; 4-byte Folded Reload
.LBB174_83:
	s_cbranch_execnz .LBB174_132
.LBB174_84:
	s_and_b64 vcc, exec, s[0:1]
	v_mov_b32_e32 v36, 0
	s_cbranch_vccnz .LBB174_132
; %bb.85:
	buffer_load_dword v5, off, s[36:39], 0 offset:208 ; 4-byte Folded Reload
	s_load_dword s7, s[4:5], 0x44
	s_add_u32 s2, s4, 64
	s_addc_u32 s3, s5, 0
	v_mov_b32_e32 v4, s17
	v_mov_b32_e32 v12, s15
	s_waitcnt lgkmcnt(0)
	s_lshl_b32 s7, s7, 8
	v_mov_b32_e32 v63, 0
	s_waitcnt vmcnt(0)
	v_lshlrev_b32_e32 v0, 4, v5
	v_add_co_u32_e32 v8, vcc, s20, v0
	v_addc_co_u32_e64 v9, s[0:1], 0, 0, vcc
	buffer_store_dword v0, off, s[36:39], 0 offset:412 ; 4-byte Folded Spill
	v_mul_lo_u32 v2, s15, v8
	v_mul_lo_u32 v3, s14, v9
	v_mad_u64_u32 v[0:1], s[0:1], s14, v8, 0
	s_mul_i32 s0, s15, s7
	s_mul_hi_u32 s1, s14, s7
	v_add3_u32 v1, v1, v3, v2
	v_lshlrev_b64 v[2:3], 1, v[0:1]
	s_add_i32 s1, s1, s0
	v_add_co_u32_e32 v6, vcc, s16, v2
	v_addc_co_u32_e32 v4, vcc, v4, v3, vcc
	s_mul_i32 s0, s14, s7
	buffer_store_dword v4, off, s[36:39], 0 offset:4 ; 4-byte Folded Spill
	s_lshl_b64 s[8:9], s[0:1], 1
	v_mov_b32_e32 v4, s19
	v_add_co_u32_e32 v2, vcc, s18, v2
	buffer_store_dword v2, off, s[36:39], 0 offset:8 ; 4-byte Folded Spill
	v_addc_co_u32_e32 v2, vcc, v4, v3, vcc
	s_add_u32 s22, s20, 0xff
	buffer_store_dword v2, off, s[36:39], 0 offset:12 ; 4-byte Folded Spill
	s_addc_u32 s23, 0, 0
	v_lshlrev_b32_e32 v2, 5, v5
	s_lshl_b64 s[0:1], s[20:21], 1
	v_mov_b32_e32 v3, s1
	v_add_co_u32_e32 v10, vcc, s0, v2
	v_addc_co_u32_e32 v11, vcc, 0, v3, vcc
	buffer_store_dword v6, off, s[36:39], 0 ; 4-byte Folded Spill
	v_add_co_u32_e32 v4, vcc, 2, v10
	v_mov_b32_e32 v2, s16
	v_mov_b32_e32 v6, s18
	v_addc_co_u32_e32 v5, vcc, 0, v11, vcc
	v_mov_b32_e32 v3, s17
	v_mov_b32_e32 v7, s19
	v_mad_u64_u32 v[15:16], s[0:1], s14, v4, v[2:3]
	v_mul_lo_u32 v13, s14, v5
	v_mul_lo_u32 v14, s15, v4
	v_mad_u64_u32 v[17:18], s[0:1], s14, v4, v[6:7]
	v_add_co_u32_e32 v4, vcc, s14, v0
	v_addc_co_u32_e32 v5, vcc, v1, v12, vcc
	v_add3_u32 v16, v14, v16, v13
	v_add3_u32 v18, v14, v18, v13
	v_add_co_u32_e32 v0, vcc, 4, v10
	buffer_store_dword v15, off, s[36:39], 0 offset:16 ; 4-byte Folded Spill
	s_nop 0
	buffer_store_dword v16, off, s[36:39], 0 offset:20 ; 4-byte Folded Spill
	buffer_store_dword v17, off, s[36:39], 0 offset:24 ; 4-byte Folded Spill
	s_nop 0
	buffer_store_dword v18, off, s[36:39], 0 offset:28 ; 4-byte Folded Spill
	v_addc_co_u32_e32 v1, vcc, 0, v11, vcc
	v_mul_lo_u32 v1, s14, v1
	v_mul_lo_u32 v12, s15, v0
	v_mad_u64_u32 v[15:16], s[0:1], s14, v0, v[2:3]
	v_mad_u64_u32 v[17:18], s[0:1], s14, v0, v[6:7]
	v_add_co_u32_e32 v0, vcc, 6, v10
	v_addc_co_u32_e32 v13, vcc, 0, v11, vcc
	v_mul_lo_u32 v13, s14, v13
	v_mul_lo_u32 v14, s15, v0
	v_mad_u64_u32 v[19:20], s[0:1], s14, v0, v[2:3]
	v_mad_u64_u32 v[21:22], s[0:1], s14, v0, v[6:7]
	v_add3_u32 v16, v12, v16, v1
	v_add3_u32 v18, v12, v18, v1
	v_add_co_u32_e32 v0, vcc, 8, v10
	buffer_store_dword v15, off, s[36:39], 0 offset:32 ; 4-byte Folded Spill
	s_nop 0
	buffer_store_dword v16, off, s[36:39], 0 offset:36 ; 4-byte Folded Spill
	buffer_store_dword v17, off, s[36:39], 0 offset:40 ; 4-byte Folded Spill
	s_nop 0
	buffer_store_dword v18, off, s[36:39], 0 offset:44 ; 4-byte Folded Spill
	v_addc_co_u32_e32 v1, vcc, 0, v11, vcc
	v_mul_lo_u32 v1, s14, v1
	v_mul_lo_u32 v12, s15, v0
	v_mad_u64_u32 v[15:16], s[0:1], s14, v0, v[2:3]
	v_mad_u64_u32 v[17:18], s[0:1], s14, v0, v[6:7]
	v_add3_u32 v20, v14, v20, v13
	v_add3_u32 v22, v14, v22, v13
	v_add_co_u32_e32 v0, vcc, 10, v10
	buffer_store_dword v19, off, s[36:39], 0 offset:48 ; 4-byte Folded Spill
	s_nop 0
	buffer_store_dword v20, off, s[36:39], 0 offset:52 ; 4-byte Folded Spill
	buffer_store_dword v21, off, s[36:39], 0 offset:56 ; 4-byte Folded Spill
	s_nop 0
	buffer_store_dword v22, off, s[36:39], 0 offset:60 ; 4-byte Folded Spill
	;; [unrolled: 14-line block ×3, first 2 shown]
	v_addc_co_u32_e32 v1, vcc, 0, v11, vcc
	v_mul_lo_u32 v1, s14, v1
	v_mul_lo_u32 v12, s15, v0
	v_mad_u64_u32 v[15:16], s[0:1], s14, v0, v[2:3]
	v_mad_u64_u32 v[17:18], s[0:1], s14, v0, v[6:7]
	v_add_co_u32_e32 v0, vcc, 14, v10
	v_add3_u32 v20, v14, v20, v13
	v_add3_u32 v22, v14, v22, v13
	v_addc_co_u32_e32 v13, vcc, 0, v11, vcc
	v_mul_lo_u32 v13, s14, v13
	v_mul_lo_u32 v14, s15, v0
	v_mad_u64_u32 v[43:44], s[0:1], s14, v0, v[2:3]
	v_mad_u64_u32 v[45:46], s[0:1], s14, v0, v[6:7]
	v_add_co_u32_e32 v0, vcc, 16, v10
	v_add3_u32 v16, v12, v16, v1
	v_add3_u32 v18, v12, v18, v1
	;; [unrolled: 8-line block ×3, first 2 shown]
	v_addc_co_u32_e32 v13, vcc, 0, v11, vcc
	v_mul_lo_u32 v14, s15, v0
	v_mad_u64_u32 v[51:52], s[0:1], s14, v0, v[2:3]
	v_mad_u64_u32 v[53:54], s[0:1], s14, v0, v[6:7]
	v_add_co_u32_e32 v0, vcc, 20, v10
	v_add3_u32 v48, v12, v48, v1
	v_add3_u32 v50, v12, v50, v1
	v_addc_co_u32_e32 v1, vcc, 0, v11, vcc
	v_mul_lo_u32 v1, s14, v1
	v_mul_lo_u32 v12, s15, v0
	v_mad_u64_u32 v[55:56], s[0:1], s14, v0, v[2:3]
	v_mad_u64_u32 v[57:58], s[0:1], s14, v0, v[6:7]
	v_add_co_u32_e32 v0, vcc, 22, v10
	v_add3_u32 v56, v12, v56, v1
	v_add3_u32 v58, v12, v58, v1
	v_addc_co_u32_e32 v1, vcc, 0, v11, vcc
	v_mul_lo_u32 v1, s14, v1
	v_mul_lo_u32 v12, s15, v0
	v_mad_u64_u32 v[59:60], s[0:1], s14, v0, v[2:3]
	v_mad_u64_u32 v[61:62], s[0:1], s14, v0, v[6:7]
	v_mul_lo_u32 v13, s14, v13
	v_add_co_u32_e32 v0, vcc, 24, v10
	buffer_store_dword v19, off, s[36:39], 0 offset:80 ; 4-byte Folded Spill
	s_nop 0
	buffer_store_dword v20, off, s[36:39], 0 offset:84 ; 4-byte Folded Spill
	v_add3_u32 v60, v12, v60, v1
	v_add3_u32 v62, v12, v62, v1
	v_addc_co_u32_e32 v1, vcc, 0, v11, vcc
	v_add3_u32 v52, v14, v52, v13
	v_add3_u32 v54, v14, v54, v13
	v_mul_lo_u32 v12, s14, v1
	v_mul_lo_u32 v13, s15, v0
	v_mad_u64_u32 v[19:20], s[0:1], s14, v0, v[2:3]
	v_mad_u64_u32 v[0:1], s[0:1], s14, v0, v[6:7]
	v_add3_u32 v20, v13, v20, v12
	buffer_store_dword v21, off, s[36:39], 0 offset:88 ; 4-byte Folded Spill
	s_nop 0
	buffer_store_dword v22, off, s[36:39], 0 offset:92 ; 4-byte Folded Spill
	v_add3_u32 v1, v13, v1, v12
	v_add_co_u32_e32 v12, vcc, 26, v10
	v_addc_co_u32_e32 v13, vcc, 0, v11, vcc
	v_mul_lo_u32 v13, s14, v13
	v_mul_lo_u32 v14, s15, v12
	v_mad_u64_u32 v[21:22], s[0:1], s14, v12, v[2:3]
	v_mad_u64_u32 v[23:24], s[0:1], s14, v12, v[6:7]
	v_add_co_u32_e32 v12, vcc, 28, v10
	v_add3_u32 v22, v14, v22, v13
	v_add3_u32 v24, v14, v24, v13
	v_addc_co_u32_e32 v13, vcc, 0, v11, vcc
	v_add_co_u32_e32 v10, vcc, 30, v10
	v_addc_co_u32_e32 v11, vcc, 0, v11, vcc
	v_mad_u64_u32 v[25:26], s[0:1], s14, v12, v[2:3]
	v_mad_u64_u32 v[29:30], s[0:1], s14, v10, v[2:3]
	v_mul_lo_u32 v2, s14, v11
	v_mad_u64_u32 v[31:32], s[0:1], s14, v10, v[6:7]
	v_mul_lo_u32 v3, s15, v10
	v_mad_u64_u32 v[27:28], s[0:1], s14, v12, v[6:7]
	buffer_store_dword v15, off, s[36:39], 0 offset:96 ; 4-byte Folded Spill
	s_nop 0
	buffer_store_dword v16, off, s[36:39], 0 offset:100 ; 4-byte Folded Spill
	v_add3_u32 v30, v3, v30, v2
	v_add3_u32 v32, v3, v32, v2
	v_add_co_u32_e32 v2, vcc, 15, v8
	v_addc_co_u32_e32 v3, vcc, 0, v9, vcc
	v_mul_lo_u32 v6, s14, v3
	v_mul_lo_u32 v7, s15, v2
	v_mad_u64_u32 v[2:3], s[0:1], s14, v2, 0
	buffer_store_dword v17, off, s[36:39], 0 offset:104 ; 4-byte Folded Spill
	s_nop 0
	buffer_store_dword v18, off, s[36:39], 0 offset:108 ; 4-byte Folded Spill
	v_mul_lo_u32 v13, s14, v13
	v_add3_u32 v3, v3, v6, v7
	v_lshlrev_b64 v[2:3], 1, v[2:3]
	v_mov_b32_e32 v6, s17
	v_add_co_u32_e32 v7, vcc, s16, v2
	v_addc_co_u32_e32 v6, vcc, v6, v3, vcc
	buffer_store_dword v6, off, s[36:39], 0 offset:116 ; 4-byte Folded Spill
	v_mov_b32_e32 v6, s19
	v_add_co_u32_e32 v2, vcc, s18, v2
	buffer_store_dword v2, off, s[36:39], 0 offset:120 ; 4-byte Folded Spill
	v_addc_co_u32_e32 v2, vcc, v6, v3, vcc
	buffer_store_dword v2, off, s[36:39], 0 offset:124 ; 4-byte Folded Spill
	v_add_co_u32_e32 v2, vcc, 14, v8
	v_addc_co_u32_e32 v3, vcc, 0, v9, vcc
	buffer_store_dword v7, off, s[36:39], 0 offset:112 ; 4-byte Folded Spill
	v_mul_lo_u32 v6, s14, v3
	v_mul_lo_u32 v7, s15, v2
	v_mad_u64_u32 v[2:3], s[0:1], s14, v2, 0
	v_mul_lo_u32 v14, s15, v12
	v_add3_u32 v3, v3, v6, v7
	v_lshlrev_b64 v[2:3], 1, v[2:3]
	v_mov_b32_e32 v6, s17
	v_add_co_u32_e32 v7, vcc, s16, v2
	v_addc_co_u32_e32 v6, vcc, v6, v3, vcc
	buffer_store_dword v6, off, s[36:39], 0 offset:132 ; 4-byte Folded Spill
	v_mov_b32_e32 v6, s19
	v_add_co_u32_e32 v2, vcc, s18, v2
	buffer_store_dword v2, off, s[36:39], 0 offset:136 ; 4-byte Folded Spill
	v_addc_co_u32_e32 v2, vcc, v6, v3, vcc
	buffer_store_dword v2, off, s[36:39], 0 offset:140 ; 4-byte Folded Spill
	v_add_co_u32_e32 v2, vcc, 13, v8
	v_addc_co_u32_e32 v3, vcc, 0, v9, vcc
	buffer_store_dword v7, off, s[36:39], 0 offset:128 ; 4-byte Folded Spill
	v_mul_lo_u32 v6, s14, v3
	v_mul_lo_u32 v7, s15, v2
	v_mad_u64_u32 v[2:3], s[0:1], s14, v2, 0
	v_add3_u32 v26, v14, v26, v13
	v_add3_u32 v28, v14, v28, v13
	;; [unrolled: 1-line block ×3, first 2 shown]
	v_lshlrev_b64 v[2:3], 1, v[2:3]
	v_mov_b32_e32 v6, s17
	v_add_co_u32_e32 v7, vcc, s16, v2
	v_addc_co_u32_e32 v6, vcc, v6, v3, vcc
	buffer_store_dword v6, off, s[36:39], 0 offset:148 ; 4-byte Folded Spill
	v_mov_b32_e32 v6, s19
	v_add_co_u32_e32 v2, vcc, s18, v2
	buffer_store_dword v2, off, s[36:39], 0 offset:152 ; 4-byte Folded Spill
	v_addc_co_u32_e32 v2, vcc, v6, v3, vcc
	buffer_store_dword v2, off, s[36:39], 0 offset:156 ; 4-byte Folded Spill
	v_add_co_u32_e32 v2, vcc, 12, v8
	v_addc_co_u32_e32 v3, vcc, 0, v9, vcc
	buffer_store_dword v7, off, s[36:39], 0 offset:144 ; 4-byte Folded Spill
	v_mul_lo_u32 v6, s14, v3
	v_mul_lo_u32 v7, s15, v2
	v_mad_u64_u32 v[2:3], s[0:1], s14, v2, 0
	v_add3_u32 v3, v3, v6, v7
	v_lshlrev_b64 v[2:3], 1, v[2:3]
	v_mov_b32_e32 v6, s17
	v_add_co_u32_e32 v7, vcc, s16, v2
	v_addc_co_u32_e32 v6, vcc, v6, v3, vcc
	buffer_store_dword v6, off, s[36:39], 0 offset:164 ; 4-byte Folded Spill
	v_mov_b32_e32 v6, s19
	v_add_co_u32_e32 v2, vcc, s18, v2
	buffer_store_dword v2, off, s[36:39], 0 offset:168 ; 4-byte Folded Spill
	v_addc_co_u32_e32 v2, vcc, v6, v3, vcc
	buffer_store_dword v2, off, s[36:39], 0 offset:172 ; 4-byte Folded Spill
	v_add_co_u32_e32 v2, vcc, 11, v8
	v_addc_co_u32_e32 v3, vcc, 0, v9, vcc
	buffer_store_dword v7, off, s[36:39], 0 offset:160 ; 4-byte Folded Spill
	v_mul_lo_u32 v6, s14, v3
	v_mul_lo_u32 v7, s15, v2
	v_mad_u64_u32 v[2:3], s[0:1], s14, v2, 0
	v_add3_u32 v3, v3, v6, v7
	;; [unrolled: 17-line block ×11, first 2 shown]
	v_lshlrev_b64 v[2:3], 1, v[2:3]
	v_mov_b32_e32 v6, s17
	v_add_co_u32_e32 v7, vcc, s16, v2
	v_addc_co_u32_e32 v6, vcc, v6, v3, vcc
	buffer_store_dword v6, off, s[36:39], 0 offset:328 ; 4-byte Folded Spill
	v_mov_b32_e32 v6, s19
	v_add_co_u32_e32 v2, vcc, s18, v2
	buffer_store_dword v2, off, s[36:39], 0 offset:332 ; 4-byte Folded Spill
	v_addc_co_u32_e32 v2, vcc, v6, v3, vcc
	buffer_store_dword v2, off, s[36:39], 0 offset:336 ; 4-byte Folded Spill
	v_lshlrev_b64 v[2:3], 1, v[4:5]
	v_mov_b32_e32 v4, s17
	v_add_co_u32_e32 v5, vcc, s16, v2
	v_addc_co_u32_e32 v4, vcc, v4, v3, vcc
	buffer_store_dword v4, off, s[36:39], 0 offset:344 ; 4-byte Folded Spill
	v_mov_b32_e32 v4, s19
	v_add_co_u32_e32 v2, vcc, s18, v2
	buffer_store_dword v2, off, s[36:39], 0 offset:348 ; 4-byte Folded Spill
	v_addc_co_u32_e32 v2, vcc, v4, v3, vcc
	buffer_store_dword v2, off, s[36:39], 0 offset:352 ; 4-byte Folded Spill
	v_mov_b32_e32 v2, 0
	v_add_u32_e32 v3, s33, v42
	v_mov_b32_e32 v4, v2
	v_lshlrev_b64 v[33:34], 1, v[3:4]
	v_mbcnt_lo_u32_b32 v3, -1, 0
	v_mbcnt_hi_u32_b32 v3, -1, v3
	v_lshlrev_b32_e32 v3, 2, v3
	v_and_b32_e32 v35, 0x100, v3
	buffer_store_dword v7, off, s[36:39], 0 offset:324 ; 4-byte Folded Spill
	buffer_store_dword v5, off, s[36:39], 0 offset:340 ; 4-byte Folded Spill
.LBB174_86:                             ; =>This Inner Loop Header: Depth=1
	v_mov_b32_e32 v3, s12
	v_mov_b32_e32 v4, s13
	v_cmp_ge_i64_e32 vcc, s[22:23], v[3:4]
	buffer_load_dword v4, off, s[36:39], 0 offset:412 ; 4-byte Folded Reload
	v_mov_b32_e32 v3, s23
	s_and_b64 vcc, exec, vcc
                                        ; implicit-def: $vgpr36
	s_waitcnt vmcnt(0)
	v_add_co_u32_e64 v37, s[0:1], s22, v4
	v_addc_co_u32_e64 v38, s[0:1], 0, v3, s[0:1]
	s_mov_b64 s[0:1], -1
	s_cbranch_vccz .LBB174_124
; %bb.87:                               ;   in Loop: Header=BB174_86 Depth=1
	buffer_load_dword v3, off, s[36:39], 0 offset:208 ; 4-byte Folded Reload
	s_load_dword s0, s[2:3], 0xc
	v_mov_b32_e32 v36, 0
	v_mov_b32_e32 v39, 0
	s_waitcnt lgkmcnt(0)
	s_and_b32 s0, s0, 0xffff
	s_waitcnt vmcnt(0)
	v_mad_u32_u24 v3, v3, s0, v42
	v_and_b32_e32 v3, 63, v3
	v_cmp_gt_u32_e32 vcc, 16, v3
	s_and_saveexec_b64 s[0:1], vcc
	s_cbranch_execz .LBB174_91
; %bb.88:                               ;   in Loop: Header=BB174_86 Depth=1
	v_add_co_u32_e32 v3, vcc, v37, v3
	v_addc_co_u32_e32 v4, vcc, 0, v38, vcc
	v_add_co_u32_e32 v3, vcc, 0xffffff01, v3
	v_addc_co_u32_e32 v4, vcc, -1, v4, vcc
	v_cmp_gt_i64_e32 vcc, s[12:13], v[3:4]
	v_mov_b32_e32 v39, 0
	s_and_saveexec_b64 s[16:17], vcc
	s_cbranch_execz .LBB174_90
; %bb.89:                               ;   in Loop: Header=BB174_86 Depth=1
	v_lshlrev_b64 v[3:4], 2, v[3:4]
	v_mov_b32_e32 v5, s11
	v_add_co_u32_e32 v3, vcc, s10, v3
	v_addc_co_u32_e32 v4, vcc, v5, v4, vcc
	global_load_dword v39, v[3:4], off
.LBB174_90:                             ;   in Loop: Header=BB174_86 Depth=1
	s_or_b64 exec, exec, s[16:17]
.LBB174_91:                             ;   in Loop: Header=BB174_86 Depth=1
	s_or_b64 exec, exec, s[0:1]
	v_add_co_u32_e32 v3, vcc, 0xffffff01, v37
	v_addc_co_u32_e32 v4, vcc, -1, v38, vcc
	v_cmp_gt_i64_e32 vcc, s[12:13], v[3:4]
	v_mov_b32_e32 v3, v2
	v_mov_b32_e32 v4, v2
	;; [unrolled: 1-line block ×31, first 2 shown]
	s_and_saveexec_b64 s[0:1], vcc
	s_cbranch_execz .LBB174_93
; %bb.92:                               ;   in Loop: Header=BB174_86 Depth=1
	buffer_load_dword v3, off, s[36:39], 0  ; 4-byte Folded Reload
	buffer_load_dword v4, off, s[36:39], 0 offset:4 ; 4-byte Folded Reload
	v_mov_b32_e32 v5, v2
	v_mov_b32_e32 v6, v2
	;; [unrolled: 1-line block ×12, first 2 shown]
	s_waitcnt vmcnt(1)
	v_add_co_u32_e32 v3, vcc, v3, v33
	s_waitcnt vmcnt(0)
	v_addc_co_u32_e32 v4, vcc, v4, v34, vcc
	global_load_ushort v16, v[3:4], off
	s_nop 0
	buffer_load_dword v3, off, s[36:39], 0 offset:8 ; 4-byte Folded Reload
	buffer_load_dword v4, off, s[36:39], 0 offset:12 ; 4-byte Folded Reload
	s_waitcnt vmcnt(1)
	v_add_co_u32_e32 v3, vcc, v3, v33
	s_waitcnt vmcnt(0)
	v_addc_co_u32_e32 v4, vcc, v4, v34, vcc
	global_load_ushort v17, v[3:4], off
	v_cvt_f32_f16_e32 v3, v16
	v_mov_b32_e32 v4, v2
	v_mov_b32_e32 v16, v2
	s_waitcnt vmcnt(0)
	v_cvt_f32_f16_e32 v36, v17
	v_mov_b32_e32 v17, v2
.LBB174_93:                             ;   in Loop: Header=BB174_86 Depth=1
	s_or_b64 exec, exec, s[0:1]
	v_add_co_u32_e32 v40, vcc, 0xffffff02, v37
	v_addc_co_u32_e32 v41, vcc, -1, v38, vcc
	v_cmp_gt_i64_e32 vcc, s[12:13], v[40:41]
	v_mov_b32_e32 v40, 0
	buffer_store_dword v40, off, s[36:39], 0 offset:356 ; 4-byte Folded Spill
	v_mov_b32_e32 v40, 0
	buffer_store_dword v40, off, s[36:39], 0 offset:360 ; 4-byte Folded Spill
	s_and_saveexec_b64 s[0:1], vcc
	s_cbranch_execz .LBB174_95
; %bb.94:                               ;   in Loop: Header=BB174_86 Depth=1
	buffer_load_dword v4, off, s[36:39], 0 offset:340 ; 4-byte Folded Reload
	s_waitcnt vmcnt(0)
	v_add_co_u32_e32 v40, vcc, v4, v33
	buffer_load_dword v4, off, s[36:39], 0 offset:344 ; 4-byte Folded Reload
	s_waitcnt vmcnt(0)
	v_addc_co_u32_e32 v41, vcc, v4, v34, vcc
	global_load_ushort v4, v[40:41], off
	s_waitcnt vmcnt(0)
	v_cvt_f32_f16_e32 v4, v4
	buffer_load_dword v40, off, s[36:39], 0 offset:348 ; 4-byte Folded Reload
	buffer_load_dword v41, off, s[36:39], 0 offset:352 ; 4-byte Folded Reload
	s_waitcnt vmcnt(1)
	v_add_co_u32_e32 v40, vcc, v40, v33
	s_waitcnt vmcnt(0)
	v_addc_co_u32_e32 v41, vcc, v41, v34, vcc
	global_load_ushort v40, v[40:41], off
	s_waitcnt vmcnt(0)
	v_cvt_f32_f16_e32 v40, v40
	buffer_store_dword v40, off, s[36:39], 0 offset:360 ; 4-byte Folded Spill
.LBB174_95:                             ;   in Loop: Header=BB174_86 Depth=1
	s_or_b64 exec, exec, s[0:1]
	v_add_co_u32_e32 v40, vcc, 0xffffff03, v37
	v_addc_co_u32_e32 v41, vcc, -1, v38, vcc
	v_cmp_gt_i64_e32 vcc, s[12:13], v[40:41]
	s_and_saveexec_b64 s[0:1], vcc
	s_cbranch_execz .LBB174_97
; %bb.96:                               ;   in Loop: Header=BB174_86 Depth=1
	buffer_load_dword v5, off, s[36:39], 0 offset:324 ; 4-byte Folded Reload
	s_waitcnt vmcnt(0)
	v_add_co_u32_e32 v40, vcc, v5, v33
	buffer_load_dword v5, off, s[36:39], 0 offset:328 ; 4-byte Folded Reload
	s_waitcnt vmcnt(0)
	v_addc_co_u32_e32 v41, vcc, v5, v34, vcc
	global_load_ushort v5, v[40:41], off
	s_waitcnt vmcnt(0)
	v_cvt_f32_f16_e32 v5, v5
	buffer_load_dword v40, off, s[36:39], 0 offset:332 ; 4-byte Folded Reload
	buffer_load_dword v41, off, s[36:39], 0 offset:336 ; 4-byte Folded Reload
	s_waitcnt vmcnt(1)
	v_add_co_u32_e32 v40, vcc, v40, v33
	s_waitcnt vmcnt(0)
	v_addc_co_u32_e32 v41, vcc, v41, v34, vcc
	global_load_ushort v40, v[40:41], off
	s_waitcnt vmcnt(0)
	v_cvt_f32_f16_e32 v40, v40
	buffer_store_dword v40, off, s[36:39], 0 offset:356 ; 4-byte Folded Spill
.LBB174_97:                             ;   in Loop: Header=BB174_86 Depth=1
	s_or_b64 exec, exec, s[0:1]
	v_add_co_u32_e32 v40, vcc, 0xffffff04, v37
	v_addc_co_u32_e32 v41, vcc, -1, v38, vcc
	v_cmp_gt_i64_e32 vcc, s[12:13], v[40:41]
	v_mov_b32_e32 v40, 0
	buffer_store_dword v40, off, s[36:39], 0 offset:364 ; 4-byte Folded Spill
	v_mov_b32_e32 v40, 0
	buffer_store_dword v40, off, s[36:39], 0 offset:368 ; 4-byte Folded Spill
	s_and_saveexec_b64 s[0:1], vcc
	s_cbranch_execz .LBB174_99
; %bb.98:                               ;   in Loop: Header=BB174_86 Depth=1
	buffer_load_dword v6, off, s[36:39], 0 offset:308 ; 4-byte Folded Reload
	s_waitcnt vmcnt(0)
	v_add_co_u32_e32 v40, vcc, v6, v33
	buffer_load_dword v6, off, s[36:39], 0 offset:312 ; 4-byte Folded Reload
	s_waitcnt vmcnt(0)
	v_addc_co_u32_e32 v41, vcc, v6, v34, vcc
	global_load_ushort v6, v[40:41], off
	s_waitcnt vmcnt(0)
	v_cvt_f32_f16_e32 v6, v6
	buffer_load_dword v40, off, s[36:39], 0 offset:316 ; 4-byte Folded Reload
	buffer_load_dword v41, off, s[36:39], 0 offset:320 ; 4-byte Folded Reload
	s_waitcnt vmcnt(1)
	v_add_co_u32_e32 v40, vcc, v40, v33
	s_waitcnt vmcnt(0)
	v_addc_co_u32_e32 v41, vcc, v41, v34, vcc
	global_load_ushort v40, v[40:41], off
	s_waitcnt vmcnt(0)
	v_cvt_f32_f16_e32 v40, v40
	buffer_store_dword v40, off, s[36:39], 0 offset:368 ; 4-byte Folded Spill
.LBB174_99:                             ;   in Loop: Header=BB174_86 Depth=1
	s_or_b64 exec, exec, s[0:1]
	v_add_co_u32_e32 v40, vcc, 0xffffff05, v37
	v_addc_co_u32_e32 v41, vcc, -1, v38, vcc
	v_cmp_gt_i64_e32 vcc, s[12:13], v[40:41]
	s_and_saveexec_b64 s[0:1], vcc
	s_cbranch_execz .LBB174_101
; %bb.100:                              ;   in Loop: Header=BB174_86 Depth=1
	buffer_load_dword v7, off, s[36:39], 0 offset:292 ; 4-byte Folded Reload
	s_waitcnt vmcnt(0)
	v_add_co_u32_e32 v40, vcc, v7, v33
	buffer_load_dword v7, off, s[36:39], 0 offset:296 ; 4-byte Folded Reload
	s_waitcnt vmcnt(0)
	v_addc_co_u32_e32 v41, vcc, v7, v34, vcc
	global_load_ushort v7, v[40:41], off
	s_waitcnt vmcnt(0)
	v_cvt_f32_f16_e32 v7, v7
	buffer_load_dword v40, off, s[36:39], 0 offset:300 ; 4-byte Folded Reload
	buffer_load_dword v41, off, s[36:39], 0 offset:304 ; 4-byte Folded Reload
	s_waitcnt vmcnt(1)
	v_add_co_u32_e32 v40, vcc, v40, v33
	s_waitcnt vmcnt(0)
	v_addc_co_u32_e32 v41, vcc, v41, v34, vcc
	global_load_ushort v40, v[40:41], off
	s_waitcnt vmcnt(0)
	v_cvt_f32_f16_e32 v40, v40
	buffer_store_dword v40, off, s[36:39], 0 offset:364 ; 4-byte Folded Spill
.LBB174_101:                            ;   in Loop: Header=BB174_86 Depth=1
	s_or_b64 exec, exec, s[0:1]
	v_add_co_u32_e32 v40, vcc, 0xffffff06, v37
	v_addc_co_u32_e32 v41, vcc, -1, v38, vcc
	v_cmp_gt_i64_e32 vcc, s[12:13], v[40:41]
	v_mov_b32_e32 v40, 0
	buffer_store_dword v40, off, s[36:39], 0 offset:372 ; 4-byte Folded Spill
	v_mov_b32_e32 v40, 0
	buffer_store_dword v40, off, s[36:39], 0 offset:376 ; 4-byte Folded Spill
	s_and_saveexec_b64 s[0:1], vcc
	s_cbranch_execz .LBB174_103
; %bb.102:                              ;   in Loop: Header=BB174_86 Depth=1
	buffer_load_dword v8, off, s[36:39], 0 offset:276 ; 4-byte Folded Reload
	s_waitcnt vmcnt(0)
	v_add_co_u32_e32 v40, vcc, v8, v33
	buffer_load_dword v8, off, s[36:39], 0 offset:280 ; 4-byte Folded Reload
	s_waitcnt vmcnt(0)
	v_addc_co_u32_e32 v41, vcc, v8, v34, vcc
	global_load_ushort v8, v[40:41], off
	s_waitcnt vmcnt(0)
	v_cvt_f32_f16_e32 v8, v8
	buffer_load_dword v40, off, s[36:39], 0 offset:284 ; 4-byte Folded Reload
	buffer_load_dword v41, off, s[36:39], 0 offset:288 ; 4-byte Folded Reload
	s_waitcnt vmcnt(1)
	v_add_co_u32_e32 v40, vcc, v40, v33
	s_waitcnt vmcnt(0)
	v_addc_co_u32_e32 v41, vcc, v41, v34, vcc
	global_load_ushort v40, v[40:41], off
	s_waitcnt vmcnt(0)
	v_cvt_f32_f16_e32 v40, v40
	buffer_store_dword v40, off, s[36:39], 0 offset:376 ; 4-byte Folded Spill
.LBB174_103:                            ;   in Loop: Header=BB174_86 Depth=1
	s_or_b64 exec, exec, s[0:1]
	v_add_co_u32_e32 v40, vcc, 0xffffff07, v37
	v_addc_co_u32_e32 v41, vcc, -1, v38, vcc
	v_cmp_gt_i64_e32 vcc, s[12:13], v[40:41]
	s_and_saveexec_b64 s[0:1], vcc
	s_cbranch_execz .LBB174_105
; %bb.104:                              ;   in Loop: Header=BB174_86 Depth=1
	buffer_load_dword v9, off, s[36:39], 0 offset:260 ; 4-byte Folded Reload
	s_waitcnt vmcnt(0)
	v_add_co_u32_e32 v40, vcc, v9, v33
	buffer_load_dword v9, off, s[36:39], 0 offset:264 ; 4-byte Folded Reload
	s_waitcnt vmcnt(0)
	v_addc_co_u32_e32 v41, vcc, v9, v34, vcc
	global_load_ushort v9, v[40:41], off
	s_waitcnt vmcnt(0)
	v_cvt_f32_f16_e32 v9, v9
	buffer_load_dword v40, off, s[36:39], 0 offset:268 ; 4-byte Folded Reload
	buffer_load_dword v41, off, s[36:39], 0 offset:272 ; 4-byte Folded Reload
	s_waitcnt vmcnt(1)
	v_add_co_u32_e32 v40, vcc, v40, v33
	s_waitcnt vmcnt(0)
	v_addc_co_u32_e32 v41, vcc, v41, v34, vcc
	global_load_ushort v40, v[40:41], off
	s_waitcnt vmcnt(0)
	v_cvt_f32_f16_e32 v40, v40
	buffer_store_dword v40, off, s[36:39], 0 offset:372 ; 4-byte Folded Spill
.LBB174_105:                            ;   in Loop: Header=BB174_86 Depth=1
	s_or_b64 exec, exec, s[0:1]
	v_add_co_u32_e32 v40, vcc, 0xffffff08, v37
	v_addc_co_u32_e32 v41, vcc, -1, v38, vcc
	v_cmp_gt_i64_e32 vcc, s[12:13], v[40:41]
	v_mov_b32_e32 v40, 0
	buffer_store_dword v40, off, s[36:39], 0 offset:380 ; 4-byte Folded Spill
	v_mov_b32_e32 v40, 0
	buffer_store_dword v40, off, s[36:39], 0 offset:384 ; 4-byte Folded Spill
	s_and_saveexec_b64 s[0:1], vcc
	s_cbranch_execz .LBB174_107
; %bb.106:                              ;   in Loop: Header=BB174_86 Depth=1
	buffer_load_dword v10, off, s[36:39], 0 offset:244 ; 4-byte Folded Reload
	s_waitcnt vmcnt(0)
	v_add_co_u32_e32 v40, vcc, v10, v33
	buffer_load_dword v10, off, s[36:39], 0 offset:248 ; 4-byte Folded Reload
	s_waitcnt vmcnt(0)
	v_addc_co_u32_e32 v41, vcc, v10, v34, vcc
	global_load_ushort v10, v[40:41], off
	s_waitcnt vmcnt(0)
	v_cvt_f32_f16_e32 v10, v10
	buffer_load_dword v40, off, s[36:39], 0 offset:252 ; 4-byte Folded Reload
	buffer_load_dword v41, off, s[36:39], 0 offset:256 ; 4-byte Folded Reload
	s_waitcnt vmcnt(1)
	v_add_co_u32_e32 v40, vcc, v40, v33
	s_waitcnt vmcnt(0)
	v_addc_co_u32_e32 v41, vcc, v41, v34, vcc
	global_load_ushort v40, v[40:41], off
	s_waitcnt vmcnt(0)
	v_cvt_f32_f16_e32 v40, v40
	buffer_store_dword v40, off, s[36:39], 0 offset:384 ; 4-byte Folded Spill
.LBB174_107:                            ;   in Loop: Header=BB174_86 Depth=1
	;; [unrolled: 58-line block ×5, first 2 shown]
	s_or_b64 exec, exec, s[0:1]
	v_add_co_u32_e32 v40, vcc, 0xffffff0f, v37
	v_addc_co_u32_e32 v41, vcc, -1, v38, vcc
	v_cmp_gt_i64_e32 vcc, s[12:13], v[40:41]
	s_and_saveexec_b64 s[0:1], vcc
	s_cbranch_execz .LBB174_121
; %bb.120:                              ;   in Loop: Header=BB174_86 Depth=1
	buffer_load_dword v17, off, s[36:39], 0 offset:128 ; 4-byte Folded Reload
	s_waitcnt vmcnt(0)
	v_add_co_u32_e32 v40, vcc, v17, v33
	buffer_load_dword v17, off, s[36:39], 0 offset:132 ; 4-byte Folded Reload
	s_waitcnt vmcnt(0)
	v_addc_co_u32_e32 v41, vcc, v17, v34, vcc
	global_load_ushort v17, v[40:41], off
	s_waitcnt vmcnt(0)
	v_cvt_f32_f16_e32 v17, v17
	buffer_load_dword v40, off, s[36:39], 0 offset:136 ; 4-byte Folded Reload
	buffer_load_dword v41, off, s[36:39], 0 offset:140 ; 4-byte Folded Reload
	s_waitcnt vmcnt(1)
	v_add_co_u32_e32 v40, vcc, v40, v33
	s_waitcnt vmcnt(0)
	v_addc_co_u32_e32 v41, vcc, v41, v34, vcc
	global_load_ushort v40, v[40:41], off
	s_waitcnt vmcnt(0)
	v_cvt_f32_f16_e32 v40, v40
	buffer_store_dword v40, off, s[36:39], 0 offset:404 ; 4-byte Folded Spill
.LBB174_121:                            ;   in Loop: Header=BB174_86 Depth=1
	s_or_b64 exec, exec, s[0:1]
	v_add_co_u32_e32 v40, vcc, 0xffffff10, v37
	v_addc_co_u32_e32 v41, vcc, -1, v38, vcc
	v_cmp_gt_i64_e32 vcc, s[12:13], v[40:41]
	v_mov_b32_e32 v40, 0
	s_and_saveexec_b64 s[0:1], vcc
	s_cbranch_execz .LBB174_123
; %bb.122:                              ;   in Loop: Header=BB174_86 Depth=1
	buffer_load_dword v18, off, s[36:39], 0 offset:112 ; 4-byte Folded Reload
	s_waitcnt vmcnt(0)
	v_add_co_u32_e32 v40, vcc, v18, v33
	buffer_load_dword v18, off, s[36:39], 0 offset:116 ; 4-byte Folded Reload
	s_waitcnt vmcnt(0)
	v_addc_co_u32_e32 v41, vcc, v18, v34, vcc
	global_load_ushort v18, v[40:41], off
	s_waitcnt vmcnt(0)
	v_cvt_f32_f16_e32 v18, v18
	buffer_load_dword v40, off, s[36:39], 0 offset:120 ; 4-byte Folded Reload
	buffer_load_dword v41, off, s[36:39], 0 offset:124 ; 4-byte Folded Reload
	s_waitcnt vmcnt(1)
	v_add_co_u32_e32 v40, vcc, v40, v33
	s_waitcnt vmcnt(0)
	v_addc_co_u32_e32 v41, vcc, v41, v34, vcc
	global_load_ushort v40, v[40:41], off
	s_waitcnt vmcnt(0)
	v_cvt_f32_f16_e32 v40, v40
.LBB174_123:                            ;   in Loop: Header=BB174_86 Depth=1
	s_or_b64 exec, exec, s[0:1]
	s_waitcnt vmcnt(14)
	ds_bpermute_b32 v41, v35, v39
	v_mul_f32_e32 v3, v36, v3
	s_mov_b64 s[0:1], 0
	s_waitcnt lgkmcnt(0)
	v_fma_f32 v36, v3, v41, v63
	buffer_load_dword v41, off, s[36:39], 0 offset:360 ; 4-byte Folded Reload
	ds_bpermute_b32 v3, v35, v39 offset:4
	s_waitcnt vmcnt(0)
	v_mul_f32_e32 v4, v41, v4
	s_waitcnt lgkmcnt(0)
	v_fmac_f32_e32 v36, v4, v3
	buffer_load_dword v4, off, s[36:39], 0 offset:356 ; 4-byte Folded Reload
	ds_bpermute_b32 v3, v35, v39 offset:8
	s_waitcnt vmcnt(0)
	v_mul_f32_e32 v4, v4, v5
	s_waitcnt lgkmcnt(0)
	v_fmac_f32_e32 v36, v4, v3
	;; [unrolled: 6-line block ×14, first 2 shown]
	ds_bpermute_b32 v3, v35, v39 offset:60
	v_mul_f32_e32 v4, v40, v18
	s_waitcnt lgkmcnt(0)
	v_fmac_f32_e32 v36, v4, v3
.LBB174_124:                            ;   in Loop: Header=BB174_86 Depth=1
	s_and_b64 vcc, exec, s[0:1]
	s_cbranch_vccz .LBB174_130
; %bb.125:                              ;   in Loop: Header=BB174_86 Depth=1
	s_load_dword s0, s[2:3], 0x0
	buffer_load_dword v4, off, s[36:39], 0 offset:208 ; 4-byte Folded Reload
	v_mov_b32_e32 v5, 0
	s_waitcnt lgkmcnt(0)
	s_cmp_lt_u32 s6, s0
	s_cselect_b32 s0, 12, 18
	s_add_u32 s0, s2, s0
	s_addc_u32 s1, s3, 0
	global_load_ushort v3, v2, s[0:1]
	s_waitcnt vmcnt(0)
	v_mad_u32_u24 v3, v4, v3, v42
	v_and_b32_e32 v3, 63, v3
	v_cmp_gt_u32_e32 vcc, 16, v3
	s_and_saveexec_b64 s[0:1], vcc
	s_cbranch_execz .LBB174_129
; %bb.126:                              ;   in Loop: Header=BB174_86 Depth=1
	v_add_co_u32_e32 v3, vcc, v37, v3
	v_addc_co_u32_e32 v4, vcc, 0, v38, vcc
	v_add_co_u32_e32 v3, vcc, 0xffffff01, v3
	v_addc_co_u32_e32 v4, vcc, -1, v4, vcc
	v_cmp_gt_i64_e32 vcc, s[12:13], v[3:4]
	v_mov_b32_e32 v5, 0
	s_and_saveexec_b64 s[16:17], vcc
	s_cbranch_execz .LBB174_128
; %bb.127:                              ;   in Loop: Header=BB174_86 Depth=1
	v_lshlrev_b64 v[3:4], 2, v[3:4]
	v_mov_b32_e32 v5, s11
	v_add_co_u32_e32 v3, vcc, s10, v3
	v_addc_co_u32_e32 v4, vcc, v5, v4, vcc
	global_load_dword v5, v[3:4], off
.LBB174_128:                            ;   in Loop: Header=BB174_86 Depth=1
	s_or_b64 exec, exec, s[16:17]
.LBB174_129:                            ;   in Loop: Header=BB174_86 Depth=1
	s_or_b64 exec, exec, s[0:1]
	buffer_load_dword v3, off, s[36:39], 0  ; 4-byte Folded Reload
	buffer_load_dword v4, off, s[36:39], 0 offset:4 ; 4-byte Folded Reload
	s_waitcnt vmcnt(1)
	v_add_co_u32_e32 v3, vcc, v3, v33
	s_waitcnt vmcnt(0)
	v_addc_co_u32_e32 v4, vcc, v4, v34, vcc
	global_load_ushort v6, v[3:4], off
	s_nop 0
	buffer_load_dword v3, off, s[36:39], 0 offset:8 ; 4-byte Folded Reload
	buffer_load_dword v4, off, s[36:39], 0 offset:12 ; 4-byte Folded Reload
	s_waitcnt vmcnt(1)
	v_add_co_u32_e32 v3, vcc, v3, v33
	s_waitcnt vmcnt(0)
	v_addc_co_u32_e32 v4, vcc, v4, v34, vcc
	global_load_ushort v4, v[3:4], off
	v_cvt_f32_f16_e32 v3, v6
	s_waitcnt vmcnt(0)
	v_cvt_f32_f16_e32 v4, v4
	v_mul_f32_e32 v3, v3, v4
	ds_bpermute_b32 v4, v35, v5
	s_waitcnt lgkmcnt(0)
	v_fmac_f32_e32 v63, v3, v4
	buffer_load_dword v3, off, s[36:39], 0 offset:16 ; 4-byte Folded Reload
	buffer_load_dword v4, off, s[36:39], 0 offset:20 ; 4-byte Folded Reload
	s_waitcnt vmcnt(1)
	v_add_co_u32_e32 v3, vcc, v3, v33
	s_waitcnt vmcnt(0)
	v_addc_co_u32_e32 v4, vcc, v4, v34, vcc
	global_load_ushort v6, v[3:4], off
	s_nop 0
	buffer_load_dword v3, off, s[36:39], 0 offset:24 ; 4-byte Folded Reload
	buffer_load_dword v4, off, s[36:39], 0 offset:28 ; 4-byte Folded Reload
	s_waitcnt vmcnt(1)
	v_add_co_u32_e32 v3, vcc, v3, v33
	s_waitcnt vmcnt(0)
	v_addc_co_u32_e32 v4, vcc, v4, v34, vcc
	global_load_ushort v3, v[3:4], off
	v_cvt_f32_f16_e32 v4, v6
	s_waitcnt vmcnt(0)
	v_cvt_f32_f16_e32 v3, v3
	v_mul_f32_e32 v3, v4, v3
	ds_bpermute_b32 v4, v35, v5 offset:4
	s_waitcnt lgkmcnt(0)
	v_fmac_f32_e32 v63, v3, v4
	buffer_load_dword v3, off, s[36:39], 0 offset:32 ; 4-byte Folded Reload
	buffer_load_dword v4, off, s[36:39], 0 offset:36 ; 4-byte Folded Reload
	s_waitcnt vmcnt(1)
	v_add_co_u32_e32 v3, vcc, v3, v33
	s_waitcnt vmcnt(0)
	v_addc_co_u32_e32 v4, vcc, v4, v34, vcc
	global_load_ushort v6, v[3:4], off
	s_nop 0
	buffer_load_dword v3, off, s[36:39], 0 offset:40 ; 4-byte Folded Reload
	buffer_load_dword v4, off, s[36:39], 0 offset:44 ; 4-byte Folded Reload
	s_waitcnt vmcnt(1)
	v_add_co_u32_e32 v3, vcc, v3, v33
	s_waitcnt vmcnt(0)
	v_addc_co_u32_e32 v4, vcc, v4, v34, vcc
	global_load_ushort v3, v[3:4], off
	v_cvt_f32_f16_e32 v4, v6
	s_waitcnt vmcnt(0)
	v_cvt_f32_f16_e32 v3, v3
	v_mul_f32_e32 v3, v4, v3
	ds_bpermute_b32 v4, v35, v5 offset:8
	;; [unrolled: 22-line block ×6, first 2 shown]
	s_waitcnt lgkmcnt(0)
	v_fmac_f32_e32 v63, v3, v4
	v_add_co_u32_e32 v3, vcc, v43, v33
	v_addc_co_u32_e32 v4, vcc, v44, v34, vcc
	global_load_ushort v6, v[3:4], off
	v_add_co_u32_e32 v3, vcc, v45, v33
	v_addc_co_u32_e32 v4, vcc, v46, v34, vcc
	global_load_ushort v3, v[3:4], off
	s_waitcnt vmcnt(1)
	v_cvt_f32_f16_e32 v4, v6
	s_waitcnt vmcnt(0)
	v_cvt_f32_f16_e32 v3, v3
	v_mul_f32_e32 v3, v4, v3
	ds_bpermute_b32 v4, v35, v5 offset:28
	s_waitcnt lgkmcnt(0)
	v_fmac_f32_e32 v63, v3, v4
	v_add_co_u32_e32 v3, vcc, v47, v33
	v_addc_co_u32_e32 v4, vcc, v48, v34, vcc
	global_load_ushort v6, v[3:4], off
	v_add_co_u32_e32 v3, vcc, v49, v33
	v_addc_co_u32_e32 v4, vcc, v50, v34, vcc
	global_load_ushort v3, v[3:4], off
	s_waitcnt vmcnt(1)
	v_cvt_f32_f16_e32 v4, v6
	s_waitcnt vmcnt(0)
	v_cvt_f32_f16_e32 v3, v3
	v_mul_f32_e32 v3, v4, v3
	ds_bpermute_b32 v4, v35, v5 offset:32
	;; [unrolled: 14-line block ×9, first 2 shown]
	s_waitcnt lgkmcnt(0)
	v_fmac_f32_e32 v63, v3, v4
	v_mov_b32_e32 v36, v63
.LBB174_130:                            ;   in Loop: Header=BB174_86 Depth=1
	buffer_load_dword v3, off, s[36:39], 0  ; 4-byte Folded Reload
	buffer_load_dword v4, off, s[36:39], 0 offset:4 ; 4-byte Folded Reload
	s_add_u32 s20, s20, s7
	s_addc_u32 s21, s21, 0
	s_add_u32 s22, s22, s7
	s_addc_u32 s23, s23, 0
	s_waitcnt vmcnt(1)
	v_add_co_u32_e32 v3, vcc, s8, v3
	buffer_store_dword v3, off, s[36:39], 0 ; 4-byte Folded Spill
	v_mov_b32_e32 v3, s9
	s_waitcnt vmcnt(1)
	v_addc_co_u32_e32 v4, vcc, v4, v3, vcc
	buffer_store_dword v4, off, s[36:39], 0 offset:4 ; 4-byte Folded Spill
	buffer_load_dword v4, off, s[36:39], 0 offset:8 ; 4-byte Folded Reload
	s_waitcnt vmcnt(0)
	v_add_co_u32_e32 v4, vcc, s8, v4
	buffer_store_dword v4, off, s[36:39], 0 offset:8 ; 4-byte Folded Spill
	buffer_load_dword v4, off, s[36:39], 0 offset:12 ; 4-byte Folded Reload
	s_waitcnt vmcnt(0)
	v_addc_co_u32_e32 v4, vcc, v4, v3, vcc
	buffer_store_dword v4, off, s[36:39], 0 offset:12 ; 4-byte Folded Spill
	buffer_load_dword v4, off, s[36:39], 0 offset:16 ; 4-byte Folded Reload
	s_nop 0
	buffer_load_dword v5, off, s[36:39], 0 offset:20 ; 4-byte Folded Reload
	s_waitcnt vmcnt(1)
	v_add_co_u32_e32 v4, vcc, s8, v4
	s_waitcnt vmcnt(0)
	v_addc_co_u32_e32 v5, vcc, v5, v3, vcc
	buffer_store_dword v4, off, s[36:39], 0 offset:16 ; 4-byte Folded Spill
	s_nop 0
	buffer_store_dword v5, off, s[36:39], 0 offset:20 ; 4-byte Folded Spill
	buffer_load_dword v4, off, s[36:39], 0 offset:32 ; 4-byte Folded Reload
	s_nop 0
	buffer_load_dword v5, off, s[36:39], 0 offset:36 ; 4-byte Folded Reload
	s_waitcnt vmcnt(1)
	v_add_co_u32_e32 v4, vcc, s8, v4
	s_waitcnt vmcnt(0)
	v_addc_co_u32_e32 v5, vcc, v5, v3, vcc
	buffer_store_dword v4, off, s[36:39], 0 offset:32 ; 4-byte Folded Spill
	s_nop 0
	;; [unrolled: 10-line block ×6, first 2 shown]
	buffer_store_dword v5, off, s[36:39], 0 offset:100 ; 4-byte Folded Spill
	buffer_load_dword v4, off, s[36:39], 0 offset:24 ; 4-byte Folded Reload
	s_nop 0
	buffer_load_dword v5, off, s[36:39], 0 offset:28 ; 4-byte Folded Reload
	v_add_co_u32_e32 v43, vcc, s8, v43
	v_addc_co_u32_e32 v44, vcc, v44, v3, vcc
	v_add_co_u32_e32 v47, vcc, s8, v47
	v_addc_co_u32_e32 v48, vcc, v48, v3, vcc
	;; [unrolled: 2-line block ×9, first 2 shown]
	s_waitcnt vmcnt(1)
	v_add_co_u32_e32 v4, vcc, s8, v4
	s_waitcnt vmcnt(0)
	v_addc_co_u32_e32 v5, vcc, v5, v3, vcc
	buffer_store_dword v4, off, s[36:39], 0 offset:24 ; 4-byte Folded Spill
	s_nop 0
	buffer_store_dword v5, off, s[36:39], 0 offset:28 ; 4-byte Folded Spill
	buffer_load_dword v4, off, s[36:39], 0 offset:40 ; 4-byte Folded Reload
	s_nop 0
	buffer_load_dword v5, off, s[36:39], 0 offset:44 ; 4-byte Folded Reload
	s_waitcnt vmcnt(1)
	v_add_co_u32_e32 v4, vcc, s8, v4
	s_waitcnt vmcnt(0)
	v_addc_co_u32_e32 v5, vcc, v5, v3, vcc
	buffer_store_dword v4, off, s[36:39], 0 offset:40 ; 4-byte Folded Spill
	s_nop 0
	buffer_store_dword v5, off, s[36:39], 0 offset:44 ; 4-byte Folded Spill
	buffer_load_dword v4, off, s[36:39], 0 offset:56 ; 4-byte Folded Reload
	s_nop 0
	buffer_load_dword v5, off, s[36:39], 0 offset:60 ; 4-byte Folded Reload
	;; [unrolled: 10-line block ×5, first 2 shown]
	s_waitcnt vmcnt(1)
	v_add_co_u32_e32 v4, vcc, s8, v4
	s_waitcnt vmcnt(0)
	v_addc_co_u32_e32 v5, vcc, v5, v3, vcc
	buffer_store_dword v4, off, s[36:39], 0 offset:104 ; 4-byte Folded Spill
	s_nop 0
	buffer_store_dword v5, off, s[36:39], 0 offset:108 ; 4-byte Folded Spill
	buffer_load_dword v4, off, s[36:39], 0 offset:112 ; 4-byte Folded Reload
	v_add_co_u32_e32 v45, vcc, s8, v45
	v_addc_co_u32_e32 v46, vcc, v46, v3, vcc
	v_add_co_u32_e32 v49, vcc, s8, v49
	v_addc_co_u32_e32 v50, vcc, v50, v3, vcc
	;; [unrolled: 2-line block ×9, first 2 shown]
	s_waitcnt vmcnt(0)
	v_add_co_u32_e32 v4, vcc, s8, v4
	buffer_store_dword v4, off, s[36:39], 0 offset:112 ; 4-byte Folded Spill
	buffer_load_dword v4, off, s[36:39], 0 offset:116 ; 4-byte Folded Reload
	s_waitcnt vmcnt(0)
	v_addc_co_u32_e32 v4, vcc, v4, v3, vcc
	buffer_store_dword v4, off, s[36:39], 0 offset:116 ; 4-byte Folded Spill
	buffer_load_dword v4, off, s[36:39], 0 offset:120 ; 4-byte Folded Reload
	s_waitcnt vmcnt(0)
	v_add_co_u32_e32 v4, vcc, s8, v4
	buffer_store_dword v4, off, s[36:39], 0 offset:120 ; 4-byte Folded Spill
	buffer_load_dword v4, off, s[36:39], 0 offset:124 ; 4-byte Folded Reload
	s_waitcnt vmcnt(0)
	v_addc_co_u32_e32 v4, vcc, v4, v3, vcc
	buffer_store_dword v4, off, s[36:39], 0 offset:124 ; 4-byte Folded Spill
	buffer_load_dword v4, off, s[36:39], 0 offset:128 ; 4-byte Folded Reload
	;; [unrolled: 8-line block ×29, first 2 shown]
	s_waitcnt vmcnt(0)
	v_add_co_u32_e32 v4, vcc, s8, v4
	buffer_store_dword v4, off, s[36:39], 0 offset:348 ; 4-byte Folded Spill
	buffer_load_dword v4, off, s[36:39], 0 offset:352 ; 4-byte Folded Reload
	s_waitcnt vmcnt(0)
	v_addc_co_u32_e32 v4, vcc, v4, v3, vcc
	buffer_store_dword v4, off, s[36:39], 0 offset:352 ; 4-byte Folded Spill
	v_mov_b32_e32 v3, s12
	v_mov_b32_e32 v4, s13
	v_cmp_ge_i64_e32 vcc, s[20:21], v[3:4]
	s_cbranch_vccnz .LBB174_132
; %bb.131:                              ;   in Loop: Header=BB174_86 Depth=1
	v_mov_b32_e32 v63, v36
	s_branch .LBB174_86
.LBB174_132:
	buffer_load_dword v2, off, s[36:39], 0 offset:208 ; 4-byte Folded Reload
	s_movk_i32 s0, 0x41
	v_mov_b32_e32 v1, 0
	s_waitcnt vmcnt(0)
	v_mad_u32_u24 v0, v2, s0, v42
	v_lshl_add_u32 v0, v0, 2, 0
	ds_write_b32 v0, v36
	ds_write_b32 v0, v1 offset:4160
	v_lshrrev_b32_e32 v0, 6, v42
	v_add_u32_e32 v2, v0, v2
	v_cmp_gt_u32_e32 vcc, 64, v2
	s_waitcnt lgkmcnt(0)
	s_barrier
	s_and_saveexec_b64 s[0:1], vcc
	s_cbranch_execz .LBB174_152
; %bb.133:
	s_load_dwordx2 s[4:5], s[4:5], 0x30
	v_and_b32_e32 v0, 63, v42
	v_cmp_gt_u32_e32 vcc, 16, v0
	v_mul_u32_u24_e32 v3, 0x41, v0
                                        ; implicit-def: $vgpr0
	s_and_saveexec_b64 s[0:1], vcc
; %bb.134:
	v_lshlrev_b32_e32 v0, 2, v2
	v_lshlrev_b32_e32 v1, 2, v3
	v_add3_u32 v0, 0, v0, v1
	ds_read_b32 v0, v0
; %bb.135:
	s_or_b64 exec, exec, s[0:1]
	v_mbcnt_lo_u32_b32 v1, -1, 0
	v_mbcnt_hi_u32_b32 v1, -1, v1
	v_and_b32_e32 v4, 64, v1
	v_add_u32_e32 v7, 64, v4
	v_xor_b32_e32 v4, 8, v1
	v_cmp_lt_i32_e64 s[0:1], v4, v7
	v_cndmask_b32_e64 v4, v1, v4, s[0:1]
	v_lshlrev_b32_e32 v4, 2, v4
	s_waitcnt lgkmcnt(0)
	ds_bpermute_b32 v5, v4, v0
	v_xor_b32_e32 v6, 4, v1
	v_cmp_lt_i32_e64 s[0:1], v6, v7
	v_xor_b32_e32 v8, 2, v1
	s_mov_b32 s7, 0
	s_waitcnt lgkmcnt(0)
	v_add_f32_e32 v0, v0, v5
	v_cndmask_b32_e64 v5, v1, v6, s[0:1]
	v_lshlrev_b32_e32 v5, 2, v5
	ds_bpermute_b32 v6, v5, v0
	v_cmp_lt_i32_e64 s[0:1], v8, v7
	s_lshl_b64 s[6:7], s[6:7], 6
	s_cmp_eq_u64 s[4:5], 0
	s_cselect_b64 s[8:9], -1, 0
	s_waitcnt lgkmcnt(0)
	v_add_f32_e32 v0, v0, v6
	v_cndmask_b32_e64 v6, v1, v8, s[0:1]
	v_lshlrev_b32_e32 v6, 2, v6
	ds_bpermute_b32 v8, v6, v0
	v_cmp_ne_u32_e64 s[0:1], 0, v42
	s_waitcnt lgkmcnt(0)
	v_add_f32_e32 v8, v0, v8
	v_xor_b32_e32 v0, 1, v1
	v_cmp_lt_i32_e64 s[2:3], v0, v7
	v_cndmask_b32_e64 v0, v1, v0, s[2:3]
	v_lshlrev_b32_e32 v7, 2, v0
	ds_bpermute_b32 v9, v7, v8
	v_or_b32_e32 v0, s6, v2
	v_mov_b32_e32 v1, s7
	v_cmp_le_i64_e64 s[2:3], s[14:15], v[0:1]
	s_or_b64 s[2:3], s[0:1], s[2:3]
	s_waitcnt lgkmcnt(0)
	v_add_f32_e32 v8, v8, v9
	s_nor_b64 s[2:3], s[8:9], s[2:3]
	s_and_saveexec_b64 s[10:11], s[2:3]
	s_cbranch_execz .LBB174_137
; %bb.136:
	v_lshlrev_b64 v[0:1], 1, v[0:1]
	v_cvt_f16_f32_e32 v10, v8
	v_mov_b32_e32 v9, s5
	v_add_co_u32_e64 v0, s[2:3], s4, v0
	v_addc_co_u32_e64 v1, s[2:3], v9, v1, s[2:3]
	global_store_short v[0:1], v10, off
.LBB174_137:
	s_or_b64 exec, exec, s[10:11]
	v_cmp_gt_u32_e64 s[2:3], 48, v2
	s_and_b64 exec, exec, s[2:3]
	s_cbranch_execz .LBB174_152
; %bb.138:
	s_and_saveexec_b64 s[2:3], vcc
; %bb.139:
	v_lshlrev_b32_e32 v0, 2, v2
	v_lshlrev_b32_e32 v1, 2, v3
	v_add3_u32 v0, 0, v0, v1
	ds_read_b32 v8, v0 offset:64
; %bb.140:
	s_or_b64 exec, exec, s[2:3]
	s_waitcnt lgkmcnt(0)
	ds_bpermute_b32 v0, v4, v8
	v_mov_b32_e32 v9, s7
	s_waitcnt lgkmcnt(0)
	v_add_f32_e32 v0, v8, v0
	ds_bpermute_b32 v1, v5, v0
	v_add_u32_e32 v8, 16, v2
	s_waitcnt lgkmcnt(0)
	v_add_f32_e32 v0, v0, v1
	ds_bpermute_b32 v1, v6, v0
	s_waitcnt lgkmcnt(0)
	v_add_f32_e32 v10, v0, v1
	ds_bpermute_b32 v11, v7, v10
	v_add_co_u32_e64 v0, s[2:3], s6, v8
	v_addc_co_u32_e64 v1, s[2:3], 0, v9, s[2:3]
	v_cmp_le_i64_e64 s[2:3], s[14:15], v[0:1]
	s_waitcnt lgkmcnt(0)
	v_add_f32_e32 v0, v10, v11
	s_or_b64 s[2:3], s[0:1], s[2:3]
	s_nor_b64 s[2:3], s[8:9], s[2:3]
	s_and_saveexec_b64 s[10:11], s[2:3]
	s_cbranch_execz .LBB174_142
; %bb.141:
	v_mov_b32_e32 v1, s7
	v_add_co_u32_e64 v8, s[2:3], s6, v2
	v_addc_co_u32_e64 v9, s[2:3], 0, v1, s[2:3]
	v_lshlrev_b64 v[8:9], 1, v[8:9]
	v_cvt_f16_f32_e32 v10, v0
	v_mov_b32_e32 v1, s5
	v_add_co_u32_e64 v8, s[2:3], s4, v8
	v_addc_co_u32_e64 v9, s[2:3], v1, v9, s[2:3]
	global_store_short v[8:9], v10, off offset:32
.LBB174_142:
	s_or_b64 exec, exec, s[10:11]
	v_cmp_gt_u32_e64 s[2:3], 32, v2
	s_and_b64 exec, exec, s[2:3]
	s_cbranch_execz .LBB174_152
; %bb.143:
	s_and_saveexec_b64 s[2:3], vcc
; %bb.144:
	v_lshlrev_b32_e32 v0, 2, v2
	v_lshlrev_b32_e32 v1, 2, v3
	v_add3_u32 v0, 0, v0, v1
	ds_read_b32 v0, v0 offset:128
; %bb.145:
	s_or_b64 exec, exec, s[2:3]
	s_waitcnt lgkmcnt(0)
	ds_bpermute_b32 v1, v4, v0
	v_add_u32_e32 v9, 32, v2
	s_waitcnt lgkmcnt(0)
	v_add_f32_e32 v0, v0, v1
	ds_bpermute_b32 v1, v5, v0
	s_waitcnt lgkmcnt(0)
	v_add_f32_e32 v0, v0, v1
	ds_bpermute_b32 v8, v6, v0
	v_mov_b32_e32 v1, s7
	s_waitcnt lgkmcnt(0)
	v_add_f32_e32 v8, v0, v8
	ds_bpermute_b32 v10, v7, v8
	v_or_b32_e32 v0, s6, v9
	v_cmp_le_i64_e64 s[2:3], s[14:15], v[0:1]
	s_or_b64 s[2:3], s[0:1], s[2:3]
	s_waitcnt lgkmcnt(0)
	v_add_f32_e32 v0, v8, v10
	s_nor_b64 s[2:3], s[8:9], s[2:3]
	s_and_saveexec_b64 s[10:11], s[2:3]
	s_cbranch_execz .LBB174_147
; %bb.146:
	v_mov_b32_e32 v1, s7
	v_add_co_u32_e64 v8, s[2:3], s6, v2
	v_addc_co_u32_e64 v9, s[2:3], 0, v1, s[2:3]
	v_lshlrev_b64 v[8:9], 1, v[8:9]
	v_cvt_f16_f32_e32 v10, v0
	v_mov_b32_e32 v1, s5
	v_add_co_u32_e64 v8, s[2:3], s4, v8
	v_addc_co_u32_e64 v9, s[2:3], v1, v9, s[2:3]
	global_store_short v[8:9], v10, off offset:64
.LBB174_147:
	s_or_b64 exec, exec, s[10:11]
	v_cmp_gt_u32_e64 s[2:3], 16, v2
	s_and_b64 exec, exec, s[2:3]
	s_cbranch_execz .LBB174_152
; %bb.148:
	s_and_saveexec_b64 s[2:3], vcc
; %bb.149:
	v_lshlrev_b32_e32 v0, 2, v2
	v_lshlrev_b32_e32 v1, 2, v3
	v_add3_u32 v0, 0, v0, v1
	ds_read_b32 v0, v0 offset:192
; %bb.150:
	s_or_b64 exec, exec, s[2:3]
	s_waitcnt lgkmcnt(0)
	ds_bpermute_b32 v1, v4, v0
	v_add_u32_e32 v3, 48, v2
	v_or_b32_e32 v3, s6, v3
	v_mov_b32_e32 v4, s7
	v_cmp_le_i64_e32 vcc, s[14:15], v[3:4]
	s_waitcnt lgkmcnt(0)
	v_add_f32_e32 v0, v0, v1
	ds_bpermute_b32 v1, v5, v0
	s_or_b64 s[0:1], s[0:1], vcc
	s_nor_b64 s[0:1], s[8:9], s[0:1]
	s_waitcnt lgkmcnt(0)
	v_add_f32_e32 v0, v0, v1
	ds_bpermute_b32 v1, v6, v0
	s_waitcnt lgkmcnt(0)
	v_add_f32_e32 v0, v0, v1
	ds_bpermute_b32 v1, v7, v0
	s_and_saveexec_b64 s[2:3], s[0:1]
	s_xor_b64 s[2:3], exec, s[2:3]
	s_cbranch_execz .LBB174_152
; %bb.151:
	s_waitcnt lgkmcnt(0)
	v_add_f32_e32 v3, v0, v1
	v_mov_b32_e32 v1, s7
	v_add_co_u32_e32 v0, vcc, s6, v2
	v_addc_co_u32_e32 v1, vcc, 0, v1, vcc
	v_lshlrev_b64 v[0:1], 1, v[0:1]
	v_cvt_f16_f32_e32 v3, v3
	v_mov_b32_e32 v2, s5
	v_add_co_u32_e32 v0, vcc, s4, v0
	v_addc_co_u32_e32 v1, vcc, v2, v1, vcc
	global_store_short v[0:1], v3, off offset:96
.LBB174_152:
	s_endpgm
	.section	.rodata,"a",@progbits
	.p2align	6, 0x0
	.amdhsa_kernel _ZN2at6native12_GLOBAL__N_135GammaBetaBackwardCUDAKernelTemplateIN3c104HalfEfLj64ELj16ELj256ELb0ELb0ELb1EEEvllPKT_S7_PKT0_SA_PS5_SB_
		.amdhsa_group_segment_fixed_size 0
		.amdhsa_private_segment_fixed_size 420
		.amdhsa_kernarg_size 320
		.amdhsa_user_sgpr_count 6
		.amdhsa_user_sgpr_private_segment_buffer 1
		.amdhsa_user_sgpr_dispatch_ptr 0
		.amdhsa_user_sgpr_queue_ptr 0
		.amdhsa_user_sgpr_kernarg_segment_ptr 1
		.amdhsa_user_sgpr_dispatch_id 0
		.amdhsa_user_sgpr_flat_scratch_init 0
		.amdhsa_user_sgpr_private_segment_size 0
		.amdhsa_uses_dynamic_stack 0
		.amdhsa_system_sgpr_private_segment_wavefront_offset 1
		.amdhsa_system_sgpr_workgroup_id_x 1
		.amdhsa_system_sgpr_workgroup_id_y 1
		.amdhsa_system_sgpr_workgroup_id_z 0
		.amdhsa_system_sgpr_workgroup_info 0
		.amdhsa_system_vgpr_workitem_id 1
		.amdhsa_next_free_vgpr 64
		.amdhsa_next_free_sgpr 40
		.amdhsa_reserve_vcc 1
		.amdhsa_reserve_flat_scratch 0
		.amdhsa_float_round_mode_32 0
		.amdhsa_float_round_mode_16_64 0
		.amdhsa_float_denorm_mode_32 3
		.amdhsa_float_denorm_mode_16_64 3
		.amdhsa_dx10_clamp 1
		.amdhsa_ieee_mode 1
		.amdhsa_fp16_overflow 0
		.amdhsa_exception_fp_ieee_invalid_op 0
		.amdhsa_exception_fp_denorm_src 0
		.amdhsa_exception_fp_ieee_div_zero 0
		.amdhsa_exception_fp_ieee_overflow 0
		.amdhsa_exception_fp_ieee_underflow 0
		.amdhsa_exception_fp_ieee_inexact 0
		.amdhsa_exception_int_div_zero 0
	.end_amdhsa_kernel
	.section	.text._ZN2at6native12_GLOBAL__N_135GammaBetaBackwardCUDAKernelTemplateIN3c104HalfEfLj64ELj16ELj256ELb0ELb0ELb1EEEvllPKT_S7_PKT0_SA_PS5_SB_,"axG",@progbits,_ZN2at6native12_GLOBAL__N_135GammaBetaBackwardCUDAKernelTemplateIN3c104HalfEfLj64ELj16ELj256ELb0ELb0ELb1EEEvllPKT_S7_PKT0_SA_PS5_SB_,comdat
.Lfunc_end174:
	.size	_ZN2at6native12_GLOBAL__N_135GammaBetaBackwardCUDAKernelTemplateIN3c104HalfEfLj64ELj16ELj256ELb0ELb0ELb1EEEvllPKT_S7_PKT0_SA_PS5_SB_, .Lfunc_end174-_ZN2at6native12_GLOBAL__N_135GammaBetaBackwardCUDAKernelTemplateIN3c104HalfEfLj64ELj16ELj256ELb0ELb0ELb1EEEvllPKT_S7_PKT0_SA_PS5_SB_
                                        ; -- End function
	.set _ZN2at6native12_GLOBAL__N_135GammaBetaBackwardCUDAKernelTemplateIN3c104HalfEfLj64ELj16ELj256ELb0ELb0ELb1EEEvllPKT_S7_PKT0_SA_PS5_SB_.num_vgpr, 64
	.set _ZN2at6native12_GLOBAL__N_135GammaBetaBackwardCUDAKernelTemplateIN3c104HalfEfLj64ELj16ELj256ELb0ELb0ELb1EEEvllPKT_S7_PKT0_SA_PS5_SB_.num_agpr, 0
	.set _ZN2at6native12_GLOBAL__N_135GammaBetaBackwardCUDAKernelTemplateIN3c104HalfEfLj64ELj16ELj256ELb0ELb0ELb1EEEvllPKT_S7_PKT0_SA_PS5_SB_.numbered_sgpr, 40
	.set _ZN2at6native12_GLOBAL__N_135GammaBetaBackwardCUDAKernelTemplateIN3c104HalfEfLj64ELj16ELj256ELb0ELb0ELb1EEEvllPKT_S7_PKT0_SA_PS5_SB_.num_named_barrier, 0
	.set _ZN2at6native12_GLOBAL__N_135GammaBetaBackwardCUDAKernelTemplateIN3c104HalfEfLj64ELj16ELj256ELb0ELb0ELb1EEEvllPKT_S7_PKT0_SA_PS5_SB_.private_seg_size, 420
	.set _ZN2at6native12_GLOBAL__N_135GammaBetaBackwardCUDAKernelTemplateIN3c104HalfEfLj64ELj16ELj256ELb0ELb0ELb1EEEvllPKT_S7_PKT0_SA_PS5_SB_.uses_vcc, 1
	.set _ZN2at6native12_GLOBAL__N_135GammaBetaBackwardCUDAKernelTemplateIN3c104HalfEfLj64ELj16ELj256ELb0ELb0ELb1EEEvllPKT_S7_PKT0_SA_PS5_SB_.uses_flat_scratch, 0
	.set _ZN2at6native12_GLOBAL__N_135GammaBetaBackwardCUDAKernelTemplateIN3c104HalfEfLj64ELj16ELj256ELb0ELb0ELb1EEEvllPKT_S7_PKT0_SA_PS5_SB_.has_dyn_sized_stack, 0
	.set _ZN2at6native12_GLOBAL__N_135GammaBetaBackwardCUDAKernelTemplateIN3c104HalfEfLj64ELj16ELj256ELb0ELb0ELb1EEEvllPKT_S7_PKT0_SA_PS5_SB_.has_recursion, 0
	.set _ZN2at6native12_GLOBAL__N_135GammaBetaBackwardCUDAKernelTemplateIN3c104HalfEfLj64ELj16ELj256ELb0ELb0ELb1EEEvllPKT_S7_PKT0_SA_PS5_SB_.has_indirect_call, 0
	.section	.AMDGPU.csdata,"",@progbits
; Kernel info:
; codeLenInByte = 18688
; TotalNumSgprs: 44
; NumVgprs: 64
; ScratchSize: 420
; MemoryBound: 0
; FloatMode: 240
; IeeeMode: 1
; LDSByteSize: 0 bytes/workgroup (compile time only)
; SGPRBlocks: 5
; VGPRBlocks: 15
; NumSGPRsForWavesPerEU: 44
; NumVGPRsForWavesPerEU: 64
; Occupancy: 4
; WaveLimiterHint : 0
; COMPUTE_PGM_RSRC2:SCRATCH_EN: 1
; COMPUTE_PGM_RSRC2:USER_SGPR: 6
; COMPUTE_PGM_RSRC2:TRAP_HANDLER: 0
; COMPUTE_PGM_RSRC2:TGID_X_EN: 1
; COMPUTE_PGM_RSRC2:TGID_Y_EN: 1
; COMPUTE_PGM_RSRC2:TGID_Z_EN: 0
; COMPUTE_PGM_RSRC2:TIDIG_COMP_CNT: 1
	.section	.text._ZN2at6native12_GLOBAL__N_135GammaBetaBackwardCUDAKernelTemplateIN3c104HalfEfLj32ELj1ELj32ELb1ELb1ELb1EEEvllPKT_S7_PKT0_SA_PS5_SB_,"axG",@progbits,_ZN2at6native12_GLOBAL__N_135GammaBetaBackwardCUDAKernelTemplateIN3c104HalfEfLj32ELj1ELj32ELb1ELb1ELb1EEEvllPKT_S7_PKT0_SA_PS5_SB_,comdat
	.globl	_ZN2at6native12_GLOBAL__N_135GammaBetaBackwardCUDAKernelTemplateIN3c104HalfEfLj32ELj1ELj32ELb1ELb1ELb1EEEvllPKT_S7_PKT0_SA_PS5_SB_ ; -- Begin function _ZN2at6native12_GLOBAL__N_135GammaBetaBackwardCUDAKernelTemplateIN3c104HalfEfLj32ELj1ELj32ELb1ELb1ELb1EEEvllPKT_S7_PKT0_SA_PS5_SB_
	.p2align	8
	.type	_ZN2at6native12_GLOBAL__N_135GammaBetaBackwardCUDAKernelTemplateIN3c104HalfEfLj32ELj1ELj32ELb1ELb1ELb1EEEvllPKT_S7_PKT0_SA_PS5_SB_,@function
_ZN2at6native12_GLOBAL__N_135GammaBetaBackwardCUDAKernelTemplateIN3c104HalfEfLj32ELj1ELj32ELb1ELb1ELb1EEEvllPKT_S7_PKT0_SA_PS5_SB_: ; @_ZN2at6native12_GLOBAL__N_135GammaBetaBackwardCUDAKernelTemplateIN3c104HalfEfLj32ELj1ELj32ELb1ELb1ELb1EEEvllPKT_S7_PKT0_SA_PS5_SB_
; %bb.0:
	s_load_dwordx4 s[8:11], s[4:5], 0x0
	s_load_dwordx2 s[16:17], s[4:5], 0x30
	s_lshl_b32 s18, s7, 5
	s_mov_b32 s19, 0
	v_mov_b32_e32 v2, s18
	v_mov_b32_e32 v3, s19
	s_waitcnt lgkmcnt(0)
	v_cmp_le_i64_e32 vcc, s[8:9], v[2:3]
	v_mov_b32_e32 v3, 0
	s_cbranch_vccnz .LBB175_8
; %bb.1:
	s_load_dword s0, s[4:5], 0x4c
	s_load_dword s22, s[4:5], 0x44
	s_load_dwordx4 s[12:15], s[4:5], 0x10
	s_load_dwordx2 s[2:3], s[4:5], 0x28
	v_lshlrev_b32_e32 v4, 5, v1
	s_waitcnt lgkmcnt(0)
	s_and_b32 s0, s0, 0xffff
	v_mad_u32_u24 v2, v1, s0, v0
	v_and_b32_e32 v5, 63, v2
	v_add_co_u32_e32 v9, vcc, s18, v4
	v_mbcnt_lo_u32_b32 v6, -1, 0
	v_addc_co_u32_e64 v10, s[20:21], 0, 0, vcc
	v_add_co_u32_e32 v4, vcc, v9, v5
	v_cmp_gt_u32_e64 s[0:1], 32, v5
	v_mbcnt_hi_u32_b32 v6, -1, v6
	v_addc_co_u32_e32 v5, vcc, 0, v10, vcc
	v_mul_lo_u32 v12, s11, v9
	v_mul_lo_u32 v13, s10, v10
	v_mad_u64_u32 v[9:10], s[20:21], s10, v9, 0
	v_lshlrev_b32_e32 v6, 2, v6
	v_and_b32_e32 v8, 0x100, v6
	v_lshlrev_b64 v[6:7], 2, v[4:5]
	v_mov_b32_e32 v3, 0
	v_lshl_or_b32 v2, s6, 5, v0
	v_mov_b32_e32 v11, s3
	v_add_co_u32_e32 v6, vcc, s2, v6
	v_add3_u32 v10, v10, v13, v12
	v_addc_co_u32_e32 v7, vcc, v11, v7, vcc
	v_lshlrev_b64 v[9:10], 1, v[9:10]
	v_lshlrev_b64 v[11:12], 1, v[2:3]
	s_lshl_b32 s20, s22, 5
	s_mul_i32 s2, s11, s20
	s_mul_hi_u32 s3, s10, s20
	v_add_co_u32_e32 v2, vcc, v9, v11
	s_mov_b32 s21, s19
	s_add_i32 s3, s3, s2
	s_mul_i32 s2, s10, s20
	v_addc_co_u32_e32 v9, vcc, v10, v12, vcc
	s_lshl_b64 s[22:23], s[20:21], 2
	s_lshl_b64 s[24:25], s[2:3], 1
	;; [unrolled: 1-line block ×3, first 2 shown]
	v_or_b32_e32 v10, 0x44, v8
	v_or_b32_e32 v11, 0x48, v8
	;; [unrolled: 1-line block ×15, first 2 shown]
	s_branch .LBB175_4
.LBB175_2:                              ;   in Loop: Header=BB175_4 Depth=1
	s_or_b64 exec, exec, s[28:29]
.LBB175_3:                              ;   in Loop: Header=BB175_4 Depth=1
	s_or_b64 exec, exec, s[2:3]
	v_mov_b32_e32 v26, s13
	v_add_co_u32_e32 v27, vcc, s12, v2
	v_addc_co_u32_e32 v28, vcc, v26, v9, vcc
	v_mov_b32_e32 v30, s15
	v_add_co_u32_e32 v29, vcc, s14, v2
	v_addc_co_u32_e32 v30, vcc, v30, v9, vcc
	v_mov_b32_e32 v26, s27
	global_load_ushort v33, v[27:28], off
	v_add_co_u32_e32 v27, vcc, s26, v27
	global_load_ushort v34, v[29:30], off
	v_addc_co_u32_e32 v28, vcc, v28, v26, vcc
	v_add_co_u32_e32 v29, vcc, s26, v29
	v_addc_co_u32_e32 v30, vcc, v30, v26, vcc
	global_load_ushort v35, v[27:28], off
	global_load_ushort v36, v[29:30], off
	v_add_co_u32_e32 v27, vcc, s26, v27
	v_addc_co_u32_e32 v28, vcc, v28, v26, vcc
	v_add_co_u32_e32 v29, vcc, s26, v29
	v_addc_co_u32_e32 v30, vcc, v30, v26, vcc
	;; [unrolled: 2-line block ×3, first 2 shown]
	global_load_ushort v37, v[27:28], off
	v_add_co_u32_e32 v27, vcc, s26, v29
	v_addc_co_u32_e32 v28, vcc, v30, v26, vcc
	global_load_ushort v38, v[29:30], off
	global_load_ushort v40, v[27:28], off
	v_add_co_u32_e32 v29, vcc, s26, v31
	v_addc_co_u32_e32 v30, vcc, v32, v26, vcc
	global_load_ushort v39, v[31:32], off
	global_load_ushort v41, v[29:30], off
	v_add_co_u32_e32 v31, vcc, s26, v27
	v_addc_co_u32_e32 v32, vcc, v28, v26, vcc
	v_add_co_u32_e32 v27, vcc, s26, v29
	v_addc_co_u32_e32 v28, vcc, v30, v26, vcc
	global_load_ushort v43, v[27:28], off
	v_add_co_u32_e32 v29, vcc, s26, v31
	v_addc_co_u32_e32 v30, vcc, v32, v26, vcc
	global_load_ushort v42, v[31:32], off
	global_load_ushort v44, v[29:30], off
	v_add_co_u32_e32 v31, vcc, s26, v27
	v_addc_co_u32_e32 v32, vcc, v28, v26, vcc
	v_add_co_u32_e32 v27, vcc, s26, v29
	v_addc_co_u32_e32 v28, vcc, v30, v26, vcc
	;; [unrolled: 2-line block ×3, first 2 shown]
	global_load_ushort v31, v[31:32], off
	s_waitcnt vmcnt(13)
	ds_bpermute_b32 v32, v8, v25
	s_add_u32 s18, s18, s20
	s_addc_u32 s19, s19, 0
	v_add_co_u32_e64 v6, s[2:3], s22, v6
	s_waitcnt vmcnt(12)
	v_cvt_f32_f16_e32 v33, v33
	s_waitcnt vmcnt(11)
	v_cvt_f32_f16_e32 v34, v34
	v_mul_f32_e32 v33, v33, v34
	v_or_b32_e32 v34, 4, v8
	s_waitcnt vmcnt(10)
	v_cvt_f32_f16_e32 v35, v35
	s_waitcnt vmcnt(9)
	v_cvt_f32_f16_e32 v36, v36
	s_waitcnt lgkmcnt(0)
	v_fmac_f32_e32 v3, v33, v32
	global_load_ushort v32, v[27:28], off
	v_add_co_u32_e32 v27, vcc, s26, v27
	ds_bpermute_b32 v34, v34, v25
	v_mul_f32_e32 v33, v35, v36
	v_addc_co_u32_e32 v28, vcc, v28, v26, vcc
	global_load_ushort v35, v[29:30], off
	global_load_ushort v36, v[27:28], off
	v_add_co_u32_e32 v29, vcc, s26, v29
	v_addc_co_u32_e32 v30, vcc, v30, v26, vcc
	v_add_co_u32_e32 v27, vcc, s26, v27
	s_waitcnt lgkmcnt(0)
	v_fmac_f32_e32 v3, v33, v34
	v_addc_co_u32_e32 v28, vcc, v28, v26, vcc
	global_load_ushort v33, v[29:30], off
	global_load_ushort v34, v[27:28], off
	s_waitcnt vmcnt(13)
	v_cvt_f32_f16_e32 v37, v37
	s_waitcnt vmcnt(12)
	v_cvt_f32_f16_e32 v38, v38
	;; [unrolled: 2-line block ×3, first 2 shown]
	v_add_co_u32_e32 v29, vcc, s26, v29
	v_mul_f32_e32 v37, v37, v38
	v_or_b32_e32 v38, 8, v8
	ds_bpermute_b32 v38, v38, v25
	s_waitcnt vmcnt(10)
	v_cvt_f32_f16_e32 v39, v39
	v_addc_co_u32_e32 v30, vcc, v30, v26, vcc
	v_add_co_u32_e32 v27, vcc, s26, v27
	s_waitcnt lgkmcnt(0)
	v_fmac_f32_e32 v3, v37, v38
	v_or_b32_e32 v38, 12, v8
	ds_bpermute_b32 v38, v38, v25
	v_mul_f32_e32 v37, v39, v40
	s_waitcnt vmcnt(9)
	v_cvt_f32_f16_e32 v39, v41
	v_or_b32_e32 v41, 16, v8
	s_waitcnt vmcnt(7)
	v_cvt_f32_f16_e32 v40, v42
	ds_bpermute_b32 v41, v41, v25
	s_waitcnt lgkmcnt(1)
	v_fmac_f32_e32 v3, v37, v38
	v_or_b32_e32 v38, 20, v8
	v_cvt_f32_f16_e32 v42, v43
	s_waitcnt vmcnt(6)
	v_cvt_f32_f16_e32 v43, v44
	v_mul_f32_e32 v37, v39, v40
	ds_bpermute_b32 v38, v38, v25
	v_or_b32_e32 v39, 24, v8
	ds_bpermute_b32 v39, v39, v25
	v_or_b32_e32 v40, 28, v8
	ds_bpermute_b32 v40, v40, v25
	s_waitcnt lgkmcnt(3)
	v_fmac_f32_e32 v3, v37, v41
	v_mul_f32_e32 v37, v42, v43
	s_waitcnt vmcnt(5)
	v_cvt_f32_f16_e32 v31, v31
	s_waitcnt lgkmcnt(2)
	v_fmac_f32_e32 v3, v37, v38
	v_addc_co_u32_e32 v28, vcc, v28, v26, vcc
	s_waitcnt vmcnt(4)
	v_cvt_f32_f16_e32 v32, v32
	v_mul_f32_e32 v31, v31, v32
	s_waitcnt lgkmcnt(1)
	v_fmac_f32_e32 v3, v31, v39
	s_waitcnt vmcnt(3)
	v_cvt_f32_f16_e32 v35, v35
	s_waitcnt vmcnt(2)
	v_cvt_f32_f16_e32 v36, v36
	v_mul_f32_e32 v31, v35, v36
	s_waitcnt lgkmcnt(0)
	v_fmac_f32_e32 v3, v31, v40
	global_load_ushort v35, v[29:30], off
	global_load_ushort v36, v[27:28], off
	s_waitcnt vmcnt(3)
	v_cvt_f32_f16_e32 v31, v33
	s_waitcnt vmcnt(2)
	v_cvt_f32_f16_e32 v32, v34
	v_mul_f32_e32 v33, v31, v32
	v_or_b32_e32 v31, 32, v8
	ds_bpermute_b32 v34, v31, v25
	v_add_co_u32_e32 v31, vcc, s26, v29
	v_addc_co_u32_e32 v32, vcc, v30, v26, vcc
	v_add_co_u32_e32 v29, vcc, s26, v27
	v_addc_co_u32_e32 v30, vcc, v28, v26, vcc
	;; [unrolled: 2-line block ×3, first 2 shown]
	global_load_ushort v37, v[31:32], off
	v_add_co_u32_e32 v31, vcc, s26, v29
	v_addc_co_u32_e32 v32, vcc, v30, v26, vcc
	global_load_ushort v38, v[29:30], off
	v_add_co_u32_e32 v29, vcc, s26, v27
	v_addc_co_u32_e32 v30, vcc, v28, v26, vcc
	;; [unrolled: 3-line block ×4, first 2 shown]
	global_load_ushort v41, v[29:30], off
	v_add_co_u32_e32 v29, vcc, s26, v27
	global_load_ushort v42, v[27:28], off
	v_addc_co_u32_e32 v30, vcc, v28, v26, vcc
	v_add_co_u32_e32 v27, vcc, s26, v31
	v_addc_co_u32_e32 v28, vcc, v32, v26, vcc
	global_load_ushort v43, v[31:32], off
	global_load_ushort v44, v[29:30], off
	v_add_co_u32_e32 v29, vcc, s26, v29
	v_addc_co_u32_e32 v30, vcc, v30, v26, vcc
	global_load_ushort v31, v[27:28], off
	global_load_ushort v32, v[29:30], off
	v_add_co_u32_e32 v27, vcc, s26, v27
	v_addc_co_u32_e32 v28, vcc, v28, v26, vcc
	v_add_co_u32_e32 v29, vcc, s26, v29
	s_waitcnt lgkmcnt(0)
	v_fmac_f32_e32 v3, v33, v34
	v_addc_co_u32_e32 v30, vcc, v30, v26, vcc
	global_load_ushort v33, v[27:28], off
	global_load_ushort v34, v[29:30], off
	v_add_co_u32_e32 v27, vcc, s26, v27
	v_addc_co_u32_e32 v28, vcc, v28, v26, vcc
	v_add_co_u32_e32 v29, vcc, s26, v29
	v_addc_co_u32_e32 v30, vcc, v30, v26, vcc
	s_waitcnt vmcnt(13)
	v_cvt_f32_f16_e32 v35, v35
	s_waitcnt vmcnt(12)
	v_cvt_f32_f16_e32 v36, v36
	v_mul_f32_e32 v35, v35, v36
	v_or_b32_e32 v36, 36, v8
	ds_bpermute_b32 v36, v36, v25
	s_waitcnt lgkmcnt(0)
	v_fmac_f32_e32 v3, v35, v36
	v_or_b32_e32 v36, 40, v8
	ds_bpermute_b32 v36, v36, v25
	s_waitcnt vmcnt(11)
	v_cvt_f32_f16_e32 v37, v37
	s_waitcnt vmcnt(10)
	v_cvt_f32_f16_e32 v38, v38
	v_mul_f32_e32 v35, v37, v38
	s_waitcnt vmcnt(9)
	v_cvt_f32_f16_e32 v37, v39
	v_or_b32_e32 v39, 44, v8
	ds_bpermute_b32 v39, v39, v25
	s_waitcnt lgkmcnt(1)
	v_fmac_f32_e32 v3, v35, v36
	v_or_b32_e32 v36, 48, v8
	s_waitcnt vmcnt(8)
	v_cvt_f32_f16_e32 v38, v40
	ds_bpermute_b32 v36, v36, v25
	v_mul_f32_e32 v35, v37, v38
	s_waitcnt vmcnt(7)
	v_cvt_f32_f16_e32 v40, v41
	s_waitcnt lgkmcnt(1)
	v_fmac_f32_e32 v3, v35, v39
	v_or_b32_e32 v39, 52, v8
	s_waitcnt vmcnt(6)
	v_cvt_f32_f16_e32 v41, v42
	ds_bpermute_b32 v39, v39, v25
	v_mul_f32_e32 v35, v40, v41
	v_or_b32_e32 v40, 56, v8
	s_waitcnt vmcnt(5)
	v_cvt_f32_f16_e32 v37, v43
	s_waitcnt vmcnt(4)
	v_cvt_f32_f16_e32 v38, v44
	ds_bpermute_b32 v40, v40, v25
	s_waitcnt lgkmcnt(2)
	v_fmac_f32_e32 v3, v35, v36
	global_load_ushort v36, v[29:30], off
	s_waitcnt vmcnt(4)
	v_cvt_f32_f16_e32 v31, v31
	s_waitcnt vmcnt(3)
	v_cvt_f32_f16_e32 v32, v32
	v_mul_f32_e32 v35, v37, v38
	s_waitcnt lgkmcnt(1)
	v_fmac_f32_e32 v3, v35, v39
	global_load_ushort v35, v[27:28], off
	v_mul_f32_e32 v31, v31, v32
	s_waitcnt lgkmcnt(0)
	v_fmac_f32_e32 v3, v31, v40
	s_waitcnt vmcnt(3)
	v_cvt_f32_f16_e32 v31, v33
	s_waitcnt vmcnt(2)
	v_cvt_f32_f16_e32 v32, v34
	v_mul_f32_e32 v33, v31, v32
	v_or_b32_e32 v31, 60, v8
	ds_bpermute_b32 v34, v31, v25
	v_add_co_u32_e32 v31, vcc, s26, v27
	v_addc_co_u32_e32 v32, vcc, v28, v26, vcc
	v_add_co_u32_e32 v27, vcc, s26, v29
	v_addc_co_u32_e32 v28, vcc, v30, v26, vcc
	;; [unrolled: 2-line block ×3, first 2 shown]
	global_load_ushort v37, v[31:32], off
	v_add_co_u32_e32 v31, vcc, s26, v27
	v_addc_co_u32_e32 v32, vcc, v28, v26, vcc
	global_load_ushort v38, v[27:28], off
	v_add_co_u32_e32 v27, vcc, s26, v29
	v_addc_co_u32_e32 v28, vcc, v30, v26, vcc
	;; [unrolled: 3-line block ×6, first 2 shown]
	global_load_ushort v43, v[31:32], off
	global_load_ushort v44, v[27:28], off
	v_add_co_u32_e32 v27, vcc, s26, v27
	v_addc_co_u32_e32 v28, vcc, v28, v26, vcc
	global_load_ushort v31, v[29:30], off
	global_load_ushort v32, v[27:28], off
	v_add_co_u32_e32 v29, vcc, s26, v29
	v_addc_co_u32_e32 v30, vcc, v30, v26, vcc
	v_add_co_u32_e32 v27, vcc, s26, v27
	s_waitcnt lgkmcnt(0)
	v_fmac_f32_e32 v3, v33, v34
	v_addc_co_u32_e32 v28, vcc, v28, v26, vcc
	global_load_ushort v33, v[29:30], off
	global_load_ushort v34, v[27:28], off
	v_add_co_u32_e32 v29, vcc, s26, v29
	v_addc_co_u32_e32 v30, vcc, v30, v26, vcc
	s_waitcnt vmcnt(13)
	v_cvt_f32_f16_e32 v36, v36
	v_add_co_u32_e32 v27, vcc, s26, v27
	v_addc_co_u32_e32 v28, vcc, v28, v26, vcc
	s_waitcnt vmcnt(12)
	v_cvt_f32_f16_e32 v35, v35
	v_mul_f32_e32 v35, v35, v36
	v_or_b32_e32 v36, 64, v8
	ds_bpermute_b32 v36, v36, v25
	s_waitcnt lgkmcnt(0)
	v_fmac_f32_e32 v3, v35, v36
	ds_bpermute_b32 v36, v10, v25
	s_waitcnt vmcnt(11)
	v_cvt_f32_f16_e32 v37, v37
	s_waitcnt vmcnt(10)
	v_cvt_f32_f16_e32 v38, v38
	v_mul_f32_e32 v35, v37, v38
	s_waitcnt vmcnt(9)
	v_cvt_f32_f16_e32 v37, v39
	ds_bpermute_b32 v39, v11, v25
	s_waitcnt lgkmcnt(1)
	v_fmac_f32_e32 v3, v35, v36
	ds_bpermute_b32 v36, v12, v25
	s_waitcnt vmcnt(8)
	v_cvt_f32_f16_e32 v38, v40
	v_mul_f32_e32 v35, v37, v38
	s_waitcnt vmcnt(7)
	v_cvt_f32_f16_e32 v40, v41
	s_waitcnt lgkmcnt(1)
	v_fmac_f32_e32 v3, v35, v39
	ds_bpermute_b32 v39, v13, v25
	s_waitcnt vmcnt(6)
	v_cvt_f32_f16_e32 v41, v42
	s_waitcnt vmcnt(5)
	v_cvt_f32_f16_e32 v37, v43
	;; [unrolled: 2-line block ×3, first 2 shown]
	v_mul_f32_e32 v35, v40, v41
	ds_bpermute_b32 v40, v14, v25
	s_waitcnt lgkmcnt(2)
	v_fmac_f32_e32 v3, v35, v36
	s_waitcnt vmcnt(3)
	v_cvt_f32_f16_e32 v31, v31
	s_waitcnt vmcnt(2)
	v_cvt_f32_f16_e32 v32, v32
	v_mul_f32_e32 v35, v37, v38
	s_waitcnt lgkmcnt(1)
	v_fmac_f32_e32 v3, v35, v39
	v_mul_f32_e32 v31, v31, v32
	s_waitcnt lgkmcnt(0)
	v_fmac_f32_e32 v3, v31, v40
	s_waitcnt vmcnt(1)
	v_cvt_f32_f16_e32 v31, v33
	s_waitcnt vmcnt(0)
	v_cvt_f32_f16_e32 v32, v34
	ds_bpermute_b32 v33, v15, v25
	global_load_ushort v34, v[27:28], off
	v_mul_f32_e32 v31, v31, v32
	s_waitcnt lgkmcnt(0)
	v_fmac_f32_e32 v3, v31, v33
	v_add_co_u32_e32 v31, vcc, s26, v29
	v_addc_co_u32_e32 v32, vcc, v30, v26, vcc
	global_load_ushort v33, v[29:30], off
	v_add_co_u32_e32 v29, vcc, s26, v27
	v_addc_co_u32_e32 v30, vcc, v28, v26, vcc
	v_add_co_u32_e32 v27, vcc, s26, v31
	v_addc_co_u32_e32 v28, vcc, v32, v26, vcc
	global_load_ushort v35, v[31:32], off
	v_add_co_u32_e32 v31, vcc, s26, v29
	v_addc_co_u32_e32 v32, vcc, v30, v26, vcc
	global_load_ushort v36, v[29:30], off
	;; [unrolled: 3-line block ×14, first 2 shown]
	s_nop 0
	global_load_ushort v29, v[27:28], off
	global_load_ushort v30, v[31:32], off
	s_waitcnt vmcnt(17)
	v_cvt_f32_f16_e32 v28, v34
	s_waitcnt vmcnt(16)
	v_cvt_f32_f16_e32 v27, v33
	ds_bpermute_b32 v33, v17, v25
	v_mul_f32_e32 v27, v27, v28
	ds_bpermute_b32 v28, v16, v25
	s_waitcnt vmcnt(15)
	v_cvt_f32_f16_e32 v31, v35
	s_waitcnt lgkmcnt(0)
	v_fmac_f32_e32 v3, v27, v28
	ds_bpermute_b32 v28, v18, v25
	s_waitcnt vmcnt(14)
	v_cvt_f32_f16_e32 v32, v36
	v_mul_f32_e32 v27, v31, v32
	s_waitcnt vmcnt(13)
	v_cvt_f32_f16_e32 v34, v37
	v_fmac_f32_e32 v3, v27, v33
	ds_bpermute_b32 v33, v19, v25
	s_waitcnt vmcnt(12)
	v_cvt_f32_f16_e32 v35, v38
	v_mul_f32_e32 v27, v34, v35
	s_waitcnt vmcnt(11)
	v_cvt_f32_f16_e32 v31, v39
	s_waitcnt lgkmcnt(1)
	v_fmac_f32_e32 v3, v27, v28
	ds_bpermute_b32 v28, v20, v25
	s_waitcnt vmcnt(10)
	v_cvt_f32_f16_e32 v32, v40
	v_mul_f32_e32 v27, v31, v32
	s_waitcnt vmcnt(9)
	v_cvt_f32_f16_e32 v34, v41
	s_waitcnt lgkmcnt(1)
	;; [unrolled: 8-line block ×3, first 2 shown]
	v_fmac_f32_e32 v3, v27, v28
	ds_bpermute_b32 v28, v22, v25
	s_waitcnt vmcnt(6)
	v_cvt_f32_f16_e32 v32, v44
	v_mul_f32_e32 v27, v31, v32
	s_waitcnt vmcnt(5)
	v_cvt_f32_f16_e32 v34, v45
	ds_bpermute_b32 v32, v23, v25
	ds_bpermute_b32 v25, v24, v25
	s_waitcnt lgkmcnt(3)
	v_fmac_f32_e32 v3, v27, v33
	s_waitcnt vmcnt(4)
	v_cvt_f32_f16_e32 v35, v46
	v_mul_f32_e32 v27, v34, v35
	s_waitcnt vmcnt(3)
	v_cvt_f32_f16_e32 v31, v47
	s_waitcnt lgkmcnt(2)
	v_fmac_f32_e32 v3, v27, v28
	s_waitcnt vmcnt(2)
	v_cvt_f32_f16_e32 v26, v26
	s_waitcnt vmcnt(1)
	v_cvt_f32_f16_e32 v29, v29
	;; [unrolled: 2-line block ×3, first 2 shown]
	v_mul_f32_e32 v26, v31, v26
	s_waitcnt lgkmcnt(1)
	v_fmac_f32_e32 v3, v26, v32
	v_mul_f32_e32 v26, v29, v30
	s_waitcnt lgkmcnt(0)
	v_fmac_f32_e32 v3, v26, v25
	v_mov_b32_e32 v26, s9
	v_mov_b32_e32 v25, s8
	v_cmp_lt_i64_e32 vcc, s[18:19], v[25:26]
	v_mov_b32_e32 v25, s23
	v_addc_co_u32_e64 v7, s[2:3], v7, v25, s[2:3]
	v_mov_b32_e32 v25, s25
	v_add_co_u32_e64 v2, s[2:3], s24, v2
	v_addc_co_u32_e64 v9, s[2:3], v9, v25, s[2:3]
	v_add_co_u32_e64 v4, s[2:3], s20, v4
	v_addc_co_u32_e64 v5, s[2:3], 0, v5, s[2:3]
	s_cbranch_vccz .LBB175_7
.LBB175_4:                              ; =>This Inner Loop Header: Depth=1
	v_mov_b32_e32 v25, 0
	s_and_saveexec_b64 s[2:3], s[0:1]
	s_cbranch_execz .LBB175_3
; %bb.5:                                ;   in Loop: Header=BB175_4 Depth=1
	v_cmp_gt_i64_e32 vcc, s[8:9], v[4:5]
	v_mov_b32_e32 v25, 0
	s_and_saveexec_b64 s[28:29], vcc
	s_cbranch_execz .LBB175_2
; %bb.6:                                ;   in Loop: Header=BB175_4 Depth=1
	global_load_dword v25, v[6:7], off
	s_branch .LBB175_2
.LBB175_7:
	v_cvt_f16_f32_e32 v3, v3
.LBB175_8:
	s_cmp_eq_u64 s[16:17], 0
	s_cbranch_scc1 .LBB175_10
; %bb.9:
	s_load_dword s0, s[4:5], 0x4c
	v_mov_b32_e32 v2, 0
	v_mov_b32_e32 v4, s7
	s_mov_b32 s7, 0
	v_mov_b32_e32 v6, s17
	s_waitcnt lgkmcnt(0)
	s_lshr_b32 s0, s0, 16
	v_mad_u64_u32 v[1:2], s[0:1], s0, v4, v[1:2]
	v_lshlrev_b32_e32 v0, 1, v0
	v_mul_lo_u32 v4, v2, s10
	v_mul_lo_u32 v5, v1, s11
	v_mad_u64_u32 v[1:2], s[0:1], v1, s10, 0
	s_lshl_b64 s[0:1], s[6:7], 6
	v_add3_u32 v2, v2, v5, v4
	v_lshlrev_b64 v[1:2], 1, v[1:2]
	v_mov_b32_e32 v4, s1
	v_add_co_u32_e32 v1, vcc, s16, v1
	v_addc_co_u32_e32 v2, vcc, v6, v2, vcc
	v_add_co_u32_e32 v1, vcc, s0, v1
	v_addc_co_u32_e32 v2, vcc, v2, v4, vcc
	;; [unrolled: 2-line block ×3, first 2 shown]
	global_store_short v[0:1], v3, off
.LBB175_10:
	s_endpgm
	.section	.rodata,"a",@progbits
	.p2align	6, 0x0
	.amdhsa_kernel _ZN2at6native12_GLOBAL__N_135GammaBetaBackwardCUDAKernelTemplateIN3c104HalfEfLj32ELj1ELj32ELb1ELb1ELb1EEEvllPKT_S7_PKT0_SA_PS5_SB_
		.amdhsa_group_segment_fixed_size 0
		.amdhsa_private_segment_fixed_size 0
		.amdhsa_kernarg_size 320
		.amdhsa_user_sgpr_count 6
		.amdhsa_user_sgpr_private_segment_buffer 1
		.amdhsa_user_sgpr_dispatch_ptr 0
		.amdhsa_user_sgpr_queue_ptr 0
		.amdhsa_user_sgpr_kernarg_segment_ptr 1
		.amdhsa_user_sgpr_dispatch_id 0
		.amdhsa_user_sgpr_flat_scratch_init 0
		.amdhsa_user_sgpr_private_segment_size 0
		.amdhsa_uses_dynamic_stack 0
		.amdhsa_system_sgpr_private_segment_wavefront_offset 0
		.amdhsa_system_sgpr_workgroup_id_x 1
		.amdhsa_system_sgpr_workgroup_id_y 1
		.amdhsa_system_sgpr_workgroup_id_z 0
		.amdhsa_system_sgpr_workgroup_info 0
		.amdhsa_system_vgpr_workitem_id 1
		.amdhsa_next_free_vgpr 48
		.amdhsa_next_free_sgpr 30
		.amdhsa_reserve_vcc 1
		.amdhsa_reserve_flat_scratch 0
		.amdhsa_float_round_mode_32 0
		.amdhsa_float_round_mode_16_64 0
		.amdhsa_float_denorm_mode_32 3
		.amdhsa_float_denorm_mode_16_64 3
		.amdhsa_dx10_clamp 1
		.amdhsa_ieee_mode 1
		.amdhsa_fp16_overflow 0
		.amdhsa_exception_fp_ieee_invalid_op 0
		.amdhsa_exception_fp_denorm_src 0
		.amdhsa_exception_fp_ieee_div_zero 0
		.amdhsa_exception_fp_ieee_overflow 0
		.amdhsa_exception_fp_ieee_underflow 0
		.amdhsa_exception_fp_ieee_inexact 0
		.amdhsa_exception_int_div_zero 0
	.end_amdhsa_kernel
	.section	.text._ZN2at6native12_GLOBAL__N_135GammaBetaBackwardCUDAKernelTemplateIN3c104HalfEfLj32ELj1ELj32ELb1ELb1ELb1EEEvllPKT_S7_PKT0_SA_PS5_SB_,"axG",@progbits,_ZN2at6native12_GLOBAL__N_135GammaBetaBackwardCUDAKernelTemplateIN3c104HalfEfLj32ELj1ELj32ELb1ELb1ELb1EEEvllPKT_S7_PKT0_SA_PS5_SB_,comdat
.Lfunc_end175:
	.size	_ZN2at6native12_GLOBAL__N_135GammaBetaBackwardCUDAKernelTemplateIN3c104HalfEfLj32ELj1ELj32ELb1ELb1ELb1EEEvllPKT_S7_PKT0_SA_PS5_SB_, .Lfunc_end175-_ZN2at6native12_GLOBAL__N_135GammaBetaBackwardCUDAKernelTemplateIN3c104HalfEfLj32ELj1ELj32ELb1ELb1ELb1EEEvllPKT_S7_PKT0_SA_PS5_SB_
                                        ; -- End function
	.set _ZN2at6native12_GLOBAL__N_135GammaBetaBackwardCUDAKernelTemplateIN3c104HalfEfLj32ELj1ELj32ELb1ELb1ELb1EEEvllPKT_S7_PKT0_SA_PS5_SB_.num_vgpr, 48
	.set _ZN2at6native12_GLOBAL__N_135GammaBetaBackwardCUDAKernelTemplateIN3c104HalfEfLj32ELj1ELj32ELb1ELb1ELb1EEEvllPKT_S7_PKT0_SA_PS5_SB_.num_agpr, 0
	.set _ZN2at6native12_GLOBAL__N_135GammaBetaBackwardCUDAKernelTemplateIN3c104HalfEfLj32ELj1ELj32ELb1ELb1ELb1EEEvllPKT_S7_PKT0_SA_PS5_SB_.numbered_sgpr, 30
	.set _ZN2at6native12_GLOBAL__N_135GammaBetaBackwardCUDAKernelTemplateIN3c104HalfEfLj32ELj1ELj32ELb1ELb1ELb1EEEvllPKT_S7_PKT0_SA_PS5_SB_.num_named_barrier, 0
	.set _ZN2at6native12_GLOBAL__N_135GammaBetaBackwardCUDAKernelTemplateIN3c104HalfEfLj32ELj1ELj32ELb1ELb1ELb1EEEvllPKT_S7_PKT0_SA_PS5_SB_.private_seg_size, 0
	.set _ZN2at6native12_GLOBAL__N_135GammaBetaBackwardCUDAKernelTemplateIN3c104HalfEfLj32ELj1ELj32ELb1ELb1ELb1EEEvllPKT_S7_PKT0_SA_PS5_SB_.uses_vcc, 1
	.set _ZN2at6native12_GLOBAL__N_135GammaBetaBackwardCUDAKernelTemplateIN3c104HalfEfLj32ELj1ELj32ELb1ELb1ELb1EEEvllPKT_S7_PKT0_SA_PS5_SB_.uses_flat_scratch, 0
	.set _ZN2at6native12_GLOBAL__N_135GammaBetaBackwardCUDAKernelTemplateIN3c104HalfEfLj32ELj1ELj32ELb1ELb1ELb1EEEvllPKT_S7_PKT0_SA_PS5_SB_.has_dyn_sized_stack, 0
	.set _ZN2at6native12_GLOBAL__N_135GammaBetaBackwardCUDAKernelTemplateIN3c104HalfEfLj32ELj1ELj32ELb1ELb1ELb1EEEvllPKT_S7_PKT0_SA_PS5_SB_.has_recursion, 0
	.set _ZN2at6native12_GLOBAL__N_135GammaBetaBackwardCUDAKernelTemplateIN3c104HalfEfLj32ELj1ELj32ELb1ELb1ELb1EEEvllPKT_S7_PKT0_SA_PS5_SB_.has_indirect_call, 0
	.section	.AMDGPU.csdata,"",@progbits
; Kernel info:
; codeLenInByte = 2932
; TotalNumSgprs: 34
; NumVgprs: 48
; ScratchSize: 0
; MemoryBound: 0
; FloatMode: 240
; IeeeMode: 1
; LDSByteSize: 0 bytes/workgroup (compile time only)
; SGPRBlocks: 4
; VGPRBlocks: 11
; NumSGPRsForWavesPerEU: 34
; NumVGPRsForWavesPerEU: 48
; Occupancy: 5
; WaveLimiterHint : 0
; COMPUTE_PGM_RSRC2:SCRATCH_EN: 0
; COMPUTE_PGM_RSRC2:USER_SGPR: 6
; COMPUTE_PGM_RSRC2:TRAP_HANDLER: 0
; COMPUTE_PGM_RSRC2:TGID_X_EN: 1
; COMPUTE_PGM_RSRC2:TGID_Y_EN: 1
; COMPUTE_PGM_RSRC2:TGID_Z_EN: 0
; COMPUTE_PGM_RSRC2:TIDIG_COMP_CNT: 1
	.section	.text._ZN2at6native12_GLOBAL__N_135GammaBetaBackwardCUDAKernelTemplateIN3c104HalfEfLj32ELj1ELj32ELb1ELb0ELb1EEEvllPKT_S7_PKT0_SA_PS5_SB_,"axG",@progbits,_ZN2at6native12_GLOBAL__N_135GammaBetaBackwardCUDAKernelTemplateIN3c104HalfEfLj32ELj1ELj32ELb1ELb0ELb1EEEvllPKT_S7_PKT0_SA_PS5_SB_,comdat
	.globl	_ZN2at6native12_GLOBAL__N_135GammaBetaBackwardCUDAKernelTemplateIN3c104HalfEfLj32ELj1ELj32ELb1ELb0ELb1EEEvllPKT_S7_PKT0_SA_PS5_SB_ ; -- Begin function _ZN2at6native12_GLOBAL__N_135GammaBetaBackwardCUDAKernelTemplateIN3c104HalfEfLj32ELj1ELj32ELb1ELb0ELb1EEEvllPKT_S7_PKT0_SA_PS5_SB_
	.p2align	8
	.type	_ZN2at6native12_GLOBAL__N_135GammaBetaBackwardCUDAKernelTemplateIN3c104HalfEfLj32ELj1ELj32ELb1ELb0ELb1EEEvllPKT_S7_PKT0_SA_PS5_SB_,@function
_ZN2at6native12_GLOBAL__N_135GammaBetaBackwardCUDAKernelTemplateIN3c104HalfEfLj32ELj1ELj32ELb1ELb0ELb1EEEvllPKT_S7_PKT0_SA_PS5_SB_: ; @_ZN2at6native12_GLOBAL__N_135GammaBetaBackwardCUDAKernelTemplateIN3c104HalfEfLj32ELj1ELj32ELb1ELb0ELb1EEEvllPKT_S7_PKT0_SA_PS5_SB_
; %bb.0:
	s_mov_b64 s[38:39], s[2:3]
	s_mov_b64 s[36:37], s[0:1]
	s_add_u32 s36, s36, s8
	s_mov_b32 s8, s7
	s_load_dwordx8 s[12:19], s[4:5], 0x0
	s_load_dwordx2 s[20:21], s[4:5], 0x28
	s_addc_u32 s37, s37, 0
	s_lshl_b32 s22, s8, 5
	s_lshl_b32 s7, s6, 5
	s_mov_b32 s23, 0
	v_mov_b32_e32 v2, s22
	s_or_b32 s0, s7, 31
	v_mov_b32_e32 v3, s23
	v_mov_b32_e32 v129, s0
	;; [unrolled: 1-line block ×3, first 2 shown]
	s_waitcnt lgkmcnt(0)
	v_cmp_gt_i64_e64 s[0:1], s[12:13], v[2:3]
	v_cmp_le_i64_e32 vcc, s[14:15], v[129:130]
	v_cndmask_b32_e64 v2, 0, 1, s[0:1]
	v_cmp_ne_u32_e64 s[0:1], 1, v2
	s_cbranch_vccz .LBB176_145
; %bb.1:
	s_and_b64 vcc, exec, s[0:1]
	s_cbranch_vccnz .LBB176_146
; %bb.2:
	v_lshlrev_b32_e32 v204, 5, v1
	v_add_co_u32_e32 v8, vcc, s22, v204
	v_addc_co_u32_e64 v9, s[2:3], 0, 0, vcc
	v_mul_lo_u32 v10, s15, v8
	v_mul_lo_u32 v11, s14, v9
	v_mad_u64_u32 v[6:7], s[2:3], s14, v8, 0
	s_load_dword s9, s[4:5], 0x44
	v_add_u32_e32 v2, s7, v0
	v_add3_u32 v7, v7, v11, v10
	v_lshlrev_b64 v[11:12], 1, v[6:7]
	v_mov_b32_e32 v3, 0
	s_add_u32 s24, s4, 64
	v_cmp_gt_i64_e64 s[2:3], s[14:15], v[2:3]
	v_lshlrev_b64 v[4:5], 1, v[2:3]
	v_mov_b32_e32 v10, s17
	v_add_co_u32_e32 v2, vcc, s16, v11
	s_addc_u32 s25, s5, 0
	s_waitcnt lgkmcnt(0)
	s_lshl_b32 s9, s9, 5
	v_addc_co_u32_e32 v10, vcc, v10, v12, vcc
	s_mul_i32 s10, s15, s9
	s_mul_hi_u32 s11, s14, s9
	v_add_co_u32_e32 v13, vcc, 31, v8
	s_add_i32 s11, s11, s10
	s_mul_i32 s10, s14, s9
	v_addc_co_u32_e32 v14, vcc, 0, v9, vcc
	s_lshl_b64 s[26:27], s[10:11], 1
	v_mul_lo_u32 v16, s15, v13
	v_mul_lo_u32 v17, s14, v14
	v_mad_u64_u32 v[13:14], s[10:11], s14, v13, 0
	v_mov_b32_e32 v15, s19
	v_add_co_u32_e32 v11, vcc, s18, v11
	v_add3_u32 v14, v14, v17, v16
	v_addc_co_u32_e32 v12, vcc, v15, v12, vcc
	v_lshlrev_b64 v[15:16], 1, v[13:14]
	v_mov_b32_e32 v14, s17
	v_add_co_u32_e32 v13, vcc, s16, v15
	v_addc_co_u32_e32 v14, vcc, v14, v16, vcc
	v_add_co_u32_e32 v17, vcc, 30, v8
	v_addc_co_u32_e32 v18, vcc, 0, v9, vcc
	v_mul_lo_u32 v20, s15, v17
	v_mul_lo_u32 v21, s14, v18
	v_mad_u64_u32 v[17:18], s[10:11], s14, v17, 0
	v_mov_b32_e32 v19, s19
	v_add_co_u32_e32 v15, vcc, s18, v15
	v_add3_u32 v18, v18, v21, v20
	v_addc_co_u32_e32 v16, vcc, v19, v16, vcc
	v_lshlrev_b64 v[19:20], 1, v[17:18]
	v_mov_b32_e32 v18, s17
	v_add_co_u32_e32 v17, vcc, s16, v19
	v_addc_co_u32_e32 v18, vcc, v18, v20, vcc
	v_add_co_u32_e32 v21, vcc, 29, v8
	v_addc_co_u32_e32 v22, vcc, 0, v9, vcc
	;; [unrolled: 13-line block ×29, first 2 shown]
	v_mul_lo_u32 v130, s15, v8
	v_mul_lo_u32 v131, s14, v9
	v_mad_u64_u32 v[8:9], s[10:11], s14, v8, 0
	v_mov_b32_e32 v129, s19
	v_add_co_u32_e32 v127, vcc, s18, v127
	v_add3_u32 v9, v9, v131, v130
	v_lshlrev_b64 v[8:9], 1, v[8:9]
	v_addc_co_u32_e32 v128, vcc, v129, v128, vcc
	v_mov_b32_e32 v130, s17
	v_add_co_u32_e32 v129, vcc, s16, v8
	v_addc_co_u32_e32 v131, vcc, v130, v9, vcc
	v_mov_b32_e32 v130, s19
	v_add_co_u32_e32 v132, vcc, s18, v8
	;; [unrolled: 3-line block ×3, first 2 shown]
	v_addc_co_u32_e32 v7, vcc, v7, v8, vcc
	v_lshlrev_b64 v[6:7], 1, v[6:7]
	v_mov_b32_e32 v8, s17
	v_add_co_u32_e32 v134, vcc, s16, v6
	v_addc_co_u32_e32 v135, vcc, v8, v7, vcc
	v_add_co_u32_e32 v136, vcc, s18, v6
	v_mbcnt_lo_u32_b32 v6, -1, 0
	v_mbcnt_hi_u32_b32 v6, -1, v6
	v_mov_b32_e32 v8, s19
	v_lshlrev_b32_e32 v6, 2, v6
	v_mov_b32_e32 v203, v3
	s_mov_b64 s[28:29], 31
	v_addc_co_u32_e32 v137, vcc, v8, v7, vcc
	v_and_b32_e32 v138, 0x100, v6
	s_mov_b64 s[30:31], s[22:23]
	v_mov_b32_e32 v139, 0
.LBB176_3:                              ; =>This Inner Loop Header: Depth=1
	s_add_u32 s10, s22, s28
	v_mov_b32_e32 v6, s12
	s_addc_u32 s11, 0, s29
	v_mov_b32_e32 v7, s13
	v_cmp_ge_i64_e32 vcc, s[10:11], v[6:7]
	v_add_co_u32_e64 v6, s[10:11], s22, v204
	v_addc_co_u32_e64 v7, s[10:11], 0, v203, s[10:11]
	s_mov_b64 s[10:11], -1
                                        ; implicit-def: $vgpr130
                                        ; implicit-def: $vgpr183
                                        ; implicit-def: $vgpr8
	s_cbranch_vccz .LBB176_73
; %bb.4:                                ;   in Loop: Header=BB176_3 Depth=1
	s_load_dword s10, s[24:25], 0xc
	v_mov_b32_e32 v130, 0
	v_mov_b32_e32 v140, 0
	s_waitcnt lgkmcnt(0)
	s_and_b32 s10, s10, 0xffff
	v_mad_u32_u24 v8, v1, s10, v0
	v_and_b32_e32 v8, 63, v8
	v_cmp_gt_u32_e32 vcc, 32, v8
	s_and_saveexec_b64 s[10:11], vcc
	s_cbranch_execz .LBB176_8
; %bb.5:                                ;   in Loop: Header=BB176_3 Depth=1
	v_add_co_u32_e32 v8, vcc, v6, v8
	v_addc_co_u32_e32 v9, vcc, 0, v7, vcc
	v_cmp_gt_i64_e32 vcc, s[12:13], v[8:9]
	v_mov_b32_e32 v140, 0
	s_and_saveexec_b64 s[34:35], vcc
	s_cbranch_execz .LBB176_7
; %bb.6:                                ;   in Loop: Header=BB176_3 Depth=1
	v_lshlrev_b64 v[8:9], 2, v[8:9]
	v_mov_b32_e32 v140, s21
	v_add_co_u32_e32 v8, vcc, s20, v8
	v_addc_co_u32_e32 v9, vcc, v140, v9, vcc
	global_load_dword v140, v[8:9], off
.LBB176_7:                              ;   in Loop: Header=BB176_3 Depth=1
	s_or_b64 exec, exec, s[34:35]
.LBB176_8:                              ;   in Loop: Header=BB176_3 Depth=1
	s_or_b64 exec, exec, s[10:11]
	v_cmp_gt_i64_e32 vcc, s[12:13], v[6:7]
	v_mov_b32_e32 v8, 0
	s_and_b64 s[34:35], s[2:3], vcc
	s_and_saveexec_b64 s[10:11], s[34:35]
	s_cbranch_execz .LBB176_10
; %bb.9:                                ;   in Loop: Header=BB176_3 Depth=1
	v_add_co_u32_e32 v8, vcc, v2, v4
	v_addc_co_u32_e32 v9, vcc, v10, v5, vcc
	global_load_ushort v130, v[8:9], off
	v_add_co_u32_e32 v8, vcc, v11, v4
	v_addc_co_u32_e32 v9, vcc, v12, v5, vcc
	global_load_ushort v8, v[8:9], off
	s_waitcnt vmcnt(1)
	v_cvt_f32_f16_e32 v130, v130
	s_waitcnt vmcnt(0)
	v_cvt_f32_f16_e32 v8, v8
.LBB176_10:                             ;   in Loop: Header=BB176_3 Depth=1
	s_or_b64 exec, exec, s[10:11]
	v_add_co_u32_e32 v141, vcc, 1, v6
	v_addc_co_u32_e32 v142, vcc, 0, v7, vcc
	v_cmp_gt_i64_e32 vcc, s[12:13], v[141:142]
	v_mov_b32_e32 v9, 0
	s_and_b64 s[34:35], s[2:3], vcc
	v_mov_b32_e32 v141, 0
	v_mov_b32_e32 v142, 0
	s_and_saveexec_b64 s[10:11], s[34:35]
	s_cbranch_execz .LBB176_12
; %bb.11:                               ;   in Loop: Header=BB176_3 Depth=1
	v_add_co_u32_e32 v141, vcc, v134, v4
	v_addc_co_u32_e32 v142, vcc, v135, v5, vcc
	global_load_ushort v143, v[141:142], off
	v_add_co_u32_e32 v141, vcc, v136, v4
	v_addc_co_u32_e32 v142, vcc, v137, v5, vcc
	global_load_ushort v142, v[141:142], off
	s_waitcnt vmcnt(1)
	v_cvt_f32_f16_e32 v141, v143
	s_waitcnt vmcnt(0)
	v_cvt_f32_f16_e32 v142, v142
.LBB176_12:                             ;   in Loop: Header=BB176_3 Depth=1
	s_or_b64 exec, exec, s[10:11]
	v_add_co_u32_e32 v143, vcc, 2, v6
	v_addc_co_u32_e32 v144, vcc, 0, v7, vcc
	v_cmp_gt_i64_e32 vcc, s[12:13], v[143:144]
	v_mov_b32_e32 v143, 0
	s_and_b64 s[34:35], s[2:3], vcc
	s_and_saveexec_b64 s[10:11], s[34:35]
	s_cbranch_execz .LBB176_14
; %bb.13:                               ;   in Loop: Header=BB176_3 Depth=1
	v_add_co_u32_e32 v143, vcc, v129, v4
	v_addc_co_u32_e32 v144, vcc, v131, v5, vcc
	global_load_ushort v9, v[143:144], off
	v_add_co_u32_e32 v143, vcc, v132, v4
	v_addc_co_u32_e32 v144, vcc, v133, v5, vcc
	global_load_ushort v143, v[143:144], off
	s_waitcnt vmcnt(1)
	v_cvt_f32_f16_e32 v9, v9
	s_waitcnt vmcnt(0)
	v_cvt_f32_f16_e32 v143, v143
.LBB176_14:                             ;   in Loop: Header=BB176_3 Depth=1
	s_or_b64 exec, exec, s[10:11]
	v_add_co_u32_e32 v144, vcc, 3, v6
	v_addc_co_u32_e32 v145, vcc, 0, v7, vcc
	v_cmp_gt_i64_e32 vcc, s[12:13], v[144:145]
	v_mov_b32_e32 v144, 0
	s_and_b64 s[34:35], s[2:3], vcc
	v_mov_b32_e32 v145, 0
	v_mov_b32_e32 v146, 0
	s_and_saveexec_b64 s[10:11], s[34:35]
	s_cbranch_execz .LBB176_16
; %bb.15:                               ;   in Loop: Header=BB176_3 Depth=1
	v_add_co_u32_e32 v145, vcc, v125, v4
	v_addc_co_u32_e32 v146, vcc, v126, v5, vcc
	global_load_ushort v147, v[145:146], off
	v_add_co_u32_e32 v145, vcc, v127, v4
	v_addc_co_u32_e32 v146, vcc, v128, v5, vcc
	global_load_ushort v146, v[145:146], off
	s_waitcnt vmcnt(1)
	v_cvt_f32_f16_e32 v145, v147
	s_waitcnt vmcnt(0)
	v_cvt_f32_f16_e32 v146, v146
.LBB176_16:                             ;   in Loop: Header=BB176_3 Depth=1
	s_or_b64 exec, exec, s[10:11]
	v_add_co_u32_e32 v147, vcc, 4, v6
	v_addc_co_u32_e32 v148, vcc, 0, v7, vcc
	v_cmp_gt_i64_e32 vcc, s[12:13], v[147:148]
	v_mov_b32_e32 v147, 0
	s_and_b64 s[34:35], s[2:3], vcc
	s_and_saveexec_b64 s[10:11], s[34:35]
	s_cbranch_execz .LBB176_18
; %bb.17:                               ;   in Loop: Header=BB176_3 Depth=1
	v_add_co_u32_e32 v147, vcc, v121, v4
	v_addc_co_u32_e32 v148, vcc, v122, v5, vcc
	global_load_ushort v144, v[147:148], off
	v_add_co_u32_e32 v147, vcc, v123, v4
	v_addc_co_u32_e32 v148, vcc, v124, v5, vcc
	global_load_ushort v147, v[147:148], off
	s_waitcnt vmcnt(1)
	v_cvt_f32_f16_e32 v144, v144
	s_waitcnt vmcnt(0)
	v_cvt_f32_f16_e32 v147, v147
.LBB176_18:                             ;   in Loop: Header=BB176_3 Depth=1
	;; [unrolled: 42-line block ×15, first 2 shown]
	s_or_b64 exec, exec, s[10:11]
	v_add_co_u32_e32 v201, vcc, 31, v6
	v_addc_co_u32_e32 v202, vcc, 0, v7, vcc
	v_cmp_gt_i64_e32 vcc, s[12:13], v[201:202]
	v_mov_b32_e32 v183, 0
	s_and_b64 s[34:35], s[2:3], vcc
	s_and_saveexec_b64 s[10:11], s[34:35]
	s_cbranch_execz .LBB176_72
; %bb.71:                               ;   in Loop: Header=BB176_3 Depth=1
	v_add_co_u32_e32 v201, vcc, v13, v4
	v_addc_co_u32_e32 v202, vcc, v14, v5, vcc
	global_load_ushort v183, v[201:202], off
	v_add_co_u32_e32 v201, vcc, v15, v4
	v_addc_co_u32_e32 v202, vcc, v16, v5, vcc
	global_load_ushort v201, v[201:202], off
	s_waitcnt vmcnt(1)
	v_cvt_f32_f16_e32 v183, v183
	s_waitcnt vmcnt(0)
	v_cvt_f32_f16_e32 v201, v201
	v_mul_f32_e32 v183, v183, v201
.LBB176_72:                             ;   in Loop: Header=BB176_3 Depth=1
	s_or_b64 exec, exec, s[10:11]
	s_waitcnt vmcnt(0)
	ds_bpermute_b32 v201, v138, v140
	ds_bpermute_b32 v202, v138, v140 offset:4
	v_mul_f32_e32 v141, v141, v142
	ds_bpermute_b32 v142, v138, v140 offset:8
	v_mul_f32_e32 v8, v130, v8
	s_waitcnt lgkmcnt(2)
	v_fma_f32 v130, v8, v201, v139
	s_waitcnt lgkmcnt(1)
	v_fmac_f32_e32 v130, v141, v202
	ds_bpermute_b32 v8, v138, v140 offset:12
	v_mul_f32_e32 v9, v9, v143
	s_waitcnt lgkmcnt(1)
	v_fmac_f32_e32 v130, v9, v142
	ds_bpermute_b32 v9, v138, v140 offset:16
	v_mul_f32_e32 v141, v145, v146
	;; [unrolled: 4-line block ×26, first 2 shown]
	s_waitcnt lgkmcnt(1)
	v_fmac_f32_e32 v130, v141, v8
	v_mul_f32_e32 v8, v193, v196
	ds_bpermute_b32 v141, v138, v140 offset:116
	s_waitcnt lgkmcnt(1)
	v_fmac_f32_e32 v130, v8, v9
	ds_bpermute_b32 v9, v138, v140 offset:120
	ds_bpermute_b32 v8, v138, v140 offset:124
	v_mul_f32_e32 v142, v198, v199
	s_waitcnt lgkmcnt(2)
	v_fmac_f32_e32 v130, v142, v141
	v_mul_f32_e32 v140, v197, v200
	s_waitcnt lgkmcnt(1)
	v_fmac_f32_e32 v130, v140, v9
	s_mov_b64 s[10:11], 0
.LBB176_73:                             ;   in Loop: Header=BB176_3 Depth=1
	s_and_b64 vcc, exec, s[10:11]
	s_cbranch_vccz .LBB176_143
; %bb.74:                               ;   in Loop: Header=BB176_3 Depth=1
	s_load_dword s10, s[24:25], 0x0
	v_mov_b32_e32 v9, 0
	s_waitcnt lgkmcnt(0)
	s_cmp_lt_u32 s6, s10
	s_cselect_b32 s10, 12, 18
	s_add_u32 s10, s24, s10
	s_addc_u32 s11, s25, 0
	global_load_ushort v8, v3, s[10:11]
	s_waitcnt vmcnt(0)
	v_mad_u32_u24 v8, v1, v8, v0
	v_and_b32_e32 v130, 63, v8
	v_cmp_gt_u32_e32 vcc, 32, v130
	v_mov_b32_e32 v8, 0
	s_and_saveexec_b64 s[10:11], vcc
	s_cbranch_execz .LBB176_78
; %bb.75:                               ;   in Loop: Header=BB176_3 Depth=1
	v_add_co_u32_e32 v6, vcc, v6, v130
	v_addc_co_u32_e32 v7, vcc, 0, v7, vcc
	v_cmp_gt_i64_e32 vcc, s[12:13], v[6:7]
	v_mov_b32_e32 v8, 0
	s_and_saveexec_b64 s[34:35], vcc
	s_cbranch_execz .LBB176_77
; %bb.76:                               ;   in Loop: Header=BB176_3 Depth=1
	v_lshlrev_b64 v[6:7], 2, v[6:7]
	v_mov_b32_e32 v8, s21
	v_add_co_u32_e32 v6, vcc, s20, v6
	v_addc_co_u32_e32 v7, vcc, v8, v7, vcc
	global_load_dword v8, v[6:7], off
.LBB176_77:                             ;   in Loop: Header=BB176_3 Depth=1
	s_or_b64 exec, exec, s[34:35]
.LBB176_78:                             ;   in Loop: Header=BB176_3 Depth=1
	s_or_b64 exec, exec, s[10:11]
	v_mov_b32_e32 v6, 0
	v_mov_b32_e32 v7, 0
	s_and_saveexec_b64 s[10:11], s[2:3]
	s_cbranch_execz .LBB176_80
; %bb.79:                               ;   in Loop: Header=BB176_3 Depth=1
	v_add_co_u32_e32 v6, vcc, v2, v4
	v_addc_co_u32_e32 v7, vcc, v10, v5, vcc
	global_load_ushort v130, v[6:7], off
	v_add_co_u32_e32 v6, vcc, v11, v4
	v_addc_co_u32_e32 v7, vcc, v12, v5, vcc
	global_load_ushort v7, v[6:7], off
	s_waitcnt vmcnt(1)
	v_cvt_f32_f16_e32 v6, v130
	s_waitcnt vmcnt(0)
	v_cvt_f32_f16_e32 v7, v7
.LBB176_80:                             ;   in Loop: Header=BB176_3 Depth=1
	s_or_b64 exec, exec, s[10:11]
	v_mov_b32_e32 v130, 0
	s_and_saveexec_b64 s[10:11], s[2:3]
	s_cbranch_execz .LBB176_82
; %bb.81:                               ;   in Loop: Header=BB176_3 Depth=1
	v_add_co_u32_e32 v140, vcc, v134, v4
	v_addc_co_u32_e32 v141, vcc, v135, v5, vcc
	global_load_ushort v9, v[140:141], off
	v_add_co_u32_e32 v140, vcc, v136, v4
	v_addc_co_u32_e32 v141, vcc, v137, v5, vcc
	global_load_ushort v130, v[140:141], off
	s_waitcnt vmcnt(1)
	v_cvt_f32_f16_e32 v9, v9
	s_waitcnt vmcnt(0)
	v_cvt_f32_f16_e32 v130, v130
.LBB176_82:                             ;   in Loop: Header=BB176_3 Depth=1
	s_or_b64 exec, exec, s[10:11]
	v_mov_b32_e32 v140, 0
	v_mov_b32_e32 v141, 0
	v_mov_b32_e32 v142, 0
	s_and_saveexec_b64 s[10:11], s[2:3]
	s_cbranch_execz .LBB176_84
; %bb.83:                               ;   in Loop: Header=BB176_3 Depth=1
	v_add_co_u32_e32 v141, vcc, v129, v4
	v_addc_co_u32_e32 v142, vcc, v131, v5, vcc
	global_load_ushort v143, v[141:142], off
	v_add_co_u32_e32 v141, vcc, v132, v4
	v_addc_co_u32_e32 v142, vcc, v133, v5, vcc
	global_load_ushort v142, v[141:142], off
	s_waitcnt vmcnt(1)
	v_cvt_f32_f16_e32 v141, v143
	s_waitcnt vmcnt(0)
	v_cvt_f32_f16_e32 v142, v142
.LBB176_84:                             ;   in Loop: Header=BB176_3 Depth=1
	s_or_b64 exec, exec, s[10:11]
	v_mov_b32_e32 v143, 0
	s_and_saveexec_b64 s[10:11], s[2:3]
	s_cbranch_execz .LBB176_86
; %bb.85:                               ;   in Loop: Header=BB176_3 Depth=1
	v_add_co_u32_e32 v143, vcc, v125, v4
	v_addc_co_u32_e32 v144, vcc, v126, v5, vcc
	global_load_ushort v140, v[143:144], off
	v_add_co_u32_e32 v143, vcc, v127, v4
	v_addc_co_u32_e32 v144, vcc, v128, v5, vcc
	global_load_ushort v143, v[143:144], off
	s_waitcnt vmcnt(1)
	v_cvt_f32_f16_e32 v140, v140
	s_waitcnt vmcnt(0)
	v_cvt_f32_f16_e32 v143, v143
.LBB176_86:                             ;   in Loop: Header=BB176_3 Depth=1
	s_or_b64 exec, exec, s[10:11]
	v_mov_b32_e32 v144, 0
	;; [unrolled: 34-line block ×5, first 2 shown]
	v_mov_b32_e32 v157, 0
	v_mov_b32_e32 v158, 0
	s_and_saveexec_b64 s[10:11], s[2:3]
	s_cbranch_execz .LBB176_100
; %bb.99:                               ;   in Loop: Header=BB176_3 Depth=1
	v_add_co_u32_e32 v157, vcc, v97, v4
	v_addc_co_u32_e32 v158, vcc, v98, v5, vcc
	global_load_ushort v159, v[157:158], off
	v_add_co_u32_e32 v157, vcc, v99, v4
	v_addc_co_u32_e32 v158, vcc, v100, v5, vcc
	global_load_ushort v158, v[157:158], off
	s_waitcnt vmcnt(1)
	v_cvt_f32_f16_e32 v157, v159
	s_waitcnt vmcnt(0)
	v_cvt_f32_f16_e32 v158, v158
.LBB176_100:                            ;   in Loop: Header=BB176_3 Depth=1
	s_or_b64 exec, exec, s[10:11]
	v_mov_b32_e32 v159, 0
	s_and_saveexec_b64 s[10:11], s[2:3]
	s_cbranch_execz .LBB176_102
; %bb.101:                              ;   in Loop: Header=BB176_3 Depth=1
	v_add_co_u32_e32 v159, vcc, v93, v4
	v_addc_co_u32_e32 v160, vcc, v94, v5, vcc
	global_load_ushort v156, v[159:160], off
	v_add_co_u32_e32 v159, vcc, v95, v4
	v_addc_co_u32_e32 v160, vcc, v96, v5, vcc
	global_load_ushort v159, v[159:160], off
	s_waitcnt vmcnt(1)
	v_cvt_f32_f16_e32 v156, v156
	s_waitcnt vmcnt(0)
	v_cvt_f32_f16_e32 v159, v159
.LBB176_102:                            ;   in Loop: Header=BB176_3 Depth=1
	s_or_b64 exec, exec, s[10:11]
	v_mov_b32_e32 v160, 0
	v_mov_b32_e32 v161, 0
	v_mov_b32_e32 v162, 0
	s_and_saveexec_b64 s[10:11], s[2:3]
	s_cbranch_execz .LBB176_104
; %bb.103:                              ;   in Loop: Header=BB176_3 Depth=1
	v_add_co_u32_e32 v161, vcc, v89, v4
	v_addc_co_u32_e32 v162, vcc, v90, v5, vcc
	global_load_ushort v163, v[161:162], off
	v_add_co_u32_e32 v161, vcc, v91, v4
	v_addc_co_u32_e32 v162, vcc, v92, v5, vcc
	global_load_ushort v162, v[161:162], off
	s_waitcnt vmcnt(1)
	v_cvt_f32_f16_e32 v161, v163
	s_waitcnt vmcnt(0)
	v_cvt_f32_f16_e32 v162, v162
.LBB176_104:                            ;   in Loop: Header=BB176_3 Depth=1
	s_or_b64 exec, exec, s[10:11]
	v_mov_b32_e32 v163, 0
	s_and_saveexec_b64 s[10:11], s[2:3]
	s_cbranch_execz .LBB176_106
; %bb.105:                              ;   in Loop: Header=BB176_3 Depth=1
	v_add_co_u32_e32 v163, vcc, v85, v4
	v_addc_co_u32_e32 v164, vcc, v86, v5, vcc
	global_load_ushort v160, v[163:164], off
	v_add_co_u32_e32 v163, vcc, v87, v4
	v_addc_co_u32_e32 v164, vcc, v88, v5, vcc
	global_load_ushort v163, v[163:164], off
	s_waitcnt vmcnt(1)
	v_cvt_f32_f16_e32 v160, v160
	s_waitcnt vmcnt(0)
	v_cvt_f32_f16_e32 v163, v163
.LBB176_106:                            ;   in Loop: Header=BB176_3 Depth=1
	s_or_b64 exec, exec, s[10:11]
	v_mov_b32_e32 v164, 0
	v_mov_b32_e32 v165, 0
	v_mov_b32_e32 v166, 0
	s_and_saveexec_b64 s[10:11], s[2:3]
	s_cbranch_execz .LBB176_108
; %bb.107:                              ;   in Loop: Header=BB176_3 Depth=1
	v_add_co_u32_e32 v165, vcc, v81, v4
	v_addc_co_u32_e32 v166, vcc, v82, v5, vcc
	global_load_ushort v167, v[165:166], off
	v_add_co_u32_e32 v165, vcc, v83, v4
	v_addc_co_u32_e32 v166, vcc, v84, v5, vcc
	global_load_ushort v166, v[165:166], off
	s_waitcnt vmcnt(1)
	v_cvt_f32_f16_e32 v165, v167
	s_waitcnt vmcnt(0)
	v_cvt_f32_f16_e32 v166, v166
.LBB176_108:                            ;   in Loop: Header=BB176_3 Depth=1
	;; [unrolled: 34-line block ×10, first 2 shown]
	s_or_b64 exec, exec, s[10:11]
	s_and_saveexec_b64 s[10:11], s[2:3]
	s_cbranch_execz .LBB176_142
; %bb.141:                              ;   in Loop: Header=BB176_3 Depth=1
	v_add_co_u32_e32 v199, vcc, v13, v4
	v_addc_co_u32_e32 v200, vcc, v14, v5, vcc
	global_load_ushort v183, v[199:200], off
	v_add_co_u32_e32 v199, vcc, v15, v4
	v_addc_co_u32_e32 v200, vcc, v16, v5, vcc
	global_load_ushort v199, v[199:200], off
	s_waitcnt vmcnt(1)
	v_cvt_f32_f16_e32 v183, v183
	s_waitcnt vmcnt(0)
	v_cvt_f32_f16_e32 v199, v199
	v_mul_f32_e32 v183, v183, v199
.LBB176_142:                            ;   in Loop: Header=BB176_3 Depth=1
	s_or_b64 exec, exec, s[10:11]
	s_waitcnt vmcnt(0)
	ds_bpermute_b32 v199, v138, v8
	ds_bpermute_b32 v200, v138, v8 offset:4
	v_mul_f32_e32 v6, v6, v7
	v_mul_f32_e32 v7, v9, v130
	ds_bpermute_b32 v9, v138, v8 offset:8
	s_waitcnt lgkmcnt(2)
	v_fmac_f32_e32 v139, v6, v199
	s_waitcnt lgkmcnt(1)
	v_fmac_f32_e32 v139, v7, v200
	ds_bpermute_b32 v6, v138, v8 offset:12
	v_mul_f32_e32 v7, v141, v142
	s_waitcnt lgkmcnt(1)
	v_fmac_f32_e32 v139, v7, v9
	ds_bpermute_b32 v7, v138, v8 offset:16
	v_mul_f32_e32 v9, v140, v143
	s_waitcnt lgkmcnt(1)
	v_fmac_f32_e32 v139, v9, v6
	ds_bpermute_b32 v6, v138, v8 offset:20
	v_mul_f32_e32 v9, v145, v146
	s_waitcnt lgkmcnt(1)
	v_fmac_f32_e32 v139, v9, v7
	ds_bpermute_b32 v7, v138, v8 offset:24
	v_mul_f32_e32 v9, v144, v147
	s_waitcnt lgkmcnt(1)
	v_fmac_f32_e32 v139, v9, v6
	ds_bpermute_b32 v6, v138, v8 offset:28
	v_mul_f32_e32 v9, v149, v150
	s_waitcnt lgkmcnt(1)
	v_fmac_f32_e32 v139, v9, v7
	ds_bpermute_b32 v7, v138, v8 offset:32
	v_mul_f32_e32 v9, v148, v151
	s_waitcnt lgkmcnt(1)
	v_fmac_f32_e32 v139, v9, v6
	ds_bpermute_b32 v6, v138, v8 offset:36
	v_mul_f32_e32 v9, v153, v154
	s_waitcnt lgkmcnt(1)
	v_fmac_f32_e32 v139, v9, v7
	ds_bpermute_b32 v7, v138, v8 offset:40
	v_mul_f32_e32 v9, v152, v155
	s_waitcnt lgkmcnt(1)
	v_fmac_f32_e32 v139, v9, v6
	ds_bpermute_b32 v6, v138, v8 offset:44
	v_mul_f32_e32 v9, v157, v158
	s_waitcnt lgkmcnt(1)
	v_fmac_f32_e32 v139, v9, v7
	ds_bpermute_b32 v7, v138, v8 offset:48
	v_mul_f32_e32 v9, v156, v159
	s_waitcnt lgkmcnt(1)
	v_fmac_f32_e32 v139, v9, v6
	ds_bpermute_b32 v6, v138, v8 offset:52
	v_mul_f32_e32 v9, v161, v162
	s_waitcnt lgkmcnt(1)
	v_fmac_f32_e32 v139, v9, v7
	ds_bpermute_b32 v7, v138, v8 offset:56
	v_mul_f32_e32 v9, v160, v163
	s_waitcnt lgkmcnt(1)
	v_fmac_f32_e32 v139, v9, v6
	ds_bpermute_b32 v6, v138, v8 offset:60
	v_mul_f32_e32 v9, v165, v166
	s_waitcnt lgkmcnt(1)
	v_fmac_f32_e32 v139, v9, v7
	ds_bpermute_b32 v7, v138, v8 offset:64
	v_mul_f32_e32 v9, v164, v167
	s_waitcnt lgkmcnt(1)
	v_fmac_f32_e32 v139, v9, v6
	ds_bpermute_b32 v6, v138, v8 offset:68
	v_mul_f32_e32 v9, v169, v170
	s_waitcnt lgkmcnt(1)
	v_fmac_f32_e32 v139, v9, v7
	ds_bpermute_b32 v7, v138, v8 offset:72
	v_mul_f32_e32 v9, v168, v171
	s_waitcnt lgkmcnt(1)
	v_fmac_f32_e32 v139, v9, v6
	ds_bpermute_b32 v6, v138, v8 offset:76
	v_mul_f32_e32 v9, v173, v174
	s_waitcnt lgkmcnt(1)
	v_fmac_f32_e32 v139, v9, v7
	ds_bpermute_b32 v7, v138, v8 offset:80
	v_mul_f32_e32 v9, v172, v175
	s_waitcnt lgkmcnt(1)
	v_fmac_f32_e32 v139, v9, v6
	ds_bpermute_b32 v6, v138, v8 offset:84
	v_mul_f32_e32 v9, v177, v178
	s_waitcnt lgkmcnt(1)
	v_fmac_f32_e32 v139, v9, v7
	ds_bpermute_b32 v7, v138, v8 offset:88
	v_mul_f32_e32 v9, v176, v179
	s_waitcnt lgkmcnt(1)
	v_fmac_f32_e32 v139, v9, v6
	ds_bpermute_b32 v6, v138, v8 offset:92
	v_mul_f32_e32 v9, v181, v182
	s_waitcnt lgkmcnt(1)
	v_fmac_f32_e32 v139, v9, v7
	ds_bpermute_b32 v7, v138, v8 offset:96
	v_mul_f32_e32 v9, v180, v184
	s_waitcnt lgkmcnt(1)
	v_fmac_f32_e32 v139, v9, v6
	ds_bpermute_b32 v6, v138, v8 offset:100
	v_mul_f32_e32 v9, v186, v187
	s_waitcnt lgkmcnt(1)
	v_fmac_f32_e32 v139, v9, v7
	ds_bpermute_b32 v7, v138, v8 offset:104
	v_mul_f32_e32 v9, v185, v188
	s_waitcnt lgkmcnt(1)
	v_fmac_f32_e32 v139, v9, v6
	ds_bpermute_b32 v6, v138, v8 offset:108
	v_mul_f32_e32 v9, v190, v191
	s_waitcnt lgkmcnt(1)
	v_fmac_f32_e32 v139, v9, v7
	ds_bpermute_b32 v7, v138, v8 offset:112
	v_mul_f32_e32 v9, v189, v192
	s_waitcnt lgkmcnt(1)
	v_fmac_f32_e32 v139, v9, v6
	v_mul_f32_e32 v6, v194, v195
	ds_bpermute_b32 v9, v138, v8 offset:116
	s_waitcnt lgkmcnt(1)
	v_fmac_f32_e32 v139, v6, v7
	ds_bpermute_b32 v6, v138, v8 offset:120
	ds_bpermute_b32 v8, v138, v8 offset:124
	v_mul_f32_e32 v7, v193, v196
	s_waitcnt lgkmcnt(2)
	v_fmac_f32_e32 v139, v7, v9
	v_mul_f32_e32 v7, v197, v198
	s_waitcnt lgkmcnt(1)
	v_fmac_f32_e32 v139, v7, v6
	v_mov_b32_e32 v130, v139
.LBB176_143:                            ;   in Loop: Header=BB176_3 Depth=1
	v_mov_b32_e32 v6, s27
	v_add_co_u32_e32 v2, vcc, s26, v2
	v_addc_co_u32_e32 v10, vcc, v10, v6, vcc
	v_add_co_u32_e32 v11, vcc, s26, v11
	v_addc_co_u32_e32 v12, vcc, v12, v6, vcc
	;; [unrolled: 2-line block ×64, first 2 shown]
	s_add_u32 s30, s30, s9
	v_add_co_u32_e32 v204, vcc, s9, v204
	v_mov_b32_e32 v6, s12
	s_addc_u32 s31, s31, 0
	v_addc_co_u32_e32 v203, vcc, 0, v203, vcc
	v_mov_b32_e32 v7, s13
	v_cmp_lt_i64_e32 vcc, s[30:31], v[6:7]
	s_add_u32 s28, s28, s9
	s_waitcnt lgkmcnt(0)
	v_fmac_f32_e32 v130, v183, v8
	s_addc_u32 s29, 0, s29
	s_cbranch_vccz .LBB176_146
; %bb.144:                              ;   in Loop: Header=BB176_3 Depth=1
	v_mov_b32_e32 v139, v130
	s_branch .LBB176_3
.LBB176_145:
                                        ; implicit-def: $vgpr130
	s_load_dwordx2 s[2:3], s[4:5], 0x30
	s_branch .LBB176_147
.LBB176_146:
	s_load_dwordx2 s[2:3], s[4:5], 0x30
	s_cbranch_execnz .LBB176_228
.LBB176_147:
	s_and_b64 vcc, exec, s[0:1]
	v_mov_b32_e32 v130, 0
	s_cbranch_vccnz .LBB176_228
; %bb.148:
	v_mov_b32_e32 v4, 0
	v_mov_b32_e32 v2, v4
	v_lshlrev_b32_e32 v135, 5, v1
	s_load_dword s0, s[4:5], 0x44
	buffer_store_dword v1, off, s[36:39], 0 offset:292 ; 4-byte Folded Spill
	s_nop 0
	buffer_store_dword v2, off, s[36:39], 0 offset:296 ; 4-byte Folded Spill
	s_add_u32 s10, s4, 64
	v_add_co_u32_e32 v167, vcc, s22, v135
	v_add_u32_e32 v3, s7, v0
	s_addc_u32 s11, s5, 0
	s_waitcnt lgkmcnt(0)
	s_lshl_b32 s7, s0, 5
	v_addc_co_u32_e64 v166, s[0:1], 0, 0, vcc
	v_mov_b32_e32 v136, v4
	v_lshlrev_b64 v[4:5], 1, v[3:4]
	v_mul_lo_u32 v2, s15, v167
	v_mul_lo_u32 v3, s14, v166
	v_mad_u64_u32 v[130:131], s[0:1], s14, v167, 0
	v_mov_b32_e32 v6, s17
	s_mul_i32 s0, s15, s7
	v_add3_u32 v131, v131, v3, v2
	v_lshlrev_b64 v[2:3], 1, v[130:131]
	s_mul_hi_u32 s1, s14, s7
	v_add_co_u32_e32 v205, vcc, s16, v2
	v_addc_co_u32_e32 v207, vcc, v6, v3, vcc
	v_add_co_u32_e32 v208, vcc, s18, v2
	v_mov_b32_e32 v2, s19
	v_addc_co_u32_e32 v209, vcc, v2, v3, vcc
	s_add_i32 s1, s1, s0
	s_mul_i32 s0, s14, s7
	s_lshl_b64 s[24:25], s[0:1], 1
	s_lshl_b64 s[0:1], s[22:23], 1
	s_mov_b64 s[26:27], 31
	v_mov_b32_e32 v2, v1
	buffer_store_dword v2, off, s[36:39], 0 offset:284 ; 4-byte Folded Spill
	s_nop 0
	buffer_store_dword v3, off, s[36:39], 0 offset:288 ; 4-byte Folded Spill
	v_lshlrev_b32_e32 v2, 6, v1
	v_add_co_u32_e32 v66, vcc, s0, v2
	v_mov_b32_e32 v2, s1
	v_addc_co_u32_e32 v67, vcc, 0, v2, vcc
	v_add_co_u32_e32 v68, vcc, 2, v66
	v_addc_co_u32_e32 v8, vcc, 0, v67, vcc
	v_add_co_u32_e32 v72, vcc, 4, v66
	;; [unrolled: 2-line block ×30, first 2 shown]
	v_mov_b32_e32 v2, s16
	v_addc_co_u32_e32 v69, vcc, 0, v67, vcc
	v_mov_b32_e32 v3, s17
	v_add_co_u32_e32 v163, vcc, 62, v66
	v_mad_u64_u32 v[6:7], s[0:1], s14, v68, v[2:3]
	v_mul_lo_u32 v70, s14, v8
	v_mad_u64_u32 v[8:9], s[0:1], s14, v72, v[2:3]
	v_mul_lo_u32 v73, s14, v10
	;; [unrolled: 2-line block ×30, first 2 shown]
	v_addc_co_u32_e32 v69, vcc, 0, v67, vcc
	v_mad_u64_u32 v[66:67], s[0:1], s14, v163, v[2:3]
	v_mov_b32_e32 v2, s18
	v_mov_b32_e32 v3, s19
	v_mul_lo_u32 v71, s15, v68
	v_mul_lo_u32 v164, s14, v69
	v_mad_u64_u32 v[68:69], s[0:1], s14, v68, v[2:3]
	v_add3_u32 v7, v71, v7, v70
	v_mul_lo_u32 v74, s15, v72
	v_add3_u32 v69, v71, v69, v70
	v_mad_u64_u32 v[70:71], s[0:1], s14, v72, v[2:3]
	v_add3_u32 v9, v74, v9, v73
	v_mul_lo_u32 v77, s15, v75
	v_add3_u32 v71, v74, v71, v73
	v_mad_u64_u32 v[72:73], s[0:1], s14, v75, v[2:3]
	v_mul_lo_u32 v80, s15, v78
	v_mad_u64_u32 v[74:75], s[0:1], s14, v78, v[2:3]
	v_add3_u32 v11, v77, v11, v76
	v_mul_lo_u32 v83, s15, v81
	v_add3_u32 v73, v77, v73, v76
	v_mad_u64_u32 v[76:77], s[0:1], s14, v81, v[2:3]
	v_add3_u32 v13, v80, v13, v79
	v_mul_lo_u32 v86, s15, v84
	v_add3_u32 v75, v80, v75, v79
	v_mad_u64_u32 v[78:79], s[0:1], s14, v84, v[2:3]
	v_add3_u32 v15, v83, v15, v82
	v_mul_lo_u32 v89, s15, v87
	v_mul_lo_u32 v92, s15, v90
	v_add3_u32 v77, v83, v77, v82
	v_mad_u64_u32 v[80:81], s[0:1], s14, v87, v[2:3]
	v_mad_u64_u32 v[82:83], s[0:1], s14, v90, v[2:3]
	v_add3_u32 v17, v86, v17, v85
	v_mul_lo_u32 v95, s15, v93
	v_add3_u32 v79, v86, v79, v85
	v_mad_u64_u32 v[84:85], s[0:1], s14, v93, v[2:3]
	v_add3_u32 v19, v89, v19, v88
	v_add3_u32 v21, v92, v21, v91
	v_mul_lo_u32 v98, s15, v96
	v_mul_lo_u32 v101, s15, v99
	;; [unrolled: 1-line block ×4, first 2 shown]
	v_add3_u32 v81, v89, v81, v88
	v_add3_u32 v83, v92, v83, v91
	v_mad_u64_u32 v[86:87], s[0:1], s14, v96, v[2:3]
	v_mad_u64_u32 v[88:89], s[0:1], s14, v99, v[2:3]
	;; [unrolled: 1-line block ×4, first 2 shown]
	v_add3_u32 v23, v95, v23, v94
	v_mul_lo_u32 v110, s15, v108
	v_add3_u32 v85, v95, v85, v94
	v_mad_u64_u32 v[94:95], s[0:1], s14, v108, v[2:3]
	v_add3_u32 v25, v98, v25, v97
	v_add3_u32 v27, v101, v27, v100
	v_add3_u32 v29, v104, v29, v103
	v_add3_u32 v31, v107, v31, v106
	v_mul_lo_u32 v113, s15, v111
	v_mul_lo_u32 v116, s15, v114
	;; [unrolled: 1-line block ×6, first 2 shown]
	v_add3_u32 v87, v98, v87, v97
	v_add3_u32 v89, v101, v89, v100
	;; [unrolled: 1-line block ×4, first 2 shown]
	v_mad_u64_u32 v[96:97], s[0:1], s14, v111, v[2:3]
	v_mad_u64_u32 v[98:99], s[0:1], s14, v114, v[2:3]
	;; [unrolled: 1-line block ×6, first 2 shown]
	v_add3_u32 v33, v110, v33, v109
	v_mul_lo_u32 v133, s15, v129
	v_add3_u32 v95, v110, v95, v109
	v_mad_u64_u32 v[108:109], s[0:1], s14, v129, v[2:3]
	v_add3_u32 v35, v113, v35, v112
	v_add3_u32 v37, v116, v37, v115
	;; [unrolled: 1-line block ×12, first 2 shown]
	v_mad_u64_u32 v[110:111], s[0:1], s14, v134, v[2:3]
	v_mad_u64_u32 v[112:113], s[0:1], s14, v139, v[2:3]
	;; [unrolled: 1-line block ×10, first 2 shown]
	v_add_co_u32_e32 v2, vcc, 31, v167
	v_addc_co_u32_e32 v3, vcc, 0, v166, vcc
	v_add3_u32 v47, v133, v47, v132
	v_add3_u32 v109, v133, v109, v132
	v_mul_lo_u32 v132, s15, v2
	v_mul_lo_u32 v133, s14, v3
	v_mad_u64_u32 v[2:3], s[0:1], s14, v2, 0
	v_mul_lo_u32 v141, s15, v139
	v_mul_lo_u32 v138, s15, v134
	v_add3_u32 v3, v3, v133, v132
	v_lshlrev_b64 v[2:3], 1, v[2:3]
	v_mov_b32_e32 v132, s17
	v_add_co_u32_e32 v210, vcc, s16, v2
	v_addc_co_u32_e32 v211, vcc, v132, v3, vcc
	v_add_co_u32_e32 v212, vcc, s18, v2
	v_mov_b32_e32 v2, s19
	v_addc_co_u32_e32 v213, vcc, v2, v3, vcc
	v_add_co_u32_e32 v2, vcc, 30, v167
	v_addc_co_u32_e32 v3, vcc, 0, v166, vcc
	v_mul_lo_u32 v132, s15, v2
	v_mul_lo_u32 v133, s14, v3
	v_mad_u64_u32 v[2:3], s[0:1], s14, v2, 0
	v_add3_u32 v51, v141, v51, v140
	v_add3_u32 v113, v141, v113, v140
	;; [unrolled: 1-line block ×3, first 2 shown]
	v_lshlrev_b64 v[2:3], 1, v[2:3]
	v_mov_b32_e32 v132, s17
	v_add_co_u32_e32 v214, vcc, s16, v2
	v_addc_co_u32_e32 v215, vcc, v132, v3, vcc
	v_add_co_u32_e32 v216, vcc, s18, v2
	v_mov_b32_e32 v2, s19
	v_addc_co_u32_e32 v217, vcc, v2, v3, vcc
	v_add_co_u32_e32 v2, vcc, 29, v167
	v_addc_co_u32_e32 v3, vcc, 0, v166, vcc
	v_mul_lo_u32 v132, s15, v2
	v_mul_lo_u32 v133, s14, v3
	v_mad_u64_u32 v[2:3], s[0:1], s14, v2, 0
	v_add3_u32 v49, v138, v49, v137
	v_add3_u32 v111, v138, v111, v137
	;; [unrolled: 1-line block ×3, first 2 shown]
	v_lshlrev_b64 v[2:3], 1, v[2:3]
	v_mov_b32_e32 v132, s17
	v_add_co_u32_e32 v218, vcc, s16, v2
	v_addc_co_u32_e32 v219, vcc, v132, v3, vcc
	v_add_co_u32_e32 v220, vcc, s18, v2
	v_mov_b32_e32 v2, s19
	v_addc_co_u32_e32 v221, vcc, v2, v3, vcc
	v_add_co_u32_e32 v2, vcc, 28, v167
	v_addc_co_u32_e32 v3, vcc, 0, v166, vcc
	v_mul_lo_u32 v132, s15, v2
	v_mul_lo_u32 v133, s14, v3
	v_mad_u64_u32 v[2:3], s[0:1], s14, v2, 0
	v_mul_lo_u32 v144, s15, v142
	v_mul_lo_u32 v147, s15, v145
	v_add3_u32 v3, v3, v133, v132
	v_lshlrev_b64 v[2:3], 1, v[2:3]
	v_mov_b32_e32 v132, s17
	v_add_co_u32_e32 v222, vcc, s16, v2
	v_addc_co_u32_e32 v223, vcc, v132, v3, vcc
	v_add_co_u32_e32 v224, vcc, s18, v2
	v_mov_b32_e32 v2, s19
	v_addc_co_u32_e32 v225, vcc, v2, v3, vcc
	v_add_co_u32_e32 v2, vcc, 27, v167
	v_addc_co_u32_e32 v3, vcc, 0, v166, vcc
	v_mul_lo_u32 v132, s15, v2
	v_mul_lo_u32 v133, s14, v3
	v_mad_u64_u32 v[2:3], s[0:1], s14, v2, 0
	v_add3_u32 v53, v144, v53, v143
	v_mul_lo_u32 v150, s15, v148
	v_add3_u32 v3, v3, v133, v132
	v_lshlrev_b64 v[2:3], 1, v[2:3]
	v_mov_b32_e32 v132, s17
	v_add_co_u32_e32 v226, vcc, s16, v2
	v_addc_co_u32_e32 v227, vcc, v132, v3, vcc
	v_add_co_u32_e32 v228, vcc, s18, v2
	v_mov_b32_e32 v2, s19
	v_addc_co_u32_e32 v229, vcc, v2, v3, vcc
	v_add_co_u32_e32 v2, vcc, 26, v167
	v_addc_co_u32_e32 v3, vcc, 0, v166, vcc
	v_mul_lo_u32 v132, s15, v2
	v_mul_lo_u32 v133, s14, v3
	v_mad_u64_u32 v[2:3], s[0:1], s14, v2, 0
	v_mul_lo_u32 v153, s15, v151
	v_mul_lo_u32 v156, s15, v154
	v_add3_u32 v3, v3, v133, v132
	v_lshlrev_b64 v[2:3], 1, v[2:3]
	v_mov_b32_e32 v132, s17
	v_add_co_u32_e32 v230, vcc, s16, v2
	v_addc_co_u32_e32 v231, vcc, v132, v3, vcc
	v_add_co_u32_e32 v232, vcc, s18, v2
	v_mov_b32_e32 v2, s19
	v_addc_co_u32_e32 v233, vcc, v2, v3, vcc
	v_add_co_u32_e32 v2, vcc, 25, v167
	v_addc_co_u32_e32 v3, vcc, 0, v166, vcc
	v_mul_lo_u32 v132, s15, v2
	v_mul_lo_u32 v133, s14, v3
	v_mad_u64_u32 v[2:3], s[0:1], s14, v2, 0
	v_mul_lo_u32 v159, s15, v157
	v_mul_lo_u32 v162, s15, v160
	v_add3_u32 v3, v3, v133, v132
	v_lshlrev_b64 v[2:3], 1, v[2:3]
	v_mov_b32_e32 v132, s17
	v_add_co_u32_e32 v234, vcc, s16, v2
	v_addc_co_u32_e32 v235, vcc, v132, v3, vcc
	v_add_co_u32_e32 v236, vcc, s18, v2
	v_mov_b32_e32 v2, s19
	v_addc_co_u32_e32 v237, vcc, v2, v3, vcc
	v_add_co_u32_e32 v2, vcc, 24, v167
	v_addc_co_u32_e32 v3, vcc, 0, v166, vcc
	v_mul_lo_u32 v132, s15, v2
	v_mul_lo_u32 v133, s14, v3
	v_mad_u64_u32 v[2:3], s[0:1], s14, v2, 0
	v_mul_lo_u32 v165, s15, v163
	v_add3_u32 v115, v144, v115, v143
	v_add3_u32 v3, v3, v133, v132
	v_lshlrev_b64 v[2:3], 1, v[2:3]
	v_mov_b32_e32 v132, s17
	v_add_co_u32_e32 v238, vcc, s16, v2
	v_addc_co_u32_e32 v239, vcc, v132, v3, vcc
	v_add_co_u32_e32 v240, vcc, s18, v2
	v_mov_b32_e32 v2, s19
	v_addc_co_u32_e32 v241, vcc, v2, v3, vcc
	v_add_co_u32_e32 v2, vcc, 23, v167
	v_addc_co_u32_e32 v3, vcc, 0, v166, vcc
	v_mul_lo_u32 v132, s15, v2
	v_mul_lo_u32 v133, s14, v3
	v_mad_u64_u32 v[2:3], s[0:1], s14, v2, 0
	v_add3_u32 v55, v147, v55, v146
	v_add3_u32 v57, v150, v57, v149
	v_add3_u32 v3, v3, v133, v132
	v_lshlrev_b64 v[2:3], 1, v[2:3]
	v_mov_b32_e32 v132, s17
	v_add_co_u32_e32 v242, vcc, s16, v2
	v_addc_co_u32_e32 v243, vcc, v132, v3, vcc
	v_add_co_u32_e32 v244, vcc, s18, v2
	v_mov_b32_e32 v2, s19
	v_addc_co_u32_e32 v245, vcc, v2, v3, vcc
	v_add_co_u32_e32 v2, vcc, 22, v167
	v_addc_co_u32_e32 v3, vcc, 0, v166, vcc
	v_mul_lo_u32 v132, s15, v2
	v_mul_lo_u32 v133, s14, v3
	v_mad_u64_u32 v[2:3], s[0:1], s14, v2, 0
	v_add3_u32 v59, v153, v59, v152
	v_add3_u32 v61, v156, v61, v155
	v_add3_u32 v3, v3, v133, v132
	v_lshlrev_b64 v[2:3], 1, v[2:3]
	v_mov_b32_e32 v132, s17
	v_add_co_u32_e32 v246, vcc, s16, v2
	v_addc_co_u32_e32 v247, vcc, v132, v3, vcc
	v_add_co_u32_e32 v248, vcc, s18, v2
	v_mov_b32_e32 v2, s19
	v_addc_co_u32_e32 v249, vcc, v2, v3, vcc
	v_add_co_u32_e32 v2, vcc, 21, v167
	v_addc_co_u32_e32 v3, vcc, 0, v166, vcc
	v_mul_lo_u32 v132, s15, v2
	v_mul_lo_u32 v133, s14, v3
	v_mad_u64_u32 v[2:3], s[0:1], s14, v2, 0
	v_add3_u32 v63, v159, v63, v158
	v_add3_u32 v65, v162, v65, v161
	v_add3_u32 v3, v3, v133, v132
	v_lshlrev_b64 v[2:3], 1, v[2:3]
	v_mov_b32_e32 v132, s17
	v_add_co_u32_e32 v250, vcc, s16, v2
	v_addc_co_u32_e32 v251, vcc, v132, v3, vcc
	v_add_co_u32_e32 v252, vcc, s18, v2
	v_mov_b32_e32 v2, s19
	v_addc_co_u32_e32 v253, vcc, v2, v3, vcc
	v_add_co_u32_e32 v2, vcc, 20, v167
	v_addc_co_u32_e32 v3, vcc, 0, v166, vcc
	v_mul_lo_u32 v132, s15, v2
	v_mul_lo_u32 v133, s14, v3
	v_mad_u64_u32 v[2:3], s[0:1], s14, v2, 0
	v_add3_u32 v67, v165, v67, v164
	v_add3_u32 v117, v147, v117, v146
	v_add3_u32 v3, v3, v133, v132
	v_lshlrev_b64 v[2:3], 1, v[2:3]
	v_mov_b32_e32 v132, s17
	v_add_co_u32_e32 v254, vcc, s16, v2
	v_addc_co_u32_e32 v255, vcc, v132, v3, vcc
	v_add_co_u32_e32 v134, vcc, s18, v2
	v_mov_b32_e32 v2, s19
	v_addc_co_u32_e32 v140, vcc, v2, v3, vcc
	v_add_co_u32_e32 v2, vcc, 19, v167
	v_addc_co_u32_e32 v3, vcc, 0, v166, vcc
	v_mul_lo_u32 v132, s15, v2
	v_mul_lo_u32 v133, s14, v3
	v_mad_u64_u32 v[2:3], s[0:1], s14, v2, 0
	v_add3_u32 v119, v150, v119, v149
	v_add3_u32 v121, v153, v121, v152
	v_add3_u32 v3, v3, v133, v132
	v_lshlrev_b64 v[2:3], 1, v[2:3]
	v_mov_b32_e32 v132, s17
	v_add_co_u32_e32 v206, vcc, s16, v2
	v_addc_co_u32_e32 v137, vcc, v132, v3, vcc
	v_add_co_u32_e32 v1, vcc, s18, v2
	v_mov_b32_e32 v2, s19
	buffer_store_dword v1, off, s[36:39], 0 ; 4-byte Folded Spill
	v_addc_co_u32_e32 v1, vcc, v2, v3, vcc
	v_add_co_u32_e32 v2, vcc, 18, v167
	v_addc_co_u32_e32 v3, vcc, 0, v166, vcc
	v_mul_lo_u32 v132, s15, v2
	v_mul_lo_u32 v133, s14, v3
	v_mad_u64_u32 v[2:3], s[0:1], s14, v2, 0
	buffer_store_dword v1, off, s[36:39], 0 offset:4 ; 4-byte Folded Spill
	v_add3_u32 v123, v156, v123, v155
	v_add3_u32 v3, v3, v133, v132
	v_lshlrev_b64 v[2:3], 1, v[2:3]
	v_mov_b32_e32 v132, s17
	v_add_co_u32_e32 v1, vcc, s16, v2
	buffer_store_dword v1, off, s[36:39], 0 offset:8 ; 4-byte Folded Spill
	v_addc_co_u32_e32 v1, vcc, v132, v3, vcc
	buffer_store_dword v1, off, s[36:39], 0 offset:12 ; 4-byte Folded Spill
	v_add_co_u32_e32 v1, vcc, s18, v2
	v_mov_b32_e32 v2, s19
	buffer_store_dword v1, off, s[36:39], 0 offset:16 ; 4-byte Folded Spill
	v_addc_co_u32_e32 v1, vcc, v2, v3, vcc
	v_add_co_u32_e32 v2, vcc, 17, v167
	v_addc_co_u32_e32 v3, vcc, 0, v166, vcc
	v_mul_lo_u32 v132, s15, v2
	v_mul_lo_u32 v133, s14, v3
	v_mad_u64_u32 v[2:3], s[0:1], s14, v2, 0
	buffer_store_dword v1, off, s[36:39], 0 offset:20 ; 4-byte Folded Spill
	v_add3_u32 v125, v159, v125, v158
	v_add3_u32 v3, v3, v133, v132
	v_lshlrev_b64 v[2:3], 1, v[2:3]
	v_mov_b32_e32 v132, s17
	v_add_co_u32_e32 v1, vcc, s16, v2
	buffer_store_dword v1, off, s[36:39], 0 offset:24 ; 4-byte Folded Spill
	v_addc_co_u32_e32 v1, vcc, v132, v3, vcc
	buffer_store_dword v1, off, s[36:39], 0 offset:28 ; 4-byte Folded Spill
	v_add_co_u32_e32 v1, vcc, s18, v2
	v_mov_b32_e32 v2, s19
	buffer_store_dword v1, off, s[36:39], 0 offset:32 ; 4-byte Folded Spill
	;; [unrolled: 18-line block ×4, first 2 shown]
	v_addc_co_u32_e32 v1, vcc, v2, v3, vcc
	v_add_co_u32_e32 v2, vcc, 14, v167
	v_addc_co_u32_e32 v3, vcc, 0, v166, vcc
	v_mul_lo_u32 v132, s15, v2
	v_mul_lo_u32 v133, s14, v3
	v_mad_u64_u32 v[2:3], s[0:1], s14, v2, 0
	buffer_store_dword v1, off, s[36:39], 0 offset:68 ; 4-byte Folded Spill
	v_mov_b32_e32 v146, 0
	v_add3_u32 v3, v3, v133, v132
	v_lshlrev_b64 v[2:3], 1, v[2:3]
	v_mov_b32_e32 v132, s17
	v_add_co_u32_e32 v1, vcc, s16, v2
	buffer_store_dword v1, off, s[36:39], 0 offset:72 ; 4-byte Folded Spill
	v_addc_co_u32_e32 v1, vcc, v132, v3, vcc
	buffer_store_dword v1, off, s[36:39], 0 offset:76 ; 4-byte Folded Spill
	v_add_co_u32_e32 v1, vcc, s18, v2
	v_mov_b32_e32 v2, s19
	buffer_store_dword v1, off, s[36:39], 0 offset:80 ; 4-byte Folded Spill
	v_addc_co_u32_e32 v1, vcc, v2, v3, vcc
	v_add_co_u32_e32 v2, vcc, 13, v167
	v_addc_co_u32_e32 v3, vcc, 0, v166, vcc
	v_mul_lo_u32 v132, s15, v2
	v_mul_lo_u32 v133, s14, v3
	v_mad_u64_u32 v[2:3], s[0:1], s14, v2, 0
	buffer_store_dword v1, off, s[36:39], 0 offset:84 ; 4-byte Folded Spill
	v_add3_u32 v3, v3, v133, v132
	v_lshlrev_b64 v[2:3], 1, v[2:3]
	v_mov_b32_e32 v132, s17
	v_add_co_u32_e32 v1, vcc, s16, v2
	buffer_store_dword v1, off, s[36:39], 0 offset:88 ; 4-byte Folded Spill
	v_addc_co_u32_e32 v1, vcc, v132, v3, vcc
	buffer_store_dword v1, off, s[36:39], 0 offset:92 ; 4-byte Folded Spill
	v_add_co_u32_e32 v1, vcc, s18, v2
	v_mov_b32_e32 v2, s19
	buffer_store_dword v1, off, s[36:39], 0 offset:96 ; 4-byte Folded Spill
	v_addc_co_u32_e32 v1, vcc, v2, v3, vcc
	v_add_co_u32_e32 v2, vcc, 12, v167
	v_addc_co_u32_e32 v3, vcc, 0, v166, vcc
	v_mul_lo_u32 v132, s15, v2
	v_mul_lo_u32 v133, s14, v3
	v_mad_u64_u32 v[2:3], s[0:1], s14, v2, 0
	buffer_store_dword v1, off, s[36:39], 0 offset:100 ; 4-byte Folded Spill
	;; [unrolled: 17-line block ×11, first 2 shown]
	v_add3_u32 v3, v3, v133, v132
	v_lshlrev_b64 v[2:3], 1, v[2:3]
	v_mov_b32_e32 v132, s17
	v_add_co_u32_e32 v1, vcc, s16, v2
	buffer_store_dword v1, off, s[36:39], 0 offset:248 ; 4-byte Folded Spill
	v_addc_co_u32_e32 v1, vcc, v132, v3, vcc
	buffer_store_dword v1, off, s[36:39], 0 offset:252 ; 4-byte Folded Spill
	v_add_co_u32_e32 v1, vcc, s18, v2
	v_mov_b32_e32 v2, s19
	buffer_store_dword v1, off, s[36:39], 0 offset:256 ; 4-byte Folded Spill
	v_addc_co_u32_e32 v1, vcc, v2, v3, vcc
	v_add_co_u32_e32 v132, vcc, 2, v167
	buffer_store_dword v1, off, s[36:39], 0 offset:260 ; 4-byte Folded Spill
	v_addc_co_u32_e32 v1, vcc, 0, v166, vcc
	v_mul_lo_u32 v2, s15, v132
	v_mul_lo_u32 v3, s14, v1
	v_mad_u64_u32 v[132:133], s[0:1], s14, v132, 0
	v_mov_b32_e32 v1, v137
	v_add3_u32 v133, v133, v3, v2
	v_lshlrev_b64 v[132:133], 1, v[132:133]
	v_mov_b32_e32 v3, v134
	v_add_co_u32_e32 v2, vcc, s16, v132
	buffer_store_dword v2, off, s[36:39], 0 offset:264 ; 4-byte Folded Spill
	v_mov_b32_e32 v2, s17
	v_addc_co_u32_e32 v2, vcc, v2, v133, vcc
	buffer_store_dword v2, off, s[36:39], 0 offset:268 ; 4-byte Folded Spill
	v_add_co_u32_e32 v2, vcc, s18, v132
	buffer_store_dword v2, off, s[36:39], 0 offset:272 ; 4-byte Folded Spill
	v_mov_b32_e32 v2, s19
	v_addc_co_u32_e32 v2, vcc, v2, v133, vcc
	buffer_store_dword v2, off, s[36:39], 0 offset:276 ; 4-byte Folded Spill
	v_add_co_u32_e32 v130, vcc, s14, v130
	v_mov_b32_e32 v2, s15
	v_addc_co_u32_e32 v131, vcc, v131, v2, vcc
	v_lshlrev_b64 v[130:131], 1, v[130:131]
	v_mov_b32_e32 v2, s17
	v_add_co_u32_e32 v141, vcc, s16, v130
	v_addc_co_u32_e32 v142, vcc, v2, v131, vcc
	v_add_co_u32_e32 v143, vcc, s18, v130
	v_mov_b32_e32 v2, s19
	v_addc_co_u32_e32 v144, vcc, v2, v131, vcc
	v_mbcnt_lo_u32_b32 v2, -1, 0
	v_mbcnt_hi_u32_b32 v2, -1, v2
	v_lshlrev_b32_e32 v2, 2, v2
	v_and_b32_e32 v145, 0x100, v2
	s_mov_b64 s[16:17], s[22:23]
.LBB176_149:                            ; =>This Inner Loop Header: Depth=1
	s_add_u32 s0, s22, s26
	v_mov_b32_e32 v131, s13
	s_addc_u32 s1, 0, s27
	v_mov_b32_e32 v130, s12
	v_cmp_ge_i64_e32 vcc, s[0:1], v[130:131]
	v_add_co_u32_e64 v131, s[0:1], s22, v135
	v_addc_co_u32_e64 v132, s[0:1], 0, v136, s[0:1]
	s_mov_b64 s[0:1], -1
                                        ; implicit-def: $vgpr130
	s_cbranch_vccz .LBB176_219
; %bb.150:                              ;   in Loop: Header=BB176_149 Depth=1
	v_mov_b32_e32 v2, 0
	buffer_store_dword v2, off, s[36:39], 0 offset:280 ; 4-byte Folded Spill
	s_load_dword s0, s[10:11], 0xc
	buffer_load_dword v133, off, s[36:39], 0 offset:284 ; 4-byte Folded Reload
	buffer_load_dword v134, off, s[36:39], 0 offset:288 ; 4-byte Folded Reload
	v_mov_b32_e32 v147, 0
	s_waitcnt lgkmcnt(0)
	s_and_b32 s0, s0, 0xffff
	s_waitcnt vmcnt(1)
	v_mad_u32_u24 v2, v133, s0, v0
	v_and_b32_e32 v2, 63, v2
	v_cmp_gt_u32_e32 vcc, 32, v2
	s_and_saveexec_b64 s[0:1], vcc
	s_cbranch_execz .LBB176_154
; %bb.151:                              ;   in Loop: Header=BB176_149 Depth=1
	v_add_co_u32_e32 v133, vcc, v131, v2
	s_waitcnt vmcnt(0)
	v_addc_co_u32_e32 v134, vcc, 0, v132, vcc
	v_cmp_gt_i64_e32 vcc, s[12:13], v[133:134]
	v_mov_b32_e32 v147, 0
	s_and_saveexec_b64 s[18:19], vcc
	s_cbranch_execz .LBB176_153
; %bb.152:                              ;   in Loop: Header=BB176_149 Depth=1
	v_lshlrev_b64 v[133:134], 2, v[133:134]
	v_mov_b32_e32 v2, s21
	v_add_co_u32_e32 v133, vcc, s20, v133
	v_addc_co_u32_e32 v134, vcc, v2, v134, vcc
	global_load_dword v147, v[133:134], off
.LBB176_153:                            ;   in Loop: Header=BB176_149 Depth=1
	s_or_b64 exec, exec, s[18:19]
.LBB176_154:                            ;   in Loop: Header=BB176_149 Depth=1
	s_or_b64 exec, exec, s[0:1]
	v_cmp_gt_i64_e32 vcc, s[12:13], v[131:132]
	v_mov_b32_e32 v133, 0
	s_and_saveexec_b64 s[0:1], vcc
	s_cbranch_execz .LBB176_156
; %bb.155:                              ;   in Loop: Header=BB176_149 Depth=1
	v_add_co_u32_e32 v133, vcc, v205, v4
	s_waitcnt vmcnt(0)
	v_addc_co_u32_e32 v134, vcc, v207, v5, vcc
	global_load_ushort v2, v[133:134], off
	v_add_co_u32_e32 v133, vcc, v208, v4
	v_addc_co_u32_e32 v134, vcc, v209, v5, vcc
	global_load_ushort v133, v[133:134], off
	s_waitcnt vmcnt(1)
	v_cvt_f32_f16_e32 v2, v2
	buffer_store_dword v2, off, s[36:39], 0 offset:280 ; 4-byte Folded Spill
	s_waitcnt vmcnt(1)
	v_cvt_f32_f16_e32 v133, v133
.LBB176_156:                            ;   in Loop: Header=BB176_149 Depth=1
	s_or_b64 exec, exec, s[0:1]
	v_add_co_u32_e32 v137, vcc, 1, v131
	v_addc_co_u32_e32 v138, vcc, 0, v132, vcc
	v_cmp_gt_i64_e32 vcc, s[12:13], v[137:138]
	s_waitcnt vmcnt(0)
	v_mov_b32_e32 v134, 0
	v_mov_b32_e32 v148, 0
	;; [unrolled: 1-line block ×3, first 2 shown]
	s_and_saveexec_b64 s[0:1], vcc
	s_cbranch_execz .LBB176_158
; %bb.157:                              ;   in Loop: Header=BB176_149 Depth=1
	v_add_co_u32_e32 v137, vcc, v141, v4
	v_addc_co_u32_e32 v138, vcc, v142, v5, vcc
	global_load_ushort v2, v[137:138], off
	v_add_co_u32_e32 v137, vcc, v143, v4
	v_addc_co_u32_e32 v138, vcc, v144, v5, vcc
	global_load_ushort v137, v[137:138], off
	s_waitcnt vmcnt(1)
	v_cvt_f32_f16_e32 v148, v2
	s_waitcnt vmcnt(0)
	v_cvt_f32_f16_e32 v149, v137
.LBB176_158:                            ;   in Loop: Header=BB176_149 Depth=1
	s_or_b64 exec, exec, s[0:1]
	v_add_co_u32_e32 v137, vcc, 2, v131
	v_addc_co_u32_e32 v138, vcc, 0, v132, vcc
	v_cmp_gt_i64_e32 vcc, s[12:13], v[137:138]
	v_mov_b32_e32 v151, 0
	s_and_saveexec_b64 s[0:1], vcc
	s_cbranch_execz .LBB176_160
; %bb.159:                              ;   in Loop: Header=BB176_149 Depth=1
	buffer_load_dword v2, off, s[36:39], 0 offset:264 ; 4-byte Folded Reload
	buffer_load_dword v130, off, s[36:39], 0 offset:272 ; 4-byte Folded Reload
	s_waitcnt vmcnt(1)
	v_add_co_u32_e32 v137, vcc, v2, v4
	buffer_load_dword v2, off, s[36:39], 0 offset:268 ; 4-byte Folded Reload
	s_waitcnt vmcnt(0)
	v_addc_co_u32_e32 v138, vcc, v2, v5, vcc
	global_load_ushort v2, v[137:138], off
	v_add_co_u32_e32 v137, vcc, v130, v4
	buffer_load_dword v130, off, s[36:39], 0 offset:276 ; 4-byte Folded Reload
	s_waitcnt vmcnt(1)
	v_cvt_f32_f16_e32 v134, v2
	s_waitcnt vmcnt(0)
	v_addc_co_u32_e32 v138, vcc, v130, v5, vcc
	global_load_ushort v137, v[137:138], off
	s_waitcnt vmcnt(0)
	v_cvt_f32_f16_e32 v151, v137
.LBB176_160:                            ;   in Loop: Header=BB176_149 Depth=1
	s_or_b64 exec, exec, s[0:1]
	v_add_co_u32_e32 v137, vcc, 3, v131
	v_addc_co_u32_e32 v138, vcc, 0, v132, vcc
	v_cmp_gt_i64_e32 vcc, s[12:13], v[137:138]
	v_mov_b32_e32 v150, 0
	v_mov_b32_e32 v152, 0
	v_mov_b32_e32 v153, 0
	s_and_saveexec_b64 s[0:1], vcc
	s_cbranch_execz .LBB176_162
; %bb.161:                              ;   in Loop: Header=BB176_149 Depth=1
	buffer_load_dword v2, off, s[36:39], 0 offset:248 ; 4-byte Folded Reload
	buffer_load_dword v130, off, s[36:39], 0 offset:256 ; 4-byte Folded Reload
	s_waitcnt vmcnt(1)
	v_add_co_u32_e32 v137, vcc, v2, v4
	buffer_load_dword v2, off, s[36:39], 0 offset:252 ; 4-byte Folded Reload
	s_waitcnt vmcnt(0)
	v_addc_co_u32_e32 v138, vcc, v2, v5, vcc
	global_load_ushort v2, v[137:138], off
	v_add_co_u32_e32 v137, vcc, v130, v4
	buffer_load_dword v130, off, s[36:39], 0 offset:260 ; 4-byte Folded Reload
	s_waitcnt vmcnt(1)
	v_cvt_f32_f16_e32 v152, v2
	s_waitcnt vmcnt(0)
	v_addc_co_u32_e32 v138, vcc, v130, v5, vcc
	global_load_ushort v137, v[137:138], off
	s_waitcnt vmcnt(0)
	v_cvt_f32_f16_e32 v153, v137
.LBB176_162:                            ;   in Loop: Header=BB176_149 Depth=1
	s_or_b64 exec, exec, s[0:1]
	v_add_co_u32_e32 v137, vcc, 4, v131
	v_addc_co_u32_e32 v138, vcc, 0, v132, vcc
	v_cmp_gt_i64_e32 vcc, s[12:13], v[137:138]
	v_mov_b32_e32 v155, 0
	s_and_saveexec_b64 s[0:1], vcc
	s_cbranch_execz .LBB176_164
; %bb.163:                              ;   in Loop: Header=BB176_149 Depth=1
	buffer_load_dword v2, off, s[36:39], 0 offset:232 ; 4-byte Folded Reload
	buffer_load_dword v130, off, s[36:39], 0 offset:240 ; 4-byte Folded Reload
	s_waitcnt vmcnt(1)
	v_add_co_u32_e32 v137, vcc, v2, v4
	buffer_load_dword v2, off, s[36:39], 0 offset:236 ; 4-byte Folded Reload
	s_waitcnt vmcnt(0)
	v_addc_co_u32_e32 v138, vcc, v2, v5, vcc
	global_load_ushort v2, v[137:138], off
	v_add_co_u32_e32 v137, vcc, v130, v4
	buffer_load_dword v130, off, s[36:39], 0 offset:244 ; 4-byte Folded Reload
	s_waitcnt vmcnt(1)
	v_cvt_f32_f16_e32 v150, v2
	s_waitcnt vmcnt(0)
	v_addc_co_u32_e32 v138, vcc, v130, v5, vcc
	global_load_ushort v137, v[137:138], off
	s_waitcnt vmcnt(0)
	v_cvt_f32_f16_e32 v155, v137
.LBB176_164:                            ;   in Loop: Header=BB176_149 Depth=1
	s_or_b64 exec, exec, s[0:1]
	v_add_co_u32_e32 v137, vcc, 5, v131
	v_addc_co_u32_e32 v138, vcc, 0, v132, vcc
	v_cmp_gt_i64_e32 vcc, s[12:13], v[137:138]
	v_mov_b32_e32 v154, 0
	v_mov_b32_e32 v156, 0
	v_mov_b32_e32 v157, 0
	s_and_saveexec_b64 s[0:1], vcc
	s_cbranch_execz .LBB176_166
; %bb.165:                              ;   in Loop: Header=BB176_149 Depth=1
	buffer_load_dword v2, off, s[36:39], 0 offset:216 ; 4-byte Folded Reload
	buffer_load_dword v130, off, s[36:39], 0 offset:224 ; 4-byte Folded Reload
	s_waitcnt vmcnt(1)
	v_add_co_u32_e32 v137, vcc, v2, v4
	buffer_load_dword v2, off, s[36:39], 0 offset:220 ; 4-byte Folded Reload
	s_waitcnt vmcnt(0)
	v_addc_co_u32_e32 v138, vcc, v2, v5, vcc
	global_load_ushort v2, v[137:138], off
	v_add_co_u32_e32 v137, vcc, v130, v4
	buffer_load_dword v130, off, s[36:39], 0 offset:228 ; 4-byte Folded Reload
	s_waitcnt vmcnt(1)
	v_cvt_f32_f16_e32 v156, v2
	s_waitcnt vmcnt(0)
	v_addc_co_u32_e32 v138, vcc, v130, v5, vcc
	global_load_ushort v137, v[137:138], off
	s_waitcnt vmcnt(0)
	v_cvt_f32_f16_e32 v157, v137
.LBB176_166:                            ;   in Loop: Header=BB176_149 Depth=1
	s_or_b64 exec, exec, s[0:1]
	v_add_co_u32_e32 v137, vcc, 6, v131
	v_addc_co_u32_e32 v138, vcc, 0, v132, vcc
	v_cmp_gt_i64_e32 vcc, s[12:13], v[137:138]
	v_mov_b32_e32 v159, 0
	s_and_saveexec_b64 s[0:1], vcc
	s_cbranch_execz .LBB176_168
; %bb.167:                              ;   in Loop: Header=BB176_149 Depth=1
	buffer_load_dword v2, off, s[36:39], 0 offset:200 ; 4-byte Folded Reload
	buffer_load_dword v130, off, s[36:39], 0 offset:208 ; 4-byte Folded Reload
	s_waitcnt vmcnt(1)
	v_add_co_u32_e32 v137, vcc, v2, v4
	buffer_load_dword v2, off, s[36:39], 0 offset:204 ; 4-byte Folded Reload
	s_waitcnt vmcnt(0)
	v_addc_co_u32_e32 v138, vcc, v2, v5, vcc
	global_load_ushort v2, v[137:138], off
	v_add_co_u32_e32 v137, vcc, v130, v4
	buffer_load_dword v130, off, s[36:39], 0 offset:212 ; 4-byte Folded Reload
	s_waitcnt vmcnt(1)
	v_cvt_f32_f16_e32 v154, v2
	s_waitcnt vmcnt(0)
	v_addc_co_u32_e32 v138, vcc, v130, v5, vcc
	global_load_ushort v137, v[137:138], off
	s_waitcnt vmcnt(0)
	v_cvt_f32_f16_e32 v159, v137
.LBB176_168:                            ;   in Loop: Header=BB176_149 Depth=1
	s_or_b64 exec, exec, s[0:1]
	v_add_co_u32_e32 v137, vcc, 7, v131
	v_addc_co_u32_e32 v138, vcc, 0, v132, vcc
	v_cmp_gt_i64_e32 vcc, s[12:13], v[137:138]
	v_mov_b32_e32 v158, 0
	v_mov_b32_e32 v160, 0
	v_mov_b32_e32 v161, 0
	s_and_saveexec_b64 s[0:1], vcc
	s_cbranch_execz .LBB176_170
; %bb.169:                              ;   in Loop: Header=BB176_149 Depth=1
	buffer_load_dword v2, off, s[36:39], 0 offset:184 ; 4-byte Folded Reload
	buffer_load_dword v130, off, s[36:39], 0 offset:192 ; 4-byte Folded Reload
	s_waitcnt vmcnt(1)
	v_add_co_u32_e32 v137, vcc, v2, v4
	buffer_load_dword v2, off, s[36:39], 0 offset:188 ; 4-byte Folded Reload
	s_waitcnt vmcnt(0)
	v_addc_co_u32_e32 v138, vcc, v2, v5, vcc
	global_load_ushort v2, v[137:138], off
	v_add_co_u32_e32 v137, vcc, v130, v4
	buffer_load_dword v130, off, s[36:39], 0 offset:196 ; 4-byte Folded Reload
	s_waitcnt vmcnt(1)
	v_cvt_f32_f16_e32 v160, v2
	s_waitcnt vmcnt(0)
	v_addc_co_u32_e32 v138, vcc, v130, v5, vcc
	global_load_ushort v137, v[137:138], off
	s_waitcnt vmcnt(0)
	v_cvt_f32_f16_e32 v161, v137
.LBB176_170:                            ;   in Loop: Header=BB176_149 Depth=1
	s_or_b64 exec, exec, s[0:1]
	v_add_co_u32_e32 v137, vcc, 8, v131
	v_addc_co_u32_e32 v138, vcc, 0, v132, vcc
	v_cmp_gt_i64_e32 vcc, s[12:13], v[137:138]
	v_mov_b32_e32 v163, 0
	s_and_saveexec_b64 s[0:1], vcc
	s_cbranch_execz .LBB176_172
; %bb.171:                              ;   in Loop: Header=BB176_149 Depth=1
	buffer_load_dword v2, off, s[36:39], 0 offset:168 ; 4-byte Folded Reload
	buffer_load_dword v130, off, s[36:39], 0 offset:176 ; 4-byte Folded Reload
	s_waitcnt vmcnt(1)
	v_add_co_u32_e32 v137, vcc, v2, v4
	buffer_load_dword v2, off, s[36:39], 0 offset:172 ; 4-byte Folded Reload
	s_waitcnt vmcnt(0)
	v_addc_co_u32_e32 v138, vcc, v2, v5, vcc
	global_load_ushort v2, v[137:138], off
	v_add_co_u32_e32 v137, vcc, v130, v4
	buffer_load_dword v130, off, s[36:39], 0 offset:180 ; 4-byte Folded Reload
	s_waitcnt vmcnt(1)
	v_cvt_f32_f16_e32 v158, v2
	s_waitcnt vmcnt(0)
	v_addc_co_u32_e32 v138, vcc, v130, v5, vcc
	global_load_ushort v137, v[137:138], off
	s_waitcnt vmcnt(0)
	v_cvt_f32_f16_e32 v163, v137
.LBB176_172:                            ;   in Loop: Header=BB176_149 Depth=1
	s_or_b64 exec, exec, s[0:1]
	v_add_co_u32_e32 v137, vcc, 9, v131
	v_addc_co_u32_e32 v138, vcc, 0, v132, vcc
	v_cmp_gt_i64_e32 vcc, s[12:13], v[137:138]
	v_mov_b32_e32 v162, 0
	v_mov_b32_e32 v164, 0
	v_mov_b32_e32 v165, 0
	s_and_saveexec_b64 s[0:1], vcc
	s_cbranch_execz .LBB176_174
; %bb.173:                              ;   in Loop: Header=BB176_149 Depth=1
	buffer_load_dword v2, off, s[36:39], 0 offset:152 ; 4-byte Folded Reload
	buffer_load_dword v130, off, s[36:39], 0 offset:160 ; 4-byte Folded Reload
	s_waitcnt vmcnt(1)
	v_add_co_u32_e32 v137, vcc, v2, v4
	buffer_load_dword v2, off, s[36:39], 0 offset:156 ; 4-byte Folded Reload
	s_waitcnt vmcnt(0)
	v_addc_co_u32_e32 v138, vcc, v2, v5, vcc
	global_load_ushort v2, v[137:138], off
	v_add_co_u32_e32 v137, vcc, v130, v4
	buffer_load_dword v130, off, s[36:39], 0 offset:164 ; 4-byte Folded Reload
	s_waitcnt vmcnt(1)
	v_cvt_f32_f16_e32 v164, v2
	s_waitcnt vmcnt(0)
	v_addc_co_u32_e32 v138, vcc, v130, v5, vcc
	global_load_ushort v137, v[137:138], off
	s_waitcnt vmcnt(0)
	v_cvt_f32_f16_e32 v165, v137
.LBB176_174:                            ;   in Loop: Header=BB176_149 Depth=1
	s_or_b64 exec, exec, s[0:1]
	v_add_co_u32_e32 v137, vcc, 10, v131
	v_addc_co_u32_e32 v138, vcc, 0, v132, vcc
	v_cmp_gt_i64_e32 vcc, s[12:13], v[137:138]
	v_mov_b32_e32 v167, 0
	s_and_saveexec_b64 s[0:1], vcc
	s_cbranch_execz .LBB176_176
; %bb.175:                              ;   in Loop: Header=BB176_149 Depth=1
	buffer_load_dword v2, off, s[36:39], 0 offset:136 ; 4-byte Folded Reload
	buffer_load_dword v130, off, s[36:39], 0 offset:144 ; 4-byte Folded Reload
	s_waitcnt vmcnt(1)
	v_add_co_u32_e32 v137, vcc, v2, v4
	buffer_load_dword v2, off, s[36:39], 0 offset:140 ; 4-byte Folded Reload
	s_waitcnt vmcnt(0)
	v_addc_co_u32_e32 v138, vcc, v2, v5, vcc
	global_load_ushort v2, v[137:138], off
	v_add_co_u32_e32 v137, vcc, v130, v4
	buffer_load_dword v130, off, s[36:39], 0 offset:148 ; 4-byte Folded Reload
	s_waitcnt vmcnt(1)
	v_cvt_f32_f16_e32 v162, v2
	s_waitcnt vmcnt(0)
	v_addc_co_u32_e32 v138, vcc, v130, v5, vcc
	global_load_ushort v137, v[137:138], off
	s_waitcnt vmcnt(0)
	v_cvt_f32_f16_e32 v167, v137
.LBB176_176:                            ;   in Loop: Header=BB176_149 Depth=1
	s_or_b64 exec, exec, s[0:1]
	v_add_co_u32_e32 v137, vcc, 11, v131
	v_addc_co_u32_e32 v138, vcc, 0, v132, vcc
	v_cmp_gt_i64_e32 vcc, s[12:13], v[137:138]
	v_mov_b32_e32 v166, 0
	v_mov_b32_e32 v2, 0
	v_mov_b32_e32 v137, 0
	s_and_saveexec_b64 s[0:1], vcc
	s_cbranch_execz .LBB176_178
; %bb.177:                              ;   in Loop: Header=BB176_149 Depth=1
	buffer_load_dword v2, off, s[36:39], 0 offset:120 ; 4-byte Folded Reload
	buffer_load_dword v130, off, s[36:39], 0 offset:128 ; 4-byte Folded Reload
	s_waitcnt vmcnt(1)
	v_add_co_u32_e32 v137, vcc, v2, v4
	buffer_load_dword v2, off, s[36:39], 0 offset:124 ; 4-byte Folded Reload
	s_waitcnt vmcnt(0)
	v_addc_co_u32_e32 v138, vcc, v2, v5, vcc
	global_load_ushort v2, v[137:138], off
	v_add_co_u32_e32 v137, vcc, v130, v4
	buffer_load_dword v130, off, s[36:39], 0 offset:132 ; 4-byte Folded Reload
	s_waitcnt vmcnt(1)
	v_cvt_f32_f16_e32 v2, v2
	s_waitcnt vmcnt(0)
	v_addc_co_u32_e32 v138, vcc, v130, v5, vcc
	global_load_ushort v137, v[137:138], off
	s_waitcnt vmcnt(0)
	v_cvt_f32_f16_e32 v137, v137
.LBB176_178:                            ;   in Loop: Header=BB176_149 Depth=1
	s_or_b64 exec, exec, s[0:1]
	v_add_co_u32_e32 v138, vcc, 12, v131
	v_addc_co_u32_e32 v139, vcc, 0, v132, vcc
	v_cmp_gt_i64_e32 vcc, s[12:13], v[138:139]
	v_mov_b32_e32 v138, 0
	s_and_saveexec_b64 s[0:1], vcc
	s_cbranch_execz .LBB176_180
; %bb.179:                              ;   in Loop: Header=BB176_149 Depth=1
	buffer_load_dword v130, off, s[36:39], 0 offset:104 ; 4-byte Folded Reload
	s_waitcnt vmcnt(0)
	v_add_co_u32_e32 v138, vcc, v130, v4
	buffer_load_dword v130, off, s[36:39], 0 offset:108 ; 4-byte Folded Reload
	s_waitcnt vmcnt(0)
	v_addc_co_u32_e32 v139, vcc, v130, v5, vcc
	buffer_load_dword v130, off, s[36:39], 0 offset:112 ; 4-byte Folded Reload
	global_load_ushort v166, v[138:139], off
	s_waitcnt vmcnt(1)
	v_add_co_u32_e32 v138, vcc, v130, v4
	buffer_load_dword v130, off, s[36:39], 0 offset:116 ; 4-byte Folded Reload
	s_waitcnt vmcnt(1)
	v_cvt_f32_f16_e32 v166, v166
	s_waitcnt vmcnt(0)
	v_addc_co_u32_e32 v139, vcc, v130, v5, vcc
	global_load_ushort v138, v[138:139], off
	s_waitcnt vmcnt(0)
	v_cvt_f32_f16_e32 v138, v138
.LBB176_180:                            ;   in Loop: Header=BB176_149 Depth=1
	s_or_b64 exec, exec, s[0:1]
	v_add_co_u32_e32 v168, vcc, 13, v131
	v_addc_co_u32_e32 v169, vcc, 0, v132, vcc
	v_cmp_gt_i64_e32 vcc, s[12:13], v[168:169]
	v_mov_b32_e32 v168, 0
	v_mov_b32_e32 v169, 0
	v_mov_b32_e32 v170, 0
	s_and_saveexec_b64 s[0:1], vcc
	s_cbranch_execz .LBB176_182
; %bb.181:                              ;   in Loop: Header=BB176_149 Depth=1
	buffer_load_dword v130, off, s[36:39], 0 offset:88 ; 4-byte Folded Reload
	s_waitcnt vmcnt(0)
	v_add_co_u32_e32 v169, vcc, v130, v4
	buffer_load_dword v130, off, s[36:39], 0 offset:92 ; 4-byte Folded Reload
	s_waitcnt vmcnt(0)
	v_addc_co_u32_e32 v170, vcc, v130, v5, vcc
	buffer_load_dword v130, off, s[36:39], 0 offset:96 ; 4-byte Folded Reload
	global_load_ushort v139, v[169:170], off
	s_waitcnt vmcnt(1)
	v_add_co_u32_e32 v169, vcc, v130, v4
	buffer_load_dword v130, off, s[36:39], 0 offset:100 ; 4-byte Folded Reload
	s_waitcnt vmcnt(0)
	v_addc_co_u32_e32 v170, vcc, v130, v5, vcc
	global_load_ushort v170, v[169:170], off
	v_cvt_f32_f16_e32 v169, v139
	s_waitcnt vmcnt(0)
	v_cvt_f32_f16_e32 v170, v170
.LBB176_182:                            ;   in Loop: Header=BB176_149 Depth=1
	s_or_b64 exec, exec, s[0:1]
	v_add_co_u32_e32 v171, vcc, 14, v131
	v_addc_co_u32_e32 v172, vcc, 0, v132, vcc
	v_cmp_gt_i64_e32 vcc, s[12:13], v[171:172]
	v_mov_b32_e32 v172, 0
	s_and_saveexec_b64 s[0:1], vcc
	s_cbranch_execz .LBB176_184
; %bb.183:                              ;   in Loop: Header=BB176_149 Depth=1
	buffer_load_dword v130, off, s[36:39], 0 offset:72 ; 4-byte Folded Reload
	s_waitcnt vmcnt(0)
	v_add_co_u32_e32 v171, vcc, v130, v4
	buffer_load_dword v130, off, s[36:39], 0 offset:76 ; 4-byte Folded Reload
	s_waitcnt vmcnt(0)
	v_addc_co_u32_e32 v172, vcc, v130, v5, vcc
	buffer_load_dword v130, off, s[36:39], 0 offset:80 ; 4-byte Folded Reload
	global_load_ushort v139, v[171:172], off
	s_waitcnt vmcnt(1)
	v_add_co_u32_e32 v171, vcc, v130, v4
	buffer_load_dword v130, off, s[36:39], 0 offset:84 ; 4-byte Folded Reload
	s_waitcnt vmcnt(1)
	v_cvt_f32_f16_e32 v168, v139
	s_waitcnt vmcnt(0)
	v_addc_co_u32_e32 v172, vcc, v130, v5, vcc
	global_load_ushort v171, v[171:172], off
	s_waitcnt vmcnt(0)
	v_cvt_f32_f16_e32 v172, v171
.LBB176_184:                            ;   in Loop: Header=BB176_149 Depth=1
	s_or_b64 exec, exec, s[0:1]
	v_add_co_u32_e32 v173, vcc, 15, v131
	v_addc_co_u32_e32 v174, vcc, 0, v132, vcc
	v_cmp_gt_i64_e32 vcc, s[12:13], v[173:174]
	v_mov_b32_e32 v171, 0
	v_mov_b32_e32 v173, 0
	v_mov_b32_e32 v139, 0
	s_and_saveexec_b64 s[0:1], vcc
	s_cbranch_execz .LBB176_186
; %bb.185:                              ;   in Loop: Header=BB176_149 Depth=1
	buffer_load_dword v130, off, s[36:39], 0 offset:56 ; 4-byte Folded Reload
	s_waitcnt vmcnt(0)
	v_add_co_u32_e32 v173, vcc, v130, v4
	buffer_load_dword v130, off, s[36:39], 0 offset:60 ; 4-byte Folded Reload
	s_waitcnt vmcnt(0)
	v_addc_co_u32_e32 v174, vcc, v130, v5, vcc
	buffer_load_dword v130, off, s[36:39], 0 offset:64 ; 4-byte Folded Reload
	global_load_ushort v139, v[173:174], off
	s_waitcnt vmcnt(1)
	v_add_co_u32_e32 v173, vcc, v130, v4
	buffer_load_dword v130, off, s[36:39], 0 offset:68 ; 4-byte Folded Reload
	s_waitcnt vmcnt(0)
	v_addc_co_u32_e32 v174, vcc, v130, v5, vcc
	global_load_ushort v174, v[173:174], off
	v_cvt_f32_f16_e32 v173, v139
	s_waitcnt vmcnt(0)
	v_cvt_f32_f16_e32 v139, v174
.LBB176_186:                            ;   in Loop: Header=BB176_149 Depth=1
	;; [unrolled: 55-line block ×3, first 2 shown]
	s_or_b64 exec, exec, s[0:1]
	v_add_co_u32_e32 v178, vcc, 18, v131
	v_addc_co_u32_e32 v179, vcc, 0, v132, vcc
	v_cmp_gt_i64_e32 vcc, s[12:13], v[178:179]
	v_mov_b32_e32 v179, 0
	s_and_saveexec_b64 s[0:1], vcc
	s_cbranch_execz .LBB176_192
; %bb.191:                              ;   in Loop: Header=BB176_149 Depth=1
	buffer_load_dword v130, off, s[36:39], 0 offset:8 ; 4-byte Folded Reload
	s_waitcnt vmcnt(0)
	v_add_co_u32_e32 v178, vcc, v130, v4
	buffer_load_dword v130, off, s[36:39], 0 offset:12 ; 4-byte Folded Reload
	s_waitcnt vmcnt(0)
	v_addc_co_u32_e32 v179, vcc, v130, v5, vcc
	buffer_load_dword v130, off, s[36:39], 0 offset:16 ; 4-byte Folded Reload
	global_load_ushort v174, v[178:179], off
	s_waitcnt vmcnt(1)
	v_add_co_u32_e32 v178, vcc, v130, v4
	buffer_load_dword v130, off, s[36:39], 0 offset:20 ; 4-byte Folded Reload
	s_waitcnt vmcnt(1)
	v_cvt_f32_f16_e32 v174, v174
	s_waitcnt vmcnt(0)
	v_addc_co_u32_e32 v179, vcc, v130, v5, vcc
	global_load_ushort v178, v[178:179], off
	s_waitcnt vmcnt(0)
	v_cvt_f32_f16_e32 v179, v178
.LBB176_192:                            ;   in Loop: Header=BB176_149 Depth=1
	s_or_b64 exec, exec, s[0:1]
	v_add_co_u32_e32 v180, vcc, 19, v131
	v_addc_co_u32_e32 v181, vcc, 0, v132, vcc
	v_cmp_gt_i64_e32 vcc, s[12:13], v[180:181]
	v_mov_b32_e32 v178, 0
	v_mov_b32_e32 v180, 0
	;; [unrolled: 1-line block ×3, first 2 shown]
	s_and_saveexec_b64 s[0:1], vcc
	s_cbranch_execz .LBB176_194
; %bb.193:                              ;   in Loop: Header=BB176_149 Depth=1
	buffer_load_dword v130, off, s[36:39], 0 ; 4-byte Folded Reload
	v_add_co_u32_e32 v180, vcc, v206, v4
	v_addc_co_u32_e32 v181, vcc, v1, v5, vcc
	global_load_ushort v182, v[180:181], off
	s_waitcnt vmcnt(1)
	v_add_co_u32_e32 v180, vcc, v130, v4
	buffer_load_dword v130, off, s[36:39], 0 offset:4 ; 4-byte Folded Reload
	s_waitcnt vmcnt(0)
	v_addc_co_u32_e32 v181, vcc, v130, v5, vcc
	global_load_ushort v181, v[180:181], off
	v_cvt_f32_f16_e32 v180, v182
	s_waitcnt vmcnt(0)
	v_cvt_f32_f16_e32 v181, v181
.LBB176_194:                            ;   in Loop: Header=BB176_149 Depth=1
	s_or_b64 exec, exec, s[0:1]
	v_add_co_u32_e32 v182, vcc, 20, v131
	v_addc_co_u32_e32 v183, vcc, 0, v132, vcc
	v_cmp_gt_i64_e32 vcc, s[12:13], v[182:183]
	v_mov_b32_e32 v183, 0
	s_and_saveexec_b64 s[0:1], vcc
	s_cbranch_execz .LBB176_196
; %bb.195:                              ;   in Loop: Header=BB176_149 Depth=1
	v_add_co_u32_e32 v182, vcc, v254, v4
	v_addc_co_u32_e32 v183, vcc, v255, v5, vcc
	global_load_ushort v178, v[182:183], off
	v_add_co_u32_e32 v182, vcc, v3, v4
	v_addc_co_u32_e32 v183, vcc, v140, v5, vcc
	global_load_ushort v182, v[182:183], off
	s_waitcnt vmcnt(1)
	v_cvt_f32_f16_e32 v178, v178
	s_waitcnt vmcnt(0)
	v_cvt_f32_f16_e32 v183, v182
.LBB176_196:                            ;   in Loop: Header=BB176_149 Depth=1
	s_or_b64 exec, exec, s[0:1]
	v_add_co_u32_e32 v184, vcc, 21, v131
	v_addc_co_u32_e32 v185, vcc, 0, v132, vcc
	v_cmp_gt_i64_e32 vcc, s[12:13], v[184:185]
	v_mov_b32_e32 v182, 0
	v_mov_b32_e32 v184, 0
	v_mov_b32_e32 v185, 0
	s_and_saveexec_b64 s[0:1], vcc
	s_cbranch_execz .LBB176_198
; %bb.197:                              ;   in Loop: Header=BB176_149 Depth=1
	v_add_co_u32_e32 v184, vcc, v250, v4
	v_addc_co_u32_e32 v185, vcc, v251, v5, vcc
	global_load_ushort v186, v[184:185], off
	v_add_co_u32_e32 v184, vcc, v252, v4
	v_addc_co_u32_e32 v185, vcc, v253, v5, vcc
	global_load_ushort v185, v[184:185], off
	s_waitcnt vmcnt(1)
	v_cvt_f32_f16_e32 v184, v186
	s_waitcnt vmcnt(0)
	v_cvt_f32_f16_e32 v185, v185
.LBB176_198:                            ;   in Loop: Header=BB176_149 Depth=1
	s_or_b64 exec, exec, s[0:1]
	v_add_co_u32_e32 v186, vcc, 22, v131
	v_addc_co_u32_e32 v187, vcc, 0, v132, vcc
	v_cmp_gt_i64_e32 vcc, s[12:13], v[186:187]
	v_mov_b32_e32 v187, 0
	s_and_saveexec_b64 s[0:1], vcc
	s_cbranch_execz .LBB176_200
; %bb.199:                              ;   in Loop: Header=BB176_149 Depth=1
	v_add_co_u32_e32 v186, vcc, v246, v4
	v_addc_co_u32_e32 v187, vcc, v247, v5, vcc
	global_load_ushort v182, v[186:187], off
	v_add_co_u32_e32 v186, vcc, v248, v4
	v_addc_co_u32_e32 v187, vcc, v249, v5, vcc
	global_load_ushort v186, v[186:187], off
	s_waitcnt vmcnt(1)
	v_cvt_f32_f16_e32 v182, v182
	s_waitcnt vmcnt(0)
	v_cvt_f32_f16_e32 v187, v186
.LBB176_200:                            ;   in Loop: Header=BB176_149 Depth=1
	s_or_b64 exec, exec, s[0:1]
	v_add_co_u32_e32 v188, vcc, 23, v131
	v_addc_co_u32_e32 v189, vcc, 0, v132, vcc
	v_cmp_gt_i64_e32 vcc, s[12:13], v[188:189]
	v_mov_b32_e32 v186, 0
	v_mov_b32_e32 v188, 0
	v_mov_b32_e32 v189, 0
	s_and_saveexec_b64 s[0:1], vcc
	s_cbranch_execz .LBB176_202
; %bb.201:                              ;   in Loop: Header=BB176_149 Depth=1
	v_add_co_u32_e32 v188, vcc, v242, v4
	v_addc_co_u32_e32 v189, vcc, v243, v5, vcc
	global_load_ushort v190, v[188:189], off
	v_add_co_u32_e32 v188, vcc, v244, v4
	v_addc_co_u32_e32 v189, vcc, v245, v5, vcc
	global_load_ushort v189, v[188:189], off
	s_waitcnt vmcnt(1)
	v_cvt_f32_f16_e32 v188, v190
	s_waitcnt vmcnt(0)
	v_cvt_f32_f16_e32 v189, v189
.LBB176_202:                            ;   in Loop: Header=BB176_149 Depth=1
	;; [unrolled: 40-line block ×5, first 2 shown]
	s_or_b64 exec, exec, s[0:1]
	v_add_co_u32_e32 v202, vcc, 30, v131
	v_addc_co_u32_e32 v203, vcc, 0, v132, vcc
	v_cmp_gt_i64_e32 vcc, s[12:13], v[202:203]
	v_mov_b32_e32 v202, 0
	s_and_saveexec_b64 s[0:1], vcc
	s_cbranch_execz .LBB176_216
; %bb.215:                              ;   in Loop: Header=BB176_149 Depth=1
	v_add_co_u32_e32 v202, vcc, v214, v4
	v_addc_co_u32_e32 v203, vcc, v215, v5, vcc
	global_load_ushort v199, v[202:203], off
	v_add_co_u32_e32 v202, vcc, v216, v4
	v_addc_co_u32_e32 v203, vcc, v217, v5, vcc
	global_load_ushort v202, v[202:203], off
	s_waitcnt vmcnt(1)
	v_cvt_f32_f16_e32 v199, v199
	s_waitcnt vmcnt(0)
	v_cvt_f32_f16_e32 v202, v202
.LBB176_216:                            ;   in Loop: Header=BB176_149 Depth=1
	s_or_b64 exec, exec, s[0:1]
	v_add_co_u32_e32 v203, vcc, 31, v131
	v_addc_co_u32_e32 v204, vcc, 0, v132, vcc
	v_cmp_gt_i64_e32 vcc, s[12:13], v[203:204]
	v_mov_b32_e32 v203, 0
	s_and_saveexec_b64 s[0:1], vcc
	s_cbranch_execz .LBB176_218
; %bb.217:                              ;   in Loop: Header=BB176_149 Depth=1
	v_add_co_u32_e32 v203, vcc, v210, v4
	v_addc_co_u32_e32 v204, vcc, v211, v5, vcc
	v_mov_b32_e32 v130, v1
	v_mov_b32_e32 v1, v206
	;; [unrolled: 1-line block ×51, first 2 shown]
	global_load_ushort v205, v[203:204], off
	v_add_co_u32_e32 v203, vcc, v212, v4
	v_addc_co_u32_e32 v204, vcc, v213, v5, vcc
	global_load_ushort v203, v[203:204], off
	s_waitcnt vmcnt(1)
	v_cvt_f32_f16_e32 v204, v205
	v_mov_b32_e32 v205, v207
	v_mov_b32_e32 v207, v208
	;; [unrolled: 1-line block ×4, first 2 shown]
	s_waitcnt vmcnt(0)
	v_cvt_f32_f16_e32 v203, v203
	v_mov_b32_e32 v210, v211
	v_mov_b32_e32 v211, v217
	;; [unrolled: 1-line block ×47, first 2 shown]
	v_mul_f32_e32 v203, v204, v203
.LBB176_218:                            ;   in Loop: Header=BB176_149 Depth=1
	s_or_b64 exec, exec, s[0:1]
	buffer_load_dword v130, off, s[36:39], 0 offset:280 ; 4-byte Folded Reload
	ds_bpermute_b32 v204, v145, v147
	v_mul_f32_e32 v148, v148, v149
	v_mul_f32_e32 v134, v134, v151
	;; [unrolled: 1-line block ×3, first 2 shown]
	s_mov_b64 s[0:1], 0
	s_waitcnt vmcnt(0)
	v_mul_f32_e32 v130, v130, v133
	ds_bpermute_b32 v133, v145, v147 offset:4
	s_waitcnt lgkmcnt(1)
	v_fma_f32 v130, v130, v204, v146
	s_waitcnt lgkmcnt(0)
	v_fmac_f32_e32 v130, v148, v133
	ds_bpermute_b32 v133, v145, v147 offset:8
	s_waitcnt lgkmcnt(0)
	v_fmac_f32_e32 v130, v134, v133
	ds_bpermute_b32 v133, v145, v147 offset:12
	v_mul_f32_e32 v134, v152, v153
	s_waitcnt lgkmcnt(0)
	v_fmac_f32_e32 v130, v134, v133
	ds_bpermute_b32 v133, v145, v147 offset:16
	v_mul_f32_e32 v134, v150, v155
	;; [unrolled: 4-line block ×8, first 2 shown]
	s_waitcnt lgkmcnt(0)
	v_fmac_f32_e32 v130, v134, v133
	ds_bpermute_b32 v133, v145, v147 offset:44
	s_waitcnt lgkmcnt(0)
	v_fmac_f32_e32 v130, v2, v133
	ds_bpermute_b32 v2, v145, v147 offset:48
	v_mul_f32_e32 v133, v166, v138
	s_waitcnt lgkmcnt(0)
	v_fmac_f32_e32 v130, v133, v2
	ds_bpermute_b32 v2, v145, v147 offset:52
	v_mul_f32_e32 v133, v169, v170
	;; [unrolled: 4-line block ×19, first 2 shown]
	s_waitcnt lgkmcnt(0)
	v_fmac_f32_e32 v130, v133, v2
	ds_bpermute_b32 v2, v145, v147 offset:124
	s_waitcnt lgkmcnt(0)
	v_fmac_f32_e32 v130, v203, v2
.LBB176_219:                            ;   in Loop: Header=BB176_149 Depth=1
	s_and_b64 vcc, exec, s[0:1]
	s_cbranch_vccz .LBB176_225
; %bb.220:                              ;   in Loop: Header=BB176_149 Depth=1
	s_load_dword s0, s[10:11], 0x0
	buffer_load_dword v133, off, s[36:39], 0 offset:292 ; 4-byte Folded Reload
	buffer_load_dword v134, off, s[36:39], 0 offset:296 ; 4-byte Folded Reload
	s_waitcnt lgkmcnt(0)
	s_cmp_lt_u32 s6, s0
	s_cselect_b32 s0, 12, 18
	s_add_u32 s0, s10, s0
	s_addc_u32 s1, s11, 0
	s_waitcnt vmcnt(0)
	global_load_ushort v2, v134, s[0:1]
	s_nop 0
	buffer_load_dword v133, off, s[36:39], 0 offset:284 ; 4-byte Folded Reload
	buffer_load_dword v134, off, s[36:39], 0 offset:288 ; 4-byte Folded Reload
	s_waitcnt vmcnt(1)
	v_mad_u32_u24 v2, v133, v2, v0
	v_and_b32_e32 v2, 63, v2
	v_cmp_gt_u32_e32 vcc, 32, v2
	v_mov_b32_e32 v133, 0
	s_and_saveexec_b64 s[0:1], vcc
	s_cbranch_execz .LBB176_224
; %bb.221:                              ;   in Loop: Header=BB176_149 Depth=1
	v_add_co_u32_e32 v130, vcc, v131, v2
	v_addc_co_u32_e32 v131, vcc, 0, v132, vcc
	v_cmp_gt_i64_e32 vcc, s[12:13], v[130:131]
	v_mov_b32_e32 v133, 0
	s_and_saveexec_b64 s[18:19], vcc
	s_cbranch_execz .LBB176_223
; %bb.222:                              ;   in Loop: Header=BB176_149 Depth=1
	v_lshlrev_b64 v[130:131], 2, v[130:131]
	v_mov_b32_e32 v2, s21
	v_add_co_u32_e32 v130, vcc, s20, v130
	v_addc_co_u32_e32 v131, vcc, v2, v131, vcc
	global_load_dword v133, v[130:131], off
.LBB176_223:                            ;   in Loop: Header=BB176_149 Depth=1
	s_or_b64 exec, exec, s[18:19]
.LBB176_224:                            ;   in Loop: Header=BB176_149 Depth=1
	s_or_b64 exec, exec, s[0:1]
	v_add_co_u32_e32 v130, vcc, v205, v4
	v_addc_co_u32_e32 v131, vcc, v207, v5, vcc
	global_load_ushort v2, v[130:131], off
	v_add_co_u32_e32 v130, vcc, v208, v4
	v_addc_co_u32_e32 v131, vcc, v209, v5, vcc
	global_load_ushort v130, v[130:131], off
	s_waitcnt vmcnt(1)
	v_cvt_f32_f16_e32 v2, v2
	s_waitcnt vmcnt(0)
	v_cvt_f32_f16_e32 v137, v130
	v_add_co_u32_e32 v130, vcc, v6, v4
	v_addc_co_u32_e32 v131, vcc, v7, v5, vcc
	global_load_ushort v130, v[130:131], off
	v_add_co_u32_e32 v131, vcc, v68, v4
	v_addc_co_u32_e32 v132, vcc, v69, v5, vcc
	global_load_ushort v131, v[131:132], off
	v_mul_f32_e32 v2, v2, v137
	s_waitcnt vmcnt(1)
	v_cvt_f32_f16_e32 v130, v130
	s_waitcnt vmcnt(0)
	v_cvt_f32_f16_e32 v139, v131
	v_add_co_u32_e32 v131, vcc, v8, v4
	v_addc_co_u32_e32 v132, vcc, v9, v5, vcc
	v_add_co_u32_e32 v147, vcc, v70, v4
	v_addc_co_u32_e32 v148, vcc, v71, v5, vcc
	global_load_ushort v131, v[131:132], off
	v_add_co_u32_e32 v149, vcc, v10, v4
	global_load_ushort v132, v[147:148], off
	v_addc_co_u32_e32 v150, vcc, v11, v5, vcc
	v_mul_f32_e32 v130, v130, v139
	s_waitcnt vmcnt(1)
	v_cvt_f32_f16_e32 v131, v131
	s_waitcnt vmcnt(0)
	v_cvt_f32_f16_e32 v148, v132
	global_load_ushort v132, v[149:150], off
	v_add_co_u32_e32 v149, vcc, v72, v4
	v_addc_co_u32_e32 v150, vcc, v73, v5, vcc
	global_load_ushort v134, v[149:150], off
	v_add_co_u32_e32 v151, vcc, v12, v4
	v_addc_co_u32_e32 v152, vcc, v13, v5, vcc
	s_waitcnt vmcnt(1)
	v_cvt_f32_f16_e32 v132, v132
	s_waitcnt vmcnt(0)
	v_cvt_f32_f16_e32 v150, v134
	global_load_ushort v134, v[151:152], off
	v_add_co_u32_e32 v151, vcc, v74, v4
	v_addc_co_u32_e32 v152, vcc, v75, v5, vcc
	global_load_ushort v138, v[151:152], off
	v_add_co_u32_e32 v153, vcc, v14, v4
	v_addc_co_u32_e32 v154, vcc, v15, v5, vcc
	;; [unrolled: 10-line block ×21, first 2 shown]
	s_waitcnt vmcnt(1)
	v_cvt_f32_f16_e32 v181, v181
	s_waitcnt vmcnt(0)
	v_cvt_f32_f16_e32 v191, v183
	global_load_ushort v183, v[185:186], off
	v_add_co_u32_e32 v185, vcc, v114, v4
	v_addc_co_u32_e32 v186, vcc, v115, v5, vcc
	global_load_ushort v185, v[185:186], off
	s_waitcnt vmcnt(1)
	v_cvt_f32_f16_e32 v183, v183
	s_waitcnt vmcnt(0)
	v_cvt_f32_f16_e32 v192, v185
	v_add_co_u32_e32 v185, vcc, v54, v4
	v_addc_co_u32_e32 v186, vcc, v55, v5, vcc
	v_add_co_u32_e32 v193, vcc, v116, v4
	v_addc_co_u32_e32 v194, vcc, v117, v5, vcc
	global_load_ushort v185, v[185:186], off
	s_waitcnt vmcnt(0)
	v_cvt_f32_f16_e32 v185, v185
	global_load_ushort v186, v[193:194], off
	v_add_co_u32_e32 v194, vcc, v56, v4
	v_addc_co_u32_e32 v195, vcc, v57, v5, vcc
	s_waitcnt vmcnt(0)
	v_cvt_f32_f16_e32 v193, v186
	global_load_ushort v186, v[194:195], off
	v_add_co_u32_e32 v194, vcc, v118, v4
	v_addc_co_u32_e32 v195, vcc, v119, v5, vcc
	v_add_co_u32_e32 v196, vcc, v58, v4
	v_addc_co_u32_e32 v197, vcc, v59, v5, vcc
	s_waitcnt vmcnt(0)
	v_cvt_f32_f16_e32 v188, v186
	global_load_ushort v186, v[194:195], off
	s_waitcnt vmcnt(0)
	v_cvt_f32_f16_e32 v195, v186
	global_load_ushort v186, v[196:197], off
	v_add_co_u32_e32 v196, vcc, v120, v4
	v_addc_co_u32_e32 v197, vcc, v121, v5, vcc
	s_waitcnt vmcnt(0)
	v_cvt_f32_f16_e32 v190, v186
	global_load_ushort v186, v[196:197], off
	v_add_co_u32_e32 v196, vcc, v60, v4
	v_addc_co_u32_e32 v197, vcc, v61, v5, vcc
	;; [unrolled: 5-line block ×3, first 2 shown]
	global_load_ushort v194, v[196:197], off
	v_add_co_u32_e32 v196, vcc, v62, v4
	v_addc_co_u32_e32 v197, vcc, v63, v5, vcc
	v_add_co_u32_e32 v199, vcc, v124, v4
	v_addc_co_u32_e32 v200, vcc, v125, v5, vcc
	global_load_ushort v196, v[196:197], off
	v_add_co_u32_e32 v201, vcc, v64, v4
	global_load_ushort v197, v[199:200], off
	v_addc_co_u32_e32 v202, vcc, v65, v5, vcc
	s_waitcnt vmcnt(3)
	v_cvt_f32_f16_e32 v186, v186
	s_waitcnt vmcnt(2)
	v_cvt_f32_f16_e32 v194, v194
	;; [unrolled: 2-line block ×4, first 2 shown]
	global_load_ushort v197, v[201:202], off
	v_add_co_u32_e32 v201, vcc, v126, v4
	v_addc_co_u32_e32 v202, vcc, v127, v5, vcc
	v_add_co_u32_e32 v203, vcc, v66, v4
	v_addc_co_u32_e32 v204, vcc, v67, v5, vcc
	s_waitcnt vmcnt(0)
	v_cvt_f32_f16_e32 v199, v197
	global_load_ushort v197, v[201:202], off
	s_waitcnt vmcnt(0)
	v_cvt_f32_f16_e32 v202, v197
	global_load_ushort v197, v[203:204], off
	v_add_co_u32_e32 v203, vcc, v128, v4
	v_addc_co_u32_e32 v204, vcc, v129, v5, vcc
	global_load_ushort v201, v[203:204], off
	ds_bpermute_b32 v203, v145, v133
	s_waitcnt lgkmcnt(0)
	v_fmac_f32_e32 v146, v2, v203
	ds_bpermute_b32 v2, v145, v133 offset:4
	s_waitcnt lgkmcnt(0)
	v_fmac_f32_e32 v146, v130, v2
	ds_bpermute_b32 v2, v145, v133 offset:8
	v_mul_f32_e32 v130, v131, v148
	s_waitcnt lgkmcnt(0)
	v_fmac_f32_e32 v146, v130, v2
	ds_bpermute_b32 v2, v145, v133 offset:12
	v_mul_f32_e32 v130, v132, v150
	;; [unrolled: 4-line block ×11, first 2 shown]
	s_waitcnt vmcnt(1)
	v_cvt_f32_f16_e32 v197, v197
	s_waitcnt lgkmcnt(0)
	v_fmac_f32_e32 v146, v130, v2
	ds_bpermute_b32 v2, v145, v133 offset:52
	v_mul_f32_e32 v130, v161, v170
	s_waitcnt vmcnt(0)
	v_cvt_f32_f16_e32 v201, v201
	s_waitcnt lgkmcnt(0)
	v_fmac_f32_e32 v146, v130, v2
	ds_bpermute_b32 v2, v145, v133 offset:56
	v_mul_f32_e32 v130, v163, v172
	s_waitcnt lgkmcnt(0)
	v_fmac_f32_e32 v146, v130, v2
	ds_bpermute_b32 v2, v145, v133 offset:60
	v_mul_f32_e32 v130, v165, v174
	s_waitcnt lgkmcnt(0)
	v_fmac_f32_e32 v146, v130, v2
	ds_bpermute_b32 v2, v145, v133 offset:64
	v_mul_f32_e32 v130, v167, v176
	s_waitcnt lgkmcnt(0)
	v_fmac_f32_e32 v146, v130, v2
	ds_bpermute_b32 v2, v145, v133 offset:68
	v_mul_f32_e32 v130, v169, v178
	s_waitcnt lgkmcnt(0)
	v_fmac_f32_e32 v146, v130, v2
	ds_bpermute_b32 v2, v145, v133 offset:72
	v_mul_f32_e32 v130, v171, v180
	s_waitcnt lgkmcnt(0)
	v_fmac_f32_e32 v146, v130, v2
	ds_bpermute_b32 v2, v145, v133 offset:76
	v_mul_f32_e32 v130, v173, v182
	s_waitcnt lgkmcnt(0)
	v_fmac_f32_e32 v146, v130, v2
	ds_bpermute_b32 v2, v145, v133 offset:80
	v_mul_f32_e32 v130, v175, v184
	s_waitcnt lgkmcnt(0)
	v_fmac_f32_e32 v146, v130, v2
	ds_bpermute_b32 v2, v145, v133 offset:84
	v_mul_f32_e32 v130, v177, v187
	s_waitcnt lgkmcnt(0)
	v_fmac_f32_e32 v146, v130, v2
	ds_bpermute_b32 v2, v145, v133 offset:88
	v_mul_f32_e32 v130, v179, v189
	s_waitcnt lgkmcnt(0)
	v_fmac_f32_e32 v146, v130, v2
	ds_bpermute_b32 v2, v145, v133 offset:92
	v_mul_f32_e32 v130, v181, v191
	s_waitcnt lgkmcnt(0)
	v_fmac_f32_e32 v146, v130, v2
	ds_bpermute_b32 v2, v145, v133 offset:96
	v_mul_f32_e32 v130, v183, v192
	s_waitcnt lgkmcnt(0)
	v_fmac_f32_e32 v146, v130, v2
	ds_bpermute_b32 v2, v145, v133 offset:100
	v_mul_f32_e32 v130, v185, v193
	s_waitcnt lgkmcnt(0)
	v_fmac_f32_e32 v146, v130, v2
	ds_bpermute_b32 v2, v145, v133 offset:104
	v_mul_f32_e32 v130, v188, v195
	s_waitcnt lgkmcnt(0)
	v_fmac_f32_e32 v146, v130, v2
	ds_bpermute_b32 v2, v145, v133 offset:108
	v_mul_f32_e32 v130, v190, v198
	s_waitcnt lgkmcnt(0)
	v_fmac_f32_e32 v146, v130, v2
	ds_bpermute_b32 v2, v145, v133 offset:112
	v_mul_f32_e32 v130, v186, v194
	s_waitcnt lgkmcnt(0)
	v_fmac_f32_e32 v146, v130, v2
	ds_bpermute_b32 v2, v145, v133 offset:116
	v_mul_f32_e32 v130, v196, v200
	s_waitcnt lgkmcnt(0)
	v_fmac_f32_e32 v146, v130, v2
	ds_bpermute_b32 v2, v145, v133 offset:120
	v_mul_f32_e32 v130, v199, v202
	s_waitcnt lgkmcnt(0)
	v_fmac_f32_e32 v146, v130, v2
	ds_bpermute_b32 v2, v145, v133 offset:124
	v_mul_f32_e32 v130, v197, v201
	s_waitcnt lgkmcnt(0)
	v_fmac_f32_e32 v146, v130, v2
	v_mov_b32_e32 v130, v146
.LBB176_225:                            ;   in Loop: Header=BB176_149 Depth=1
	v_add_co_u32_e32 v205, vcc, s24, v205
	v_mov_b32_e32 v2, s25
	v_addc_co_u32_e32 v207, vcc, v207, v2, vcc
	v_add_co_u32_e32 v208, vcc, s24, v208
	v_addc_co_u32_e32 v209, vcc, v209, v2, vcc
	v_add_co_u32_e32 v135, vcc, s7, v135
	;; [unrolled: 2-line block ×50, first 2 shown]
	buffer_load_dword v131, off, s[36:39], 0 ; 4-byte Folded Reload
	v_addc_co_u32_e32 v101, vcc, v101, v2, vcc
	v_add_co_u32_e32 v102, vcc, s24, v102
	v_addc_co_u32_e32 v103, vcc, v103, v2, vcc
	v_add_co_u32_e32 v104, vcc, s24, v104
	;; [unrolled: 2-line block ×39, first 2 shown]
	v_addc_co_u32_e32 v1, vcc, v1, v2, vcc
	s_waitcnt vmcnt(0)
	v_add_co_u32_e32 v131, vcc, s24, v131
	buffer_store_dword v131, off, s[36:39], 0 ; 4-byte Folded Spill
	buffer_load_dword v131, off, s[36:39], 0 offset:4 ; 4-byte Folded Reload
	s_add_u32 s16, s16, s7
	s_addc_u32 s17, s17, 0
	s_add_u32 s26, s26, s7
	s_addc_u32 s27, 0, s27
	s_waitcnt vmcnt(0)
	v_addc_co_u32_e32 v131, vcc, v131, v2, vcc
	buffer_store_dword v131, off, s[36:39], 0 offset:4 ; 4-byte Folded Spill
	buffer_load_dword v131, off, s[36:39], 0 offset:8 ; 4-byte Folded Reload
	s_waitcnt vmcnt(0)
	v_add_co_u32_e32 v131, vcc, s24, v131
	buffer_store_dword v131, off, s[36:39], 0 offset:8 ; 4-byte Folded Spill
	buffer_load_dword v131, off, s[36:39], 0 offset:12 ; 4-byte Folded Reload
	s_waitcnt vmcnt(0)
	v_addc_co_u32_e32 v131, vcc, v131, v2, vcc
	buffer_store_dword v131, off, s[36:39], 0 offset:12 ; 4-byte Folded Spill
	buffer_load_dword v131, off, s[36:39], 0 offset:16 ; 4-byte Folded Reload
	s_waitcnt vmcnt(0)
	v_add_co_u32_e32 v131, vcc, s24, v131
	buffer_store_dword v131, off, s[36:39], 0 offset:16 ; 4-byte Folded Spill
	buffer_load_dword v131, off, s[36:39], 0 offset:20 ; 4-byte Folded Reload
	;; [unrolled: 8-line block ×34, first 2 shown]
	s_waitcnt vmcnt(0)
	v_addc_co_u32_e32 v131, vcc, v131, v2, vcc
	v_add_co_u32_e32 v141, vcc, s24, v141
	v_addc_co_u32_e32 v142, vcc, v142, v2, vcc
	buffer_store_dword v131, off, s[36:39], 0 offset:276 ; 4-byte Folded Spill
	v_add_co_u32_e32 v143, vcc, s24, v143
	v_mov_b32_e32 v132, s13
	v_addc_co_u32_e32 v144, vcc, v144, v2, vcc
	v_mov_b32_e32 v131, s12
	v_cmp_ge_i64_e32 vcc, s[16:17], v[131:132]
	s_cbranch_vccnz .LBB176_227
; %bb.226:                              ;   in Loop: Header=BB176_149 Depth=1
	v_mov_b32_e32 v146, v130
	s_branch .LBB176_149
.LBB176_227:
	buffer_load_dword v1, off, s[36:39], 0 offset:284 ; 4-byte Folded Reload
	buffer_load_dword v2, off, s[36:39], 0 offset:288 ; 4-byte Folded Reload
.LBB176_228:
	s_mov_b32 s7, 0
	s_lshl_b64 s[0:1], s[6:7], 5
	v_or_b32_e32 v3, s0, v0
	v_mov_b32_e32 v4, s1
	v_cmp_gt_i64_e32 vcc, s[14:15], v[3:4]
	s_waitcnt lgkmcnt(0)
	s_cmp_lg_u64 s[2:3], 0
	s_cselect_b64 s[0:1], -1, 0
	s_and_b64 s[0:1], vcc, s[0:1]
	s_and_saveexec_b64 s[6:7], s[0:1]
	s_cbranch_execz .LBB176_230
; %bb.229:
	s_load_dword s0, s[4:5], 0x4c
	s_waitcnt vmcnt(0)
	v_mov_b32_e32 v2, 0
	v_mov_b32_e32 v0, s8
	;; [unrolled: 1-line block ×3, first 2 shown]
	v_cvt_f16_f32_e32 v6, v130
	s_waitcnt lgkmcnt(0)
	s_lshr_b32 s0, s0, 16
	v_mad_u64_u32 v[0:1], s[0:1], s0, v0, v[1:2]
	v_mul_lo_u32 v2, v1, s14
	v_mul_lo_u32 v5, v0, s15
	v_mad_u64_u32 v[0:1], s[0:1], v0, s14, 0
	v_add3_u32 v1, v1, v5, v2
	v_lshlrev_b64 v[0:1], 1, v[0:1]
	v_add_co_u32_e32 v2, vcc, s2, v0
	v_addc_co_u32_e32 v5, vcc, v7, v1, vcc
	v_lshlrev_b64 v[0:1], 1, v[3:4]
	v_add_co_u32_e32 v0, vcc, v2, v0
	v_addc_co_u32_e32 v1, vcc, v5, v1, vcc
	global_store_short v[0:1], v6, off
.LBB176_230:
	s_endpgm
	.section	.rodata,"a",@progbits
	.p2align	6, 0x0
	.amdhsa_kernel _ZN2at6native12_GLOBAL__N_135GammaBetaBackwardCUDAKernelTemplateIN3c104HalfEfLj32ELj1ELj32ELb1ELb0ELb1EEEvllPKT_S7_PKT0_SA_PS5_SB_
		.amdhsa_group_segment_fixed_size 0
		.amdhsa_private_segment_fixed_size 304
		.amdhsa_kernarg_size 320
		.amdhsa_user_sgpr_count 6
		.amdhsa_user_sgpr_private_segment_buffer 1
		.amdhsa_user_sgpr_dispatch_ptr 0
		.amdhsa_user_sgpr_queue_ptr 0
		.amdhsa_user_sgpr_kernarg_segment_ptr 1
		.amdhsa_user_sgpr_dispatch_id 0
		.amdhsa_user_sgpr_flat_scratch_init 0
		.amdhsa_user_sgpr_private_segment_size 0
		.amdhsa_uses_dynamic_stack 0
		.amdhsa_system_sgpr_private_segment_wavefront_offset 1
		.amdhsa_system_sgpr_workgroup_id_x 1
		.amdhsa_system_sgpr_workgroup_id_y 1
		.amdhsa_system_sgpr_workgroup_id_z 0
		.amdhsa_system_sgpr_workgroup_info 0
		.amdhsa_system_vgpr_workitem_id 1
		.amdhsa_next_free_vgpr 256
		.amdhsa_next_free_sgpr 40
		.amdhsa_reserve_vcc 1
		.amdhsa_reserve_flat_scratch 0
		.amdhsa_float_round_mode_32 0
		.amdhsa_float_round_mode_16_64 0
		.amdhsa_float_denorm_mode_32 3
		.amdhsa_float_denorm_mode_16_64 3
		.amdhsa_dx10_clamp 1
		.amdhsa_ieee_mode 1
		.amdhsa_fp16_overflow 0
		.amdhsa_exception_fp_ieee_invalid_op 0
		.amdhsa_exception_fp_denorm_src 0
		.amdhsa_exception_fp_ieee_div_zero 0
		.amdhsa_exception_fp_ieee_overflow 0
		.amdhsa_exception_fp_ieee_underflow 0
		.amdhsa_exception_fp_ieee_inexact 0
		.amdhsa_exception_int_div_zero 0
	.end_amdhsa_kernel
	.section	.text._ZN2at6native12_GLOBAL__N_135GammaBetaBackwardCUDAKernelTemplateIN3c104HalfEfLj32ELj1ELj32ELb1ELb0ELb1EEEvllPKT_S7_PKT0_SA_PS5_SB_,"axG",@progbits,_ZN2at6native12_GLOBAL__N_135GammaBetaBackwardCUDAKernelTemplateIN3c104HalfEfLj32ELj1ELj32ELb1ELb0ELb1EEEvllPKT_S7_PKT0_SA_PS5_SB_,comdat
.Lfunc_end176:
	.size	_ZN2at6native12_GLOBAL__N_135GammaBetaBackwardCUDAKernelTemplateIN3c104HalfEfLj32ELj1ELj32ELb1ELb0ELb1EEEvllPKT_S7_PKT0_SA_PS5_SB_, .Lfunc_end176-_ZN2at6native12_GLOBAL__N_135GammaBetaBackwardCUDAKernelTemplateIN3c104HalfEfLj32ELj1ELj32ELb1ELb0ELb1EEEvllPKT_S7_PKT0_SA_PS5_SB_
                                        ; -- End function
	.set _ZN2at6native12_GLOBAL__N_135GammaBetaBackwardCUDAKernelTemplateIN3c104HalfEfLj32ELj1ELj32ELb1ELb0ELb1EEEvllPKT_S7_PKT0_SA_PS5_SB_.num_vgpr, 256
	.set _ZN2at6native12_GLOBAL__N_135GammaBetaBackwardCUDAKernelTemplateIN3c104HalfEfLj32ELj1ELj32ELb1ELb0ELb1EEEvllPKT_S7_PKT0_SA_PS5_SB_.num_agpr, 0
	.set _ZN2at6native12_GLOBAL__N_135GammaBetaBackwardCUDAKernelTemplateIN3c104HalfEfLj32ELj1ELj32ELb1ELb0ELb1EEEvllPKT_S7_PKT0_SA_PS5_SB_.numbered_sgpr, 40
	.set _ZN2at6native12_GLOBAL__N_135GammaBetaBackwardCUDAKernelTemplateIN3c104HalfEfLj32ELj1ELj32ELb1ELb0ELb1EEEvllPKT_S7_PKT0_SA_PS5_SB_.num_named_barrier, 0
	.set _ZN2at6native12_GLOBAL__N_135GammaBetaBackwardCUDAKernelTemplateIN3c104HalfEfLj32ELj1ELj32ELb1ELb0ELb1EEEvllPKT_S7_PKT0_SA_PS5_SB_.private_seg_size, 304
	.set _ZN2at6native12_GLOBAL__N_135GammaBetaBackwardCUDAKernelTemplateIN3c104HalfEfLj32ELj1ELj32ELb1ELb0ELb1EEEvllPKT_S7_PKT0_SA_PS5_SB_.uses_vcc, 1
	.set _ZN2at6native12_GLOBAL__N_135GammaBetaBackwardCUDAKernelTemplateIN3c104HalfEfLj32ELj1ELj32ELb1ELb0ELb1EEEvllPKT_S7_PKT0_SA_PS5_SB_.uses_flat_scratch, 0
	.set _ZN2at6native12_GLOBAL__N_135GammaBetaBackwardCUDAKernelTemplateIN3c104HalfEfLj32ELj1ELj32ELb1ELb0ELb1EEEvllPKT_S7_PKT0_SA_PS5_SB_.has_dyn_sized_stack, 0
	.set _ZN2at6native12_GLOBAL__N_135GammaBetaBackwardCUDAKernelTemplateIN3c104HalfEfLj32ELj1ELj32ELb1ELb0ELb1EEEvllPKT_S7_PKT0_SA_PS5_SB_.has_recursion, 0
	.set _ZN2at6native12_GLOBAL__N_135GammaBetaBackwardCUDAKernelTemplateIN3c104HalfEfLj32ELj1ELj32ELb1ELb0ELb1EEEvllPKT_S7_PKT0_SA_PS5_SB_.has_indirect_call, 0
	.section	.AMDGPU.csdata,"",@progbits
; Kernel info:
; codeLenInByte = 23908
; TotalNumSgprs: 44
; NumVgprs: 256
; ScratchSize: 304
; MemoryBound: 0
; FloatMode: 240
; IeeeMode: 1
; LDSByteSize: 0 bytes/workgroup (compile time only)
; SGPRBlocks: 5
; VGPRBlocks: 63
; NumSGPRsForWavesPerEU: 44
; NumVGPRsForWavesPerEU: 256
; Occupancy: 1
; WaveLimiterHint : 0
; COMPUTE_PGM_RSRC2:SCRATCH_EN: 1
; COMPUTE_PGM_RSRC2:USER_SGPR: 6
; COMPUTE_PGM_RSRC2:TRAP_HANDLER: 0
; COMPUTE_PGM_RSRC2:TGID_X_EN: 1
; COMPUTE_PGM_RSRC2:TGID_Y_EN: 1
; COMPUTE_PGM_RSRC2:TGID_Z_EN: 0
; COMPUTE_PGM_RSRC2:TIDIG_COMP_CNT: 1
	.section	.text._ZN2at6native12_GLOBAL__N_135GammaBetaBackwardCUDAKernelTemplateIN3c104HalfEfLj32ELj1ELj8ELb1ELb1ELb1EEEvllPKT_S7_PKT0_SA_PS5_SB_,"axG",@progbits,_ZN2at6native12_GLOBAL__N_135GammaBetaBackwardCUDAKernelTemplateIN3c104HalfEfLj32ELj1ELj8ELb1ELb1ELb1EEEvllPKT_S7_PKT0_SA_PS5_SB_,comdat
	.globl	_ZN2at6native12_GLOBAL__N_135GammaBetaBackwardCUDAKernelTemplateIN3c104HalfEfLj32ELj1ELj8ELb1ELb1ELb1EEEvllPKT_S7_PKT0_SA_PS5_SB_ ; -- Begin function _ZN2at6native12_GLOBAL__N_135GammaBetaBackwardCUDAKernelTemplateIN3c104HalfEfLj32ELj1ELj8ELb1ELb1ELb1EEEvllPKT_S7_PKT0_SA_PS5_SB_
	.p2align	8
	.type	_ZN2at6native12_GLOBAL__N_135GammaBetaBackwardCUDAKernelTemplateIN3c104HalfEfLj32ELj1ELj8ELb1ELb1ELb1EEEvllPKT_S7_PKT0_SA_PS5_SB_,@function
_ZN2at6native12_GLOBAL__N_135GammaBetaBackwardCUDAKernelTemplateIN3c104HalfEfLj32ELj1ELj8ELb1ELb1ELb1EEEvllPKT_S7_PKT0_SA_PS5_SB_: ; @_ZN2at6native12_GLOBAL__N_135GammaBetaBackwardCUDAKernelTemplateIN3c104HalfEfLj32ELj1ELj8ELb1ELb1ELb1EEEvllPKT_S7_PKT0_SA_PS5_SB_
; %bb.0:
	s_load_dwordx4 s[8:11], s[4:5], 0x0
	s_load_dwordx2 s[16:17], s[4:5], 0x30
	s_lshl_b32 s18, s7, 3
	s_mov_b32 s19, 0
	v_mov_b32_e32 v2, s18
	v_mov_b32_e32 v3, s19
	s_waitcnt lgkmcnt(0)
	v_cmp_le_i64_e32 vcc, s[8:9], v[2:3]
	v_mov_b32_e32 v3, 0
	s_cbranch_vccnz .LBB177_8
; %bb.1:
	s_load_dword s0, s[4:5], 0x4c
	s_load_dword s22, s[4:5], 0x44
	s_load_dwordx4 s[12:15], s[4:5], 0x10
	s_load_dwordx2 s[2:3], s[4:5], 0x28
	v_lshlrev_b32_e32 v4, 3, v1
	s_waitcnt lgkmcnt(0)
	s_and_b32 s0, s0, 0xffff
	v_mad_u32_u24 v2, v1, s0, v0
	v_and_b32_e32 v5, 63, v2
	v_add_co_u32_e32 v9, vcc, s18, v4
	v_mbcnt_lo_u32_b32 v6, -1, 0
	v_addc_co_u32_e64 v10, s[20:21], 0, 0, vcc
	v_add_co_u32_e32 v4, vcc, v9, v5
	v_cmp_gt_u32_e64 s[0:1], 8, v5
	v_mbcnt_hi_u32_b32 v6, -1, v6
	v_addc_co_u32_e32 v5, vcc, 0, v10, vcc
	v_mul_lo_u32 v13, s11, v9
	v_mul_lo_u32 v14, s10, v10
	v_mad_u64_u32 v[10:11], s[20:21], s10, v9, 0
	v_lshlrev_b32_e32 v6, 2, v6
	v_and_b32_e32 v8, 0x100, v6
	v_lshlrev_b64 v[6:7], 2, v[4:5]
	v_mov_b32_e32 v3, 0
	v_lshl_or_b32 v2, s6, 5, v0
	v_mov_b32_e32 v12, s3
	v_add_co_u32_e32 v6, vcc, s2, v6
	v_add3_u32 v11, v11, v14, v13
	v_addc_co_u32_e32 v7, vcc, v12, v7, vcc
	v_lshlrev_b64 v[10:11], 1, v[10:11]
	v_lshlrev_b64 v[12:13], 1, v[2:3]
	s_lshl_b32 s20, s22, 3
	s_mul_i32 s2, s11, s20
	s_mul_hi_u32 s3, s10, s20
	v_add_co_u32_e32 v2, vcc, v10, v12
	s_mov_b32 s21, s19
	s_add_i32 s3, s3, s2
	s_mul_i32 s2, s10, s20
	v_or_b32_e32 v9, 20, v8
	v_addc_co_u32_e32 v10, vcc, v11, v13, vcc
	v_or_b32_e32 v11, 24, v8
	v_or_b32_e32 v12, 28, v8
	s_lshl_b64 s[22:23], s[20:21], 2
	s_lshl_b64 s[24:25], s[2:3], 1
	;; [unrolled: 1-line block ×3, first 2 shown]
	s_branch .LBB177_4
.LBB177_2:                              ;   in Loop: Header=BB177_4 Depth=1
	s_or_b64 exec, exec, s[28:29]
.LBB177_3:                              ;   in Loop: Header=BB177_4 Depth=1
	s_or_b64 exec, exec, s[2:3]
	v_mov_b32_e32 v15, s13
	v_add_co_u32_e32 v14, vcc, s12, v2
	v_addc_co_u32_e32 v15, vcc, v15, v10, vcc
	v_mov_b32_e32 v20, s27
	v_add_co_u32_e32 v16, vcc, s26, v14
	v_addc_co_u32_e32 v17, vcc, v15, v20, vcc
	global_load_ushort v21, v[14:15], off
	v_mov_b32_e32 v15, s15
	v_add_co_u32_e32 v14, vcc, s14, v2
	v_addc_co_u32_e32 v15, vcc, v15, v10, vcc
	v_add_co_u32_e32 v18, vcc, s26, v14
	global_load_ushort v14, v[14:15], off
	v_addc_co_u32_e32 v19, vcc, v15, v20, vcc
	s_add_u32 s18, s18, s20
	s_addc_u32 s19, s19, 0
	v_add_co_u32_e64 v6, s[2:3], s22, v6
	s_waitcnt vmcnt(1)
	v_cvt_f32_f16_e32 v15, v21
	global_load_ushort v21, v[16:17], off
	s_waitcnt vmcnt(1)
	v_cvt_f32_f16_e32 v14, v14
	v_mul_f32_e32 v14, v15, v14
	ds_bpermute_b32 v15, v8, v13
	s_waitcnt lgkmcnt(0)
	v_fmac_f32_e32 v3, v14, v15
	v_add_co_u32_e32 v14, vcc, s26, v16
	v_addc_co_u32_e32 v15, vcc, v17, v20, vcc
	v_add_co_u32_e32 v16, vcc, s26, v18
	global_load_ushort v18, v[18:19], off
	v_addc_co_u32_e32 v17, vcc, v19, v20, vcc
	s_waitcnt vmcnt(1)
	v_cvt_f32_f16_e32 v19, v21
	global_load_ushort v21, v[14:15], off
	s_waitcnt vmcnt(1)
	v_cvt_f32_f16_e32 v18, v18
	v_mul_f32_e32 v18, v19, v18
	v_or_b32_e32 v19, 4, v8
	ds_bpermute_b32 v19, v19, v13
	s_waitcnt lgkmcnt(0)
	v_fmac_f32_e32 v3, v18, v19
	v_add_co_u32_e32 v18, vcc, s26, v14
	v_addc_co_u32_e32 v19, vcc, v15, v20, vcc
	v_add_co_u32_e32 v14, vcc, s26, v16
	global_load_ushort v16, v[16:17], off
	v_addc_co_u32_e32 v15, vcc, v17, v20, vcc
	s_waitcnt vmcnt(1)
	v_cvt_f32_f16_e32 v17, v21
	global_load_ushort v21, v[18:19], off
	s_waitcnt vmcnt(1)
	v_cvt_f32_f16_e32 v16, v16
	v_mul_f32_e32 v16, v17, v16
	v_or_b32_e32 v17, 8, v8
	ds_bpermute_b32 v17, v17, v13
	s_waitcnt lgkmcnt(0)
	v_fmac_f32_e32 v3, v16, v17
	v_add_co_u32_e32 v16, vcc, s26, v18
	v_addc_co_u32_e32 v17, vcc, v19, v20, vcc
	v_add_co_u32_e32 v18, vcc, s26, v14
	global_load_ushort v14, v[14:15], off
	v_addc_co_u32_e32 v19, vcc, v15, v20, vcc
	s_waitcnt vmcnt(1)
	v_cvt_f32_f16_e32 v15, v21
	global_load_ushort v21, v[16:17], off
	s_waitcnt vmcnt(1)
	v_cvt_f32_f16_e32 v14, v14
	v_mul_f32_e32 v14, v15, v14
	v_or_b32_e32 v15, 12, v8
	ds_bpermute_b32 v15, v15, v13
	s_waitcnt lgkmcnt(0)
	v_fmac_f32_e32 v3, v14, v15
	v_add_co_u32_e32 v14, vcc, s26, v16
	v_addc_co_u32_e32 v15, vcc, v17, v20, vcc
	v_add_co_u32_e32 v16, vcc, s26, v18
	global_load_ushort v18, v[18:19], off
	v_addc_co_u32_e32 v17, vcc, v19, v20, vcc
	global_load_ushort v22, v[16:17], off
	s_waitcnt vmcnt(2)
	v_cvt_f32_f16_e32 v19, v21
	global_load_ushort v21, v[14:15], off
	s_waitcnt vmcnt(2)
	v_cvt_f32_f16_e32 v18, v18
	v_mul_f32_e32 v18, v19, v18
	v_or_b32_e32 v19, 16, v8
	ds_bpermute_b32 v19, v19, v13
	s_waitcnt lgkmcnt(0)
	v_fmac_f32_e32 v3, v18, v19
	v_add_co_u32_e32 v18, vcc, s26, v14
	v_addc_co_u32_e32 v19, vcc, v15, v20, vcc
	v_add_co_u32_e32 v14, vcc, s26, v16
	v_addc_co_u32_e32 v15, vcc, v17, v20, vcc
	;; [unrolled: 2-line block ×3, first 2 shown]
	global_load_ushort v23, v[18:19], off
	v_add_co_u32_e32 v18, vcc, s26, v14
	v_addc_co_u32_e32 v19, vcc, v15, v20, vcc
	global_load_ushort v14, v[14:15], off
	s_nop 0
	global_load_ushort v15, v[16:17], off
	global_load_ushort v20, v[18:19], off
	s_waitcnt vmcnt(4)
	v_cvt_f32_f16_e32 v16, v21
	v_cvt_f32_f16_e32 v17, v22
	ds_bpermute_b32 v19, v11, v13
	v_mul_f32_e32 v16, v16, v17
	ds_bpermute_b32 v17, v9, v13
	ds_bpermute_b32 v13, v12, v13
	s_waitcnt lgkmcnt(1)
	v_fmac_f32_e32 v3, v16, v17
	s_waitcnt vmcnt(3)
	v_cvt_f32_f16_e32 v18, v23
	s_waitcnt vmcnt(2)
	v_cvt_f32_f16_e32 v14, v14
	;; [unrolled: 2-line block ×4, first 2 shown]
	v_mul_f32_e32 v14, v18, v14
	v_fmac_f32_e32 v3, v14, v19
	v_mul_f32_e32 v14, v15, v20
	s_waitcnt lgkmcnt(0)
	v_fmac_f32_e32 v3, v14, v13
	v_mov_b32_e32 v14, s9
	v_mov_b32_e32 v13, s8
	v_cmp_lt_i64_e32 vcc, s[18:19], v[13:14]
	v_mov_b32_e32 v13, s23
	v_addc_co_u32_e64 v7, s[2:3], v7, v13, s[2:3]
	v_mov_b32_e32 v13, s25
	v_add_co_u32_e64 v2, s[2:3], s24, v2
	v_addc_co_u32_e64 v10, s[2:3], v10, v13, s[2:3]
	v_add_co_u32_e64 v4, s[2:3], s20, v4
	v_addc_co_u32_e64 v5, s[2:3], 0, v5, s[2:3]
	s_cbranch_vccz .LBB177_7
.LBB177_4:                              ; =>This Inner Loop Header: Depth=1
	v_mov_b32_e32 v13, 0
	s_and_saveexec_b64 s[2:3], s[0:1]
	s_cbranch_execz .LBB177_3
; %bb.5:                                ;   in Loop: Header=BB177_4 Depth=1
	v_cmp_gt_i64_e32 vcc, s[8:9], v[4:5]
	v_mov_b32_e32 v13, 0
	s_and_saveexec_b64 s[28:29], vcc
	s_cbranch_execz .LBB177_2
; %bb.6:                                ;   in Loop: Header=BB177_4 Depth=1
	global_load_dword v13, v[6:7], off
	s_branch .LBB177_2
.LBB177_7:
	v_cvt_f16_f32_e32 v3, v3
.LBB177_8:
	s_cmp_eq_u64 s[16:17], 0
	s_cbranch_scc1 .LBB177_10
; %bb.9:
	s_load_dword s0, s[4:5], 0x4c
	v_mov_b32_e32 v2, 0
	v_mov_b32_e32 v4, s7
	s_mov_b32 s7, 0
	v_mov_b32_e32 v6, s17
	s_waitcnt lgkmcnt(0)
	s_lshr_b32 s0, s0, 16
	v_mad_u64_u32 v[1:2], s[0:1], s0, v4, v[1:2]
	v_lshlrev_b32_e32 v0, 1, v0
	v_mul_lo_u32 v4, v2, s10
	v_mul_lo_u32 v5, v1, s11
	v_mad_u64_u32 v[1:2], s[0:1], v1, s10, 0
	s_lshl_b64 s[0:1], s[6:7], 6
	v_add3_u32 v2, v2, v5, v4
	v_lshlrev_b64 v[1:2], 1, v[1:2]
	v_mov_b32_e32 v4, s1
	v_add_co_u32_e32 v1, vcc, s16, v1
	v_addc_co_u32_e32 v2, vcc, v6, v2, vcc
	v_add_co_u32_e32 v1, vcc, s0, v1
	v_addc_co_u32_e32 v2, vcc, v2, v4, vcc
	;; [unrolled: 2-line block ×3, first 2 shown]
	global_store_short v[0:1], v3, off
.LBB177_10:
	s_endpgm
	.section	.rodata,"a",@progbits
	.p2align	6, 0x0
	.amdhsa_kernel _ZN2at6native12_GLOBAL__N_135GammaBetaBackwardCUDAKernelTemplateIN3c104HalfEfLj32ELj1ELj8ELb1ELb1ELb1EEEvllPKT_S7_PKT0_SA_PS5_SB_
		.amdhsa_group_segment_fixed_size 0
		.amdhsa_private_segment_fixed_size 0
		.amdhsa_kernarg_size 320
		.amdhsa_user_sgpr_count 6
		.amdhsa_user_sgpr_private_segment_buffer 1
		.amdhsa_user_sgpr_dispatch_ptr 0
		.amdhsa_user_sgpr_queue_ptr 0
		.amdhsa_user_sgpr_kernarg_segment_ptr 1
		.amdhsa_user_sgpr_dispatch_id 0
		.amdhsa_user_sgpr_flat_scratch_init 0
		.amdhsa_user_sgpr_private_segment_size 0
		.amdhsa_uses_dynamic_stack 0
		.amdhsa_system_sgpr_private_segment_wavefront_offset 0
		.amdhsa_system_sgpr_workgroup_id_x 1
		.amdhsa_system_sgpr_workgroup_id_y 1
		.amdhsa_system_sgpr_workgroup_id_z 0
		.amdhsa_system_sgpr_workgroup_info 0
		.amdhsa_system_vgpr_workitem_id 1
		.amdhsa_next_free_vgpr 24
		.amdhsa_next_free_sgpr 30
		.amdhsa_reserve_vcc 1
		.amdhsa_reserve_flat_scratch 0
		.amdhsa_float_round_mode_32 0
		.amdhsa_float_round_mode_16_64 0
		.amdhsa_float_denorm_mode_32 3
		.amdhsa_float_denorm_mode_16_64 3
		.amdhsa_dx10_clamp 1
		.amdhsa_ieee_mode 1
		.amdhsa_fp16_overflow 0
		.amdhsa_exception_fp_ieee_invalid_op 0
		.amdhsa_exception_fp_denorm_src 0
		.amdhsa_exception_fp_ieee_div_zero 0
		.amdhsa_exception_fp_ieee_overflow 0
		.amdhsa_exception_fp_ieee_underflow 0
		.amdhsa_exception_fp_ieee_inexact 0
		.amdhsa_exception_int_div_zero 0
	.end_amdhsa_kernel
	.section	.text._ZN2at6native12_GLOBAL__N_135GammaBetaBackwardCUDAKernelTemplateIN3c104HalfEfLj32ELj1ELj8ELb1ELb1ELb1EEEvllPKT_S7_PKT0_SA_PS5_SB_,"axG",@progbits,_ZN2at6native12_GLOBAL__N_135GammaBetaBackwardCUDAKernelTemplateIN3c104HalfEfLj32ELj1ELj8ELb1ELb1ELb1EEEvllPKT_S7_PKT0_SA_PS5_SB_,comdat
.Lfunc_end177:
	.size	_ZN2at6native12_GLOBAL__N_135GammaBetaBackwardCUDAKernelTemplateIN3c104HalfEfLj32ELj1ELj8ELb1ELb1ELb1EEEvllPKT_S7_PKT0_SA_PS5_SB_, .Lfunc_end177-_ZN2at6native12_GLOBAL__N_135GammaBetaBackwardCUDAKernelTemplateIN3c104HalfEfLj32ELj1ELj8ELb1ELb1ELb1EEEvllPKT_S7_PKT0_SA_PS5_SB_
                                        ; -- End function
	.set _ZN2at6native12_GLOBAL__N_135GammaBetaBackwardCUDAKernelTemplateIN3c104HalfEfLj32ELj1ELj8ELb1ELb1ELb1EEEvllPKT_S7_PKT0_SA_PS5_SB_.num_vgpr, 24
	.set _ZN2at6native12_GLOBAL__N_135GammaBetaBackwardCUDAKernelTemplateIN3c104HalfEfLj32ELj1ELj8ELb1ELb1ELb1EEEvllPKT_S7_PKT0_SA_PS5_SB_.num_agpr, 0
	.set _ZN2at6native12_GLOBAL__N_135GammaBetaBackwardCUDAKernelTemplateIN3c104HalfEfLj32ELj1ELj8ELb1ELb1ELb1EEEvllPKT_S7_PKT0_SA_PS5_SB_.numbered_sgpr, 30
	.set _ZN2at6native12_GLOBAL__N_135GammaBetaBackwardCUDAKernelTemplateIN3c104HalfEfLj32ELj1ELj8ELb1ELb1ELb1EEEvllPKT_S7_PKT0_SA_PS5_SB_.num_named_barrier, 0
	.set _ZN2at6native12_GLOBAL__N_135GammaBetaBackwardCUDAKernelTemplateIN3c104HalfEfLj32ELj1ELj8ELb1ELb1ELb1EEEvllPKT_S7_PKT0_SA_PS5_SB_.private_seg_size, 0
	.set _ZN2at6native12_GLOBAL__N_135GammaBetaBackwardCUDAKernelTemplateIN3c104HalfEfLj32ELj1ELj8ELb1ELb1ELb1EEEvllPKT_S7_PKT0_SA_PS5_SB_.uses_vcc, 1
	.set _ZN2at6native12_GLOBAL__N_135GammaBetaBackwardCUDAKernelTemplateIN3c104HalfEfLj32ELj1ELj8ELb1ELb1ELb1EEEvllPKT_S7_PKT0_SA_PS5_SB_.uses_flat_scratch, 0
	.set _ZN2at6native12_GLOBAL__N_135GammaBetaBackwardCUDAKernelTemplateIN3c104HalfEfLj32ELj1ELj8ELb1ELb1ELb1EEEvllPKT_S7_PKT0_SA_PS5_SB_.has_dyn_sized_stack, 0
	.set _ZN2at6native12_GLOBAL__N_135GammaBetaBackwardCUDAKernelTemplateIN3c104HalfEfLj32ELj1ELj8ELb1ELb1ELb1EEEvllPKT_S7_PKT0_SA_PS5_SB_.has_recursion, 0
	.set _ZN2at6native12_GLOBAL__N_135GammaBetaBackwardCUDAKernelTemplateIN3c104HalfEfLj32ELj1ELj8ELb1ELb1ELb1EEEvllPKT_S7_PKT0_SA_PS5_SB_.has_indirect_call, 0
	.section	.AMDGPU.csdata,"",@progbits
; Kernel info:
; codeLenInByte = 1140
; TotalNumSgprs: 34
; NumVgprs: 24
; ScratchSize: 0
; MemoryBound: 0
; FloatMode: 240
; IeeeMode: 1
; LDSByteSize: 0 bytes/workgroup (compile time only)
; SGPRBlocks: 4
; VGPRBlocks: 5
; NumSGPRsForWavesPerEU: 34
; NumVGPRsForWavesPerEU: 24
; Occupancy: 10
; WaveLimiterHint : 0
; COMPUTE_PGM_RSRC2:SCRATCH_EN: 0
; COMPUTE_PGM_RSRC2:USER_SGPR: 6
; COMPUTE_PGM_RSRC2:TRAP_HANDLER: 0
; COMPUTE_PGM_RSRC2:TGID_X_EN: 1
; COMPUTE_PGM_RSRC2:TGID_Y_EN: 1
; COMPUTE_PGM_RSRC2:TGID_Z_EN: 0
; COMPUTE_PGM_RSRC2:TIDIG_COMP_CNT: 1
	.section	.text._ZN2at6native12_GLOBAL__N_135GammaBetaBackwardCUDAKernelTemplateIN3c104HalfEfLj32ELj1ELj8ELb1ELb0ELb1EEEvllPKT_S7_PKT0_SA_PS5_SB_,"axG",@progbits,_ZN2at6native12_GLOBAL__N_135GammaBetaBackwardCUDAKernelTemplateIN3c104HalfEfLj32ELj1ELj8ELb1ELb0ELb1EEEvllPKT_S7_PKT0_SA_PS5_SB_,comdat
	.globl	_ZN2at6native12_GLOBAL__N_135GammaBetaBackwardCUDAKernelTemplateIN3c104HalfEfLj32ELj1ELj8ELb1ELb0ELb1EEEvllPKT_S7_PKT0_SA_PS5_SB_ ; -- Begin function _ZN2at6native12_GLOBAL__N_135GammaBetaBackwardCUDAKernelTemplateIN3c104HalfEfLj32ELj1ELj8ELb1ELb0ELb1EEEvllPKT_S7_PKT0_SA_PS5_SB_
	.p2align	8
	.type	_ZN2at6native12_GLOBAL__N_135GammaBetaBackwardCUDAKernelTemplateIN3c104HalfEfLj32ELj1ELj8ELb1ELb0ELb1EEEvllPKT_S7_PKT0_SA_PS5_SB_,@function
_ZN2at6native12_GLOBAL__N_135GammaBetaBackwardCUDAKernelTemplateIN3c104HalfEfLj32ELj1ELj8ELb1ELb0ELb1EEEvllPKT_S7_PKT0_SA_PS5_SB_: ; @_ZN2at6native12_GLOBAL__N_135GammaBetaBackwardCUDAKernelTemplateIN3c104HalfEfLj32ELj1ELj8ELb1ELb0ELb1EEEvllPKT_S7_PKT0_SA_PS5_SB_
; %bb.0:
	s_mov_b32 s8, s7
	s_load_dwordx8 s[12:19], s[4:5], 0x0
	s_load_dwordx2 s[20:21], s[4:5], 0x28
	s_lshl_b32 s22, s8, 3
	s_lshl_b32 s7, s6, 5
	s_mov_b32 s23, 0
	v_mov_b32_e32 v2, s22
	s_or_b32 s0, s7, 31
	v_mov_b32_e32 v3, s23
	v_mov_b32_e32 v48, s0
	;; [unrolled: 1-line block ×3, first 2 shown]
	s_waitcnt lgkmcnt(0)
	v_cmp_gt_i64_e64 s[0:1], s[12:13], v[2:3]
	v_cmp_le_i64_e32 vcc, s[14:15], v[48:49]
	v_cndmask_b32_e64 v2, 0, 1, s[0:1]
	v_cmp_ne_u32_e64 s[0:1], 1, v2
	s_cbranch_vccz .LBB178_49
; %bb.1:
	s_and_b64 vcc, exec, s[0:1]
	s_cbranch_vccnz .LBB178_50
; %bb.2:
	v_lshlrev_b32_e32 v23, 3, v1
	v_add_co_u32_e32 v9, vcc, s22, v23
	v_addc_co_u32_e64 v10, s[2:3], 0, 0, vcc
	v_mul_lo_u32 v7, s15, v9
	v_mul_lo_u32 v8, s14, v10
	v_mad_u64_u32 v[5:6], s[2:3], s14, v9, 0
	v_mov_b32_e32 v2, 0
	s_load_dword s9, s[4:5], 0x44
	v_add_u32_e32 v3, s7, v0
	v_mov_b32_e32 v4, v2
	v_add3_u32 v6, v6, v8, v7
	v_cmp_gt_i64_e64 s[2:3], s[14:15], v[3:4]
	v_lshlrev_b64 v[19:20], 1, v[3:4]
	v_lshlrev_b64 v[3:4], 1, v[5:6]
	s_add_u32 s24, s4, 64
	v_mov_b32_e32 v7, s17
	v_add_co_u32_e32 v25, vcc, s16, v3
	s_addc_u32 s25, s5, 0
	s_waitcnt lgkmcnt(0)
	s_lshl_b32 s9, s9, 3
	v_addc_co_u32_e32 v26, vcc, v7, v4, vcc
	s_mul_i32 s10, s15, s9
	s_mul_hi_u32 s11, s14, s9
	v_add_co_u32_e32 v7, vcc, 7, v9
	s_add_i32 s11, s11, s10
	s_mul_i32 s10, s14, s9
	v_addc_co_u32_e32 v8, vcc, 0, v10, vcc
	s_lshl_b64 s[26:27], s[10:11], 1
	v_mul_lo_u32 v12, s15, v7
	v_mul_lo_u32 v13, s14, v8
	v_mad_u64_u32 v[7:8], s[10:11], s14, v7, 0
	v_mov_b32_e32 v11, s19
	v_add_co_u32_e32 v27, vcc, s18, v3
	v_add3_u32 v8, v8, v13, v12
	v_addc_co_u32_e32 v28, vcc, v11, v4, vcc
	v_lshlrev_b64 v[3:4], 1, v[7:8]
	v_mov_b32_e32 v7, s17
	v_add_co_u32_e32 v29, vcc, s16, v3
	v_addc_co_u32_e32 v30, vcc, v7, v4, vcc
	v_add_co_u32_e32 v7, vcc, 6, v9
	v_addc_co_u32_e32 v8, vcc, 0, v10, vcc
	v_mul_lo_u32 v12, s15, v7
	v_mul_lo_u32 v13, s14, v8
	v_mad_u64_u32 v[7:8], s[10:11], s14, v7, 0
	v_add_co_u32_e32 v31, vcc, s18, v3
	v_add3_u32 v8, v8, v13, v12
	v_addc_co_u32_e32 v32, vcc, v11, v4, vcc
	v_lshlrev_b64 v[3:4], 1, v[7:8]
	v_mov_b32_e32 v7, s17
	v_add_co_u32_e32 v33, vcc, s16, v3
	v_addc_co_u32_e32 v34, vcc, v7, v4, vcc
	v_add_co_u32_e32 v7, vcc, 5, v9
	v_addc_co_u32_e32 v8, vcc, 0, v10, vcc
	v_mul_lo_u32 v12, s15, v7
	v_mul_lo_u32 v13, s14, v8
	v_mad_u64_u32 v[7:8], s[10:11], s14, v7, 0
	;; [unrolled: 12-line block ×5, first 2 shown]
	v_add_co_u32_e32 v47, vcc, s18, v3
	v_add3_u32 v8, v8, v10, v9
	v_addc_co_u32_e32 v48, vcc, v11, v4, vcc
	v_lshlrev_b64 v[3:4], 1, v[7:8]
	v_mov_b32_e32 v7, s17
	v_add_co_u32_e32 v50, vcc, s16, v3
	v_addc_co_u32_e32 v51, vcc, v7, v4, vcc
	v_mov_b32_e32 v7, s19
	v_add_co_u32_e32 v52, vcc, s18, v3
	v_addc_co_u32_e32 v53, vcc, v7, v4, vcc
	;; [unrolled: 3-line block ×3, first 2 shown]
	v_lshlrev_b64 v[3:4], 1, v[3:4]
	v_mov_b32_e32 v5, s17
	v_add_co_u32_e32 v54, vcc, s16, v3
	v_addc_co_u32_e32 v55, vcc, v5, v4, vcc
	v_add_co_u32_e32 v56, vcc, s18, v3
	v_mbcnt_lo_u32_b32 v3, -1, 0
	v_mbcnt_hi_u32_b32 v3, -1, v3
	v_mov_b32_e32 v5, s19
	v_lshlrev_b32_e32 v3, 2, v3
	v_mov_b32_e32 v24, v2
	s_mov_b64 s[28:29], 7
	v_addc_co_u32_e32 v57, vcc, v5, v4, vcc
	v_and_b32_e32 v58, 0x100, v3
	s_mov_b64 s[30:31], s[22:23]
	v_mov_b32_e32 v59, 0
.LBB178_3:                              ; =>This Inner Loop Header: Depth=1
	s_add_u32 s10, s22, s28
	v_mov_b32_e32 v3, s12
	s_addc_u32 s11, 0, s29
	v_mov_b32_e32 v4, s13
	v_cmp_ge_i64_e32 vcc, s[10:11], v[3:4]
	v_add_co_u32_e64 v21, s[10:11], s22, v23
	v_addc_co_u32_e64 v22, s[10:11], 0, v24, s[10:11]
	s_mov_b64 s[10:11], -1
	s_and_b64 vcc, exec, vcc
                                        ; implicit-def: $vgpr3_vgpr4_vgpr5_vgpr6_vgpr7_vgpr8_vgpr9_vgpr10
                                        ; implicit-def: $vgpr49
                                        ; implicit-def: $vgpr11_vgpr12_vgpr13_vgpr14_vgpr15_vgpr16_vgpr17_vgpr18
                                        ; implicit-def: $vgpr3
	s_cbranch_vccz .LBB178_25
; %bb.4:                                ;   in Loop: Header=BB178_3 Depth=1
	s_load_dword s10, s[24:25], 0xc
	v_mov_b32_e32 v60, 0
	s_waitcnt lgkmcnt(0)
	s_and_b32 s10, s10, 0xffff
	v_mad_u32_u24 v3, v1, s10, v0
	v_and_b32_e32 v3, 63, v3
	v_cmp_gt_u32_e32 vcc, 8, v3
	s_and_saveexec_b64 s[10:11], vcc
	s_cbranch_execz .LBB178_8
; %bb.5:                                ;   in Loop: Header=BB178_3 Depth=1
	v_add_co_u32_e32 v3, vcc, v21, v3
	v_addc_co_u32_e32 v4, vcc, 0, v22, vcc
	v_cmp_gt_i64_e32 vcc, s[12:13], v[3:4]
	v_mov_b32_e32 v60, 0
	s_and_saveexec_b64 s[34:35], vcc
	s_cbranch_execz .LBB178_7
; %bb.6:                                ;   in Loop: Header=BB178_3 Depth=1
	v_lshlrev_b64 v[3:4], 2, v[3:4]
	v_mov_b32_e32 v5, s21
	v_add_co_u32_e32 v3, vcc, s20, v3
	v_addc_co_u32_e32 v4, vcc, v5, v4, vcc
	global_load_dword v60, v[3:4], off
.LBB178_7:                              ;   in Loop: Header=BB178_3 Depth=1
	s_or_b64 exec, exec, s[34:35]
.LBB178_8:                              ;   in Loop: Header=BB178_3 Depth=1
	s_or_b64 exec, exec, s[10:11]
	v_mov_b32_e32 v9, v2
	v_cmp_gt_i64_e32 vcc, s[12:13], v[21:22]
	v_mov_b32_e32 v3, v2
	v_mov_b32_e32 v4, v2
	;; [unrolled: 1-line block ×15, first 2 shown]
	s_and_b64 s[34:35], s[2:3], vcc
	v_mov_b32_e32 v9, v8
	v_mov_b32_e32 v8, v7
	;; [unrolled: 1-line block ×7, first 2 shown]
	s_and_saveexec_b64 s[10:11], s[34:35]
	s_cbranch_execz .LBB178_10
; %bb.9:                                ;   in Loop: Header=BB178_3 Depth=1
	v_add_co_u32_e32 v3, vcc, v25, v19
	v_addc_co_u32_e32 v4, vcc, v26, v20, vcc
	global_load_ushort v11, v[3:4], off
	v_add_co_u32_e32 v3, vcc, v27, v19
	v_addc_co_u32_e32 v4, vcc, v28, v20, vcc
	global_load_ushort v15, v[3:4], off
	v_mov_b32_e32 v4, v2
	v_mov_b32_e32 v5, v2
	;; [unrolled: 1-line block ×13, first 2 shown]
	s_waitcnt vmcnt(1)
	v_cvt_f32_f16_e32 v3, v11
	s_waitcnt vmcnt(0)
	v_cvt_f32_f16_e32 v11, v15
	v_mov_b32_e32 v15, v2
.LBB178_10:                             ;   in Loop: Header=BB178_3 Depth=1
	s_or_b64 exec, exec, s[10:11]
	v_add_co_u32_e32 v61, vcc, 1, v21
	v_addc_co_u32_e32 v62, vcc, 0, v22, vcc
	v_cmp_gt_i64_e32 vcc, s[12:13], v[61:62]
	s_and_b64 s[34:35], s[2:3], vcc
	s_and_saveexec_b64 s[10:11], s[34:35]
	s_cbranch_execz .LBB178_12
; %bb.11:                               ;   in Loop: Header=BB178_3 Depth=1
	v_add_co_u32_e32 v61, vcc, v54, v19
	v_addc_co_u32_e32 v62, vcc, v55, v20, vcc
	global_load_ushort v4, v[61:62], off
	v_add_co_u32_e32 v61, vcc, v56, v19
	v_addc_co_u32_e32 v62, vcc, v57, v20, vcc
	global_load_ushort v12, v[61:62], off
	s_waitcnt vmcnt(1)
	v_cvt_f32_f16_e32 v4, v4
	s_waitcnt vmcnt(0)
	v_cvt_f32_f16_e32 v12, v12
.LBB178_12:                             ;   in Loop: Header=BB178_3 Depth=1
	s_or_b64 exec, exec, s[10:11]
	v_add_co_u32_e32 v61, vcc, 2, v21
	v_addc_co_u32_e32 v62, vcc, 0, v22, vcc
	v_cmp_gt_i64_e32 vcc, s[12:13], v[61:62]
	s_and_b64 s[34:35], s[2:3], vcc
	s_and_saveexec_b64 s[10:11], s[34:35]
	s_cbranch_execz .LBB178_14
; %bb.13:                               ;   in Loop: Header=BB178_3 Depth=1
	v_add_co_u32_e32 v61, vcc, v50, v19
	v_addc_co_u32_e32 v62, vcc, v51, v20, vcc
	global_load_ushort v5, v[61:62], off
	v_add_co_u32_e32 v61, vcc, v52, v19
	v_addc_co_u32_e32 v62, vcc, v53, v20, vcc
	global_load_ushort v13, v[61:62], off
	s_waitcnt vmcnt(1)
	v_cvt_f32_f16_e32 v5, v5
	s_waitcnt vmcnt(0)
	v_cvt_f32_f16_e32 v13, v13
.LBB178_14:                             ;   in Loop: Header=BB178_3 Depth=1
	;; [unrolled: 19-line block ×7, first 2 shown]
	s_or_b64 exec, exec, s[10:11]
	s_waitcnt vmcnt(0)
	ds_bpermute_b32 v49, v58, v60
	ds_bpermute_b32 v61, v58, v60 offset:4
	v_mul_f32_e32 v3, v11, v3
	ds_bpermute_b32 v11, v58, v60 offset:8
	v_mul_f32_e32 v4, v12, v4
	s_waitcnt lgkmcnt(2)
	v_fma_f32 v49, v3, v49, v59
	s_waitcnt lgkmcnt(1)
	v_fmac_f32_e32 v49, v4, v61
	ds_bpermute_b32 v3, v58, v60 offset:12
	v_mul_f32_e32 v4, v13, v5
	s_waitcnt lgkmcnt(1)
	v_fmac_f32_e32 v49, v4, v11
	ds_bpermute_b32 v4, v58, v60 offset:16
	v_mul_f32_e32 v5, v14, v6
	s_waitcnt lgkmcnt(1)
	v_fmac_f32_e32 v49, v5, v3
	v_mul_f32_e32 v3, v15, v7
	ds_bpermute_b32 v5, v58, v60 offset:20
	s_waitcnt lgkmcnt(1)
	v_fmac_f32_e32 v49, v3, v4
	ds_bpermute_b32 v4, v58, v60 offset:24
	ds_bpermute_b32 v3, v58, v60 offset:28
	v_mul_f32_e32 v6, v16, v8
	s_waitcnt lgkmcnt(2)
	v_fmac_f32_e32 v49, v6, v5
	v_mul_f32_e32 v5, v17, v9
	s_waitcnt lgkmcnt(1)
	v_fmac_f32_e32 v49, v5, v4
	s_mov_b64 s[10:11], 0
.LBB178_25:                             ;   in Loop: Header=BB178_3 Depth=1
	s_and_b64 vcc, exec, s[10:11]
	s_cbranch_vccz .LBB178_40
; %bb.26:                               ;   in Loop: Header=BB178_3 Depth=1
	s_load_dword s10, s[24:25], 0x0
	v_mov_b32_e32 v49, 0
	s_waitcnt lgkmcnt(0)
	s_cmp_lt_u32 s6, s10
	s_cselect_b32 s10, 12, 18
	s_add_u32 s10, s24, s10
	s_addc_u32 s11, s25, 0
	global_load_ushort v3, v2, s[10:11]
	s_waitcnt vmcnt(0)
	v_mad_u32_u24 v3, v1, v3, v0
	v_and_b32_e32 v3, 63, v3
	v_cmp_gt_u32_e32 vcc, 8, v3
	s_and_saveexec_b64 s[10:11], vcc
	s_cbranch_execz .LBB178_30
; %bb.27:                               ;   in Loop: Header=BB178_3 Depth=1
	v_add_co_u32_e32 v3, vcc, v21, v3
	v_addc_co_u32_e32 v4, vcc, 0, v22, vcc
	v_cmp_gt_i64_e32 vcc, s[12:13], v[3:4]
	v_mov_b32_e32 v49, 0
	s_and_saveexec_b64 s[34:35], vcc
	s_cbranch_execz .LBB178_29
; %bb.28:                               ;   in Loop: Header=BB178_3 Depth=1
	v_lshlrev_b64 v[3:4], 2, v[3:4]
	v_mov_b32_e32 v5, s21
	v_add_co_u32_e32 v3, vcc, s20, v3
	v_addc_co_u32_e32 v4, vcc, v5, v4, vcc
	global_load_dword v49, v[3:4], off
.LBB178_29:                             ;   in Loop: Header=BB178_3 Depth=1
	s_or_b64 exec, exec, s[34:35]
.LBB178_30:                             ;   in Loop: Header=BB178_3 Depth=1
	s_or_b64 exec, exec, s[10:11]
	v_mov_b32_e32 v9, v2
	v_mov_b32_e32 v3, v2
	;; [unrolled: 1-line block ×23, first 2 shown]
	s_and_saveexec_b64 s[10:11], s[2:3]
	s_cbranch_execnz .LBB178_42
; %bb.31:                               ;   in Loop: Header=BB178_3 Depth=1
	s_or_b64 exec, exec, s[10:11]
	s_and_saveexec_b64 s[10:11], s[2:3]
	s_cbranch_execnz .LBB178_43
.LBB178_32:                             ;   in Loop: Header=BB178_3 Depth=1
	s_or_b64 exec, exec, s[10:11]
	s_and_saveexec_b64 s[10:11], s[2:3]
	s_cbranch_execnz .LBB178_44
.LBB178_33:                             ;   in Loop: Header=BB178_3 Depth=1
	s_or_b64 exec, exec, s[10:11]
	s_and_saveexec_b64 s[10:11], s[2:3]
	s_cbranch_execnz .LBB178_45
.LBB178_34:                             ;   in Loop: Header=BB178_3 Depth=1
	s_or_b64 exec, exec, s[10:11]
	s_and_saveexec_b64 s[10:11], s[2:3]
	s_cbranch_execnz .LBB178_46
.LBB178_35:                             ;   in Loop: Header=BB178_3 Depth=1
	s_or_b64 exec, exec, s[10:11]
	s_and_saveexec_b64 s[10:11], s[2:3]
	s_cbranch_execnz .LBB178_47
.LBB178_36:                             ;   in Loop: Header=BB178_3 Depth=1
	s_or_b64 exec, exec, s[10:11]
	s_and_saveexec_b64 s[10:11], s[2:3]
	s_cbranch_execnz .LBB178_48
.LBB178_37:                             ;   in Loop: Header=BB178_3 Depth=1
	s_or_b64 exec, exec, s[10:11]
	s_and_saveexec_b64 s[10:11], s[2:3]
	s_cbranch_execz .LBB178_39
.LBB178_38:                             ;   in Loop: Header=BB178_3 Depth=1
	v_add_co_u32_e32 v21, vcc, v29, v19
	v_addc_co_u32_e32 v22, vcc, v30, v20, vcc
	global_load_ushort v10, v[21:22], off
	v_add_co_u32_e32 v21, vcc, v31, v19
	v_addc_co_u32_e32 v22, vcc, v32, v20, vcc
	global_load_ushort v18, v[21:22], off
	s_waitcnt vmcnt(1)
	v_cvt_f32_f16_e32 v10, v10
	s_waitcnt vmcnt(0)
	v_cvt_f32_f16_e32 v18, v18
.LBB178_39:                             ;   in Loop: Header=BB178_3 Depth=1
	s_or_b64 exec, exec, s[10:11]
	s_waitcnt vmcnt(0)
	ds_bpermute_b32 v21, v58, v49
	ds_bpermute_b32 v22, v58, v49 offset:4
	v_mul_f32_e32 v3, v11, v3
	ds_bpermute_b32 v11, v58, v49 offset:8
	v_mul_f32_e32 v4, v12, v4
	s_waitcnt lgkmcnt(2)
	v_fmac_f32_e32 v59, v3, v21
	s_waitcnt lgkmcnt(1)
	v_fmac_f32_e32 v59, v4, v22
	ds_bpermute_b32 v3, v58, v49 offset:12
	v_mul_f32_e32 v4, v13, v5
	s_waitcnt lgkmcnt(1)
	v_fmac_f32_e32 v59, v4, v11
	ds_bpermute_b32 v4, v58, v49 offset:16
	v_mul_f32_e32 v5, v14, v6
	s_waitcnt lgkmcnt(1)
	v_fmac_f32_e32 v59, v5, v3
	v_mul_f32_e32 v3, v15, v7
	ds_bpermute_b32 v5, v58, v49 offset:20
	s_waitcnt lgkmcnt(1)
	v_fmac_f32_e32 v59, v3, v4
	ds_bpermute_b32 v4, v58, v49 offset:24
	ds_bpermute_b32 v3, v58, v49 offset:28
	v_mul_f32_e32 v6, v16, v8
	s_waitcnt lgkmcnt(2)
	v_fmac_f32_e32 v59, v6, v5
	v_mul_f32_e32 v5, v17, v9
	s_waitcnt lgkmcnt(1)
	v_fmac_f32_e32 v59, v5, v4
	v_mov_b32_e32 v49, v59
.LBB178_40:                             ;   in Loop: Header=BB178_3 Depth=1
	v_mul_f32_e32 v4, v10, v18
	s_waitcnt lgkmcnt(0)
	v_fmac_f32_e32 v49, v4, v3
	v_mov_b32_e32 v3, s27
	v_add_co_u32_e32 v25, vcc, s26, v25
	v_addc_co_u32_e32 v26, vcc, v26, v3, vcc
	v_add_co_u32_e32 v27, vcc, s26, v27
	v_addc_co_u32_e32 v28, vcc, v28, v3, vcc
	;; [unrolled: 2-line block ×16, first 2 shown]
	s_add_u32 s30, s30, s9
	v_add_co_u32_e32 v23, vcc, s9, v23
	v_mov_b32_e32 v3, s12
	s_addc_u32 s31, s31, 0
	v_addc_co_u32_e32 v24, vcc, 0, v24, vcc
	v_mov_b32_e32 v4, s13
	v_cmp_lt_i64_e32 vcc, s[30:31], v[3:4]
	s_add_u32 s28, s28, s9
	s_addc_u32 s29, 0, s29
	s_cbranch_vccz .LBB178_50
; %bb.41:                               ;   in Loop: Header=BB178_3 Depth=1
	v_mov_b32_e32 v59, v49
	s_branch .LBB178_3
.LBB178_42:                             ;   in Loop: Header=BB178_3 Depth=1
	v_add_co_u32_e32 v3, vcc, v25, v19
	v_addc_co_u32_e32 v4, vcc, v26, v20, vcc
	global_load_ushort v11, v[3:4], off
	v_add_co_u32_e32 v3, vcc, v27, v19
	v_addc_co_u32_e32 v4, vcc, v28, v20, vcc
	global_load_ushort v15, v[3:4], off
	v_mov_b32_e32 v4, v2
	v_mov_b32_e32 v5, v2
	v_mov_b32_e32 v6, v2
	v_mov_b32_e32 v7, v2
	v_mov_b32_e32 v8, v2
	v_mov_b32_e32 v9, v2
	v_mov_b32_e32 v10, v2
	v_mov_b32_e32 v12, v2
	v_mov_b32_e32 v13, v2
	v_mov_b32_e32 v14, v2
	v_mov_b32_e32 v16, v2
	v_mov_b32_e32 v17, v2
	v_mov_b32_e32 v18, v2
	s_waitcnt vmcnt(1)
	v_cvt_f32_f16_e32 v3, v11
	s_waitcnt vmcnt(0)
	v_cvt_f32_f16_e32 v11, v15
	v_mov_b32_e32 v15, v2
	s_or_b64 exec, exec, s[10:11]
	s_and_saveexec_b64 s[10:11], s[2:3]
	s_cbranch_execz .LBB178_32
.LBB178_43:                             ;   in Loop: Header=BB178_3 Depth=1
	v_add_co_u32_e32 v21, vcc, v54, v19
	v_addc_co_u32_e32 v22, vcc, v55, v20, vcc
	global_load_ushort v4, v[21:22], off
	v_add_co_u32_e32 v21, vcc, v56, v19
	v_addc_co_u32_e32 v22, vcc, v57, v20, vcc
	global_load_ushort v12, v[21:22], off
	s_waitcnt vmcnt(1)
	v_cvt_f32_f16_e32 v4, v4
	s_waitcnt vmcnt(0)
	v_cvt_f32_f16_e32 v12, v12
	s_or_b64 exec, exec, s[10:11]
	s_and_saveexec_b64 s[10:11], s[2:3]
	s_cbranch_execz .LBB178_33
.LBB178_44:                             ;   in Loop: Header=BB178_3 Depth=1
	v_add_co_u32_e32 v21, vcc, v50, v19
	v_addc_co_u32_e32 v22, vcc, v51, v20, vcc
	global_load_ushort v5, v[21:22], off
	v_add_co_u32_e32 v21, vcc, v52, v19
	v_addc_co_u32_e32 v22, vcc, v53, v20, vcc
	global_load_ushort v13, v[21:22], off
	s_waitcnt vmcnt(1)
	v_cvt_f32_f16_e32 v5, v5
	s_waitcnt vmcnt(0)
	v_cvt_f32_f16_e32 v13, v13
	s_or_b64 exec, exec, s[10:11]
	s_and_saveexec_b64 s[10:11], s[2:3]
	s_cbranch_execz .LBB178_34
.LBB178_45:                             ;   in Loop: Header=BB178_3 Depth=1
	v_add_co_u32_e32 v21, vcc, v45, v19
	v_addc_co_u32_e32 v22, vcc, v46, v20, vcc
	global_load_ushort v6, v[21:22], off
	v_add_co_u32_e32 v21, vcc, v47, v19
	v_addc_co_u32_e32 v22, vcc, v48, v20, vcc
	global_load_ushort v14, v[21:22], off
	s_waitcnt vmcnt(1)
	v_cvt_f32_f16_e32 v6, v6
	s_waitcnt vmcnt(0)
	v_cvt_f32_f16_e32 v14, v14
	s_or_b64 exec, exec, s[10:11]
	s_and_saveexec_b64 s[10:11], s[2:3]
	s_cbranch_execz .LBB178_35
.LBB178_46:                             ;   in Loop: Header=BB178_3 Depth=1
	v_add_co_u32_e32 v21, vcc, v41, v19
	v_addc_co_u32_e32 v22, vcc, v42, v20, vcc
	global_load_ushort v7, v[21:22], off
	v_add_co_u32_e32 v21, vcc, v43, v19
	v_addc_co_u32_e32 v22, vcc, v44, v20, vcc
	global_load_ushort v15, v[21:22], off
	s_waitcnt vmcnt(1)
	v_cvt_f32_f16_e32 v7, v7
	s_waitcnt vmcnt(0)
	v_cvt_f32_f16_e32 v15, v15
	s_or_b64 exec, exec, s[10:11]
	s_and_saveexec_b64 s[10:11], s[2:3]
	s_cbranch_execz .LBB178_36
.LBB178_47:                             ;   in Loop: Header=BB178_3 Depth=1
	v_add_co_u32_e32 v21, vcc, v37, v19
	v_addc_co_u32_e32 v22, vcc, v38, v20, vcc
	global_load_ushort v8, v[21:22], off
	v_add_co_u32_e32 v21, vcc, v39, v19
	v_addc_co_u32_e32 v22, vcc, v40, v20, vcc
	global_load_ushort v16, v[21:22], off
	s_waitcnt vmcnt(1)
	v_cvt_f32_f16_e32 v8, v8
	s_waitcnt vmcnt(0)
	v_cvt_f32_f16_e32 v16, v16
	s_or_b64 exec, exec, s[10:11]
	s_and_saveexec_b64 s[10:11], s[2:3]
	s_cbranch_execz .LBB178_37
.LBB178_48:                             ;   in Loop: Header=BB178_3 Depth=1
	v_add_co_u32_e32 v21, vcc, v33, v19
	v_addc_co_u32_e32 v22, vcc, v34, v20, vcc
	global_load_ushort v9, v[21:22], off
	v_add_co_u32_e32 v21, vcc, v35, v19
	v_addc_co_u32_e32 v22, vcc, v36, v20, vcc
	global_load_ushort v17, v[21:22], off
	s_waitcnt vmcnt(1)
	v_cvt_f32_f16_e32 v9, v9
	s_waitcnt vmcnt(0)
	v_cvt_f32_f16_e32 v17, v17
	s_or_b64 exec, exec, s[10:11]
	s_and_saveexec_b64 s[10:11], s[2:3]
	s_cbranch_execnz .LBB178_38
	s_branch .LBB178_39
.LBB178_49:
                                        ; implicit-def: $vgpr49
	s_load_dwordx2 s[2:3], s[4:5], 0x30
	s_branch .LBB178_51
.LBB178_50:
	s_load_dwordx2 s[2:3], s[4:5], 0x30
	s_cbranch_execnz .LBB178_83
.LBB178_51:
	s_and_b64 vcc, exec, s[0:1]
	v_mov_b32_e32 v49, 0
	s_cbranch_vccnz .LBB178_83
; %bb.52:
	v_lshlrev_b32_e32 v52, 3, v1
	v_add_co_u32_e32 v8, vcc, s22, v52
	v_addc_co_u32_e64 v9, s[0:1], 0, 0, vcc
	v_mul_lo_u32 v4, s15, v8
	v_mul_lo_u32 v5, s14, v9
	v_mad_u64_u32 v[2:3], s[0:1], s14, v8, 0
	v_mov_b32_e32 v6, s17
	s_add_u32 s10, s4, 64
	v_add3_u32 v3, v3, v5, v4
	v_lshlrev_b64 v[4:5], 1, v[2:3]
	s_addc_u32 s11, s5, 0
	v_add_co_u32_e32 v53, vcc, s16, v4
	v_addc_co_u32_e32 v54, vcc, v6, v5, vcc
	v_mov_b32_e32 v6, s19
	v_add_co_u32_e32 v55, vcc, s18, v4
	v_addc_co_u32_e32 v56, vcc, v6, v5, vcc
	v_lshlrev_b32_e32 v4, 4, v1
	s_lshl_b64 s[0:1], s[22:23], 1
	v_mov_b32_e32 v5, s1
	v_add_co_u32_e32 v10, vcc, s0, v4
	v_addc_co_u32_e32 v11, vcc, 0, v5, vcc
	v_add_co_u32_e32 v12, vcc, 2, v10
	v_addc_co_u32_e32 v6, vcc, 0, v11, vcc
	v_mov_b32_e32 v4, s16
	v_mul_lo_u32 v14, s14, v6
	v_mov_b32_e32 v6, s18
	v_mov_b32_e32 v5, s17
	;; [unrolled: 1-line block ×3, first 2 shown]
	v_mad_u64_u32 v[19:20], s[0:1], s14, v12, v[4:5]
	v_mul_lo_u32 v15, s15, v12
	v_mad_u64_u32 v[21:22], s[0:1], s14, v12, v[6:7]
	v_add_co_u32_e32 v12, vcc, 4, v10
	v_addc_co_u32_e32 v16, vcc, 0, v11, vcc
	v_mov_b32_e32 v13, s15
	v_add_co_u32_e32 v2, vcc, s14, v2
	v_addc_co_u32_e32 v3, vcc, v3, v13, vcc
	v_mul_lo_u32 v17, s15, v12
	v_mad_u64_u32 v[23:24], s[0:1], s14, v12, v[4:5]
	v_mad_u64_u32 v[25:26], s[0:1], s14, v12, v[6:7]
	v_add_co_u32_e32 v12, vcc, 6, v10
	v_addc_co_u32_e32 v13, vcc, 0, v11, vcc
	v_add3_u32 v20, v15, v20, v14
	v_add3_u32 v22, v15, v22, v14
	v_mul_lo_u32 v13, s14, v13
	v_mul_lo_u32 v14, s15, v12
	v_mad_u64_u32 v[27:28], s[0:1], s14, v12, v[4:5]
	v_mad_u64_u32 v[29:30], s[0:1], s14, v12, v[6:7]
	v_add_co_u32_e32 v12, vcc, 8, v10
	v_mul_lo_u32 v16, s14, v16
	v_addc_co_u32_e32 v15, vcc, 0, v11, vcc
	v_mul_lo_u32 v18, s15, v12
	v_mad_u64_u32 v[31:32], s[0:1], s14, v12, v[4:5]
	v_mad_u64_u32 v[33:34], s[0:1], s14, v12, v[6:7]
	v_add_co_u32_e32 v12, vcc, 10, v10
	v_add3_u32 v28, v14, v28, v13
	v_add3_u32 v30, v14, v30, v13
	v_addc_co_u32_e32 v13, vcc, 0, v11, vcc
	v_mul_lo_u32 v14, s15, v12
	v_mad_u64_u32 v[35:36], s[0:1], s14, v12, v[4:5]
	v_mad_u64_u32 v[37:38], s[0:1], s14, v12, v[6:7]
	v_add_co_u32_e32 v12, vcc, 12, v10
	v_add3_u32 v24, v17, v24, v16
	v_add3_u32 v26, v17, v26, v16
	v_addc_co_u32_e32 v16, vcc, 0, v11, vcc
	v_add_co_u32_e32 v10, vcc, 14, v10
	v_addc_co_u32_e32 v11, vcc, 0, v11, vcc
	v_mad_u64_u32 v[39:40], s[0:1], s14, v12, v[4:5]
	v_mad_u64_u32 v[43:44], s[0:1], s14, v10, v[4:5]
	v_add_co_u32_e32 v4, vcc, 7, v8
	v_addc_co_u32_e32 v5, vcc, 0, v9, vcc
	v_mad_u64_u32 v[41:42], s[0:1], s14, v12, v[6:7]
	v_mad_u64_u32 v[45:46], s[0:1], s14, v10, v[6:7]
	v_mul_lo_u32 v6, s15, v10
	v_mul_lo_u32 v7, s14, v5
	;; [unrolled: 1-line block ×3, first 2 shown]
	v_mad_u64_u32 v[4:5], s[0:1], s14, v4, 0
	v_mul_lo_u32 v11, s14, v11
	v_mul_lo_u32 v17, s15, v12
	v_add3_u32 v5, v5, v7, v10
	v_lshlrev_b64 v[4:5], 1, v[4:5]
	v_add3_u32 v44, v6, v44, v11
	v_add3_u32 v46, v6, v46, v11
	v_mov_b32_e32 v6, s17
	v_add_co_u32_e32 v57, vcc, s16, v4
	v_addc_co_u32_e32 v58, vcc, v6, v5, vcc
	v_add_co_u32_e32 v6, vcc, 6, v8
	v_addc_co_u32_e32 v7, vcc, 0, v9, vcc
	v_mul_lo_u32 v11, s14, v7
	v_mul_lo_u32 v12, s15, v6
	v_mad_u64_u32 v[6:7], s[0:1], s14, v6, 0
	v_mov_b32_e32 v10, s19
	v_add_co_u32_e32 v59, vcc, s18, v4
	v_add3_u32 v7, v7, v11, v12
	v_addc_co_u32_e32 v60, vcc, v10, v5, vcc
	v_lshlrev_b64 v[4:5], 1, v[6:7]
	v_mov_b32_e32 v6, s17
	v_add_co_u32_e32 v61, vcc, s16, v4
	v_addc_co_u32_e32 v62, vcc, v6, v5, vcc
	v_add_co_u32_e32 v6, vcc, 5, v8
	v_addc_co_u32_e32 v7, vcc, 0, v9, vcc
	v_mul_lo_u32 v11, s14, v7
	v_mul_lo_u32 v12, s15, v6
	v_mad_u64_u32 v[6:7], s[0:1], s14, v6, 0
	v_add_co_u32_e32 v63, vcc, s18, v4
	v_add3_u32 v7, v7, v11, v12
	v_addc_co_u32_e32 v64, vcc, v10, v5, vcc
	v_lshlrev_b64 v[4:5], 1, v[6:7]
	v_mov_b32_e32 v6, s17
	v_add_co_u32_e32 v65, vcc, s16, v4
	v_addc_co_u32_e32 v66, vcc, v6, v5, vcc
	v_add_co_u32_e32 v6, vcc, 4, v8
	v_addc_co_u32_e32 v7, vcc, 0, v9, vcc
	v_mul_lo_u32 v11, s14, v7
	v_mul_lo_u32 v12, s15, v6
	v_mad_u64_u32 v[6:7], s[0:1], s14, v6, 0
	;; [unrolled: 12-line block ×4, first 2 shown]
	v_add_co_u32_e32 v75, vcc, s18, v4
	v_add3_u32 v7, v7, v8, v9
	v_addc_co_u32_e32 v76, vcc, v10, v5, vcc
	v_lshlrev_b64 v[4:5], 1, v[6:7]
	v_mov_b32_e32 v6, s17
	v_add_co_u32_e32 v77, vcc, s16, v4
	v_addc_co_u32_e32 v78, vcc, v6, v5, vcc
	v_mov_b32_e32 v6, s19
	v_add_co_u32_e32 v79, vcc, s18, v4
	v_lshlrev_b64 v[2:3], 1, v[2:3]
	v_addc_co_u32_e32 v80, vcc, v6, v5, vcc
	s_load_dword s0, s[4:5], 0x44
	v_mov_b32_e32 v4, s17
	v_add_co_u32_e32 v81, vcc, s16, v2
	v_addc_co_u32_e32 v82, vcc, v4, v3, vcc
	v_mov_b32_e32 v4, s19
	v_add_co_u32_e32 v83, vcc, s18, v2
	v_mov_b32_e32 v2, 0
	v_mul_lo_u32 v15, s14, v15
	v_mul_lo_u32 v13, s14, v13
	;; [unrolled: 1-line block ×3, first 2 shown]
	v_addc_co_u32_e32 v84, vcc, v4, v3, vcc
	v_add_u32_e32 v3, s7, v0
	v_mov_b32_e32 v4, v2
	s_waitcnt lgkmcnt(0)
	s_lshl_b32 s7, s0, 3
	v_lshlrev_b64 v[47:48], 1, v[3:4]
	v_mbcnt_lo_u32_b32 v3, -1, 0
	s_mul_i32 s0, s15, s7
	s_mul_hi_u32 s1, s14, s7
	v_mbcnt_hi_u32_b32 v3, -1, v3
	s_add_i32 s1, s1, s0
	s_mul_i32 s0, s14, s7
	v_lshlrev_b32_e32 v3, 2, v3
	v_add3_u32 v32, v18, v32, v15
	v_add3_u32 v34, v18, v34, v15
	;; [unrolled: 1-line block ×6, first 2 shown]
	s_lshl_b64 s[16:17], s[0:1], 1
	s_mov_b64 s[18:19], 7
	v_and_b32_e32 v85, 0x100, v3
	s_mov_b64 s[24:25], s[22:23]
	v_mov_b32_e32 v86, v2
	v_mov_b32_e32 v87, 0
.LBB178_53:                             ; =>This Inner Loop Header: Depth=1
	s_add_u32 s0, s22, s18
	v_mov_b32_e32 v3, s12
	s_addc_u32 s1, 0, s19
	v_mov_b32_e32 v4, s13
	v_cmp_ge_i64_e32 vcc, s[0:1], v[3:4]
	v_add_co_u32_e64 v50, s[0:1], s22, v52
	v_addc_co_u32_e64 v51, s[0:1], 0, v86, s[0:1]
	s_mov_b64 s[0:1], -1
                                        ; implicit-def: $vgpr49
	s_cbranch_vccz .LBB178_75
; %bb.54:                               ;   in Loop: Header=BB178_53 Depth=1
	s_load_dword s0, s[10:11], 0xc
	v_mov_b32_e32 v88, 0
	s_waitcnt lgkmcnt(0)
	s_and_b32 s0, s0, 0xffff
	v_mad_u32_u24 v3, v1, s0, v0
	v_and_b32_e32 v3, 63, v3
	v_cmp_gt_u32_e32 vcc, 8, v3
	s_and_saveexec_b64 s[0:1], vcc
	s_cbranch_execz .LBB178_58
; %bb.55:                               ;   in Loop: Header=BB178_53 Depth=1
	v_add_co_u32_e32 v3, vcc, v50, v3
	v_addc_co_u32_e32 v4, vcc, 0, v51, vcc
	v_cmp_gt_i64_e32 vcc, s[12:13], v[3:4]
	v_mov_b32_e32 v88, 0
	s_and_saveexec_b64 s[26:27], vcc
	s_cbranch_execz .LBB178_57
; %bb.56:                               ;   in Loop: Header=BB178_53 Depth=1
	v_lshlrev_b64 v[3:4], 2, v[3:4]
	v_mov_b32_e32 v5, s21
	v_add_co_u32_e32 v3, vcc, s20, v3
	v_addc_co_u32_e32 v4, vcc, v5, v4, vcc
	global_load_dword v88, v[3:4], off
.LBB178_57:                             ;   in Loop: Header=BB178_53 Depth=1
	s_or_b64 exec, exec, s[26:27]
.LBB178_58:                             ;   in Loop: Header=BB178_53 Depth=1
	s_or_b64 exec, exec, s[0:1]
	v_mov_b32_e32 v9, v2
	v_mov_b32_e32 v3, v2
	;; [unrolled: 1-line block ×8, first 2 shown]
	v_cmp_gt_i64_e32 vcc, s[12:13], v[50:51]
	v_mov_b32_e32 v17, v8
	v_mov_b32_e32 v16, v7
	;; [unrolled: 1-line block ×15, first 2 shown]
	s_and_saveexec_b64 s[0:1], vcc
	s_cbranch_execz .LBB178_60
; %bb.59:                               ;   in Loop: Header=BB178_53 Depth=1
	v_add_co_u32_e32 v3, vcc, v53, v47
	v_addc_co_u32_e32 v4, vcc, v54, v48, vcc
	global_load_ushort v11, v[3:4], off
	v_add_co_u32_e32 v3, vcc, v55, v47
	v_addc_co_u32_e32 v4, vcc, v56, v48, vcc
	global_load_ushort v15, v[3:4], off
	v_mov_b32_e32 v4, v2
	v_mov_b32_e32 v5, v2
	;; [unrolled: 1-line block ×13, first 2 shown]
	s_waitcnt vmcnt(1)
	v_cvt_f32_f16_e32 v3, v11
	s_waitcnt vmcnt(0)
	v_cvt_f32_f16_e32 v11, v15
	v_mov_b32_e32 v15, v2
.LBB178_60:                             ;   in Loop: Header=BB178_53 Depth=1
	s_or_b64 exec, exec, s[0:1]
	v_add_co_u32_e32 v89, vcc, 1, v50
	v_addc_co_u32_e32 v90, vcc, 0, v51, vcc
	v_cmp_gt_i64_e32 vcc, s[12:13], v[89:90]
	s_and_saveexec_b64 s[0:1], vcc
	s_cbranch_execz .LBB178_62
; %bb.61:                               ;   in Loop: Header=BB178_53 Depth=1
	v_add_co_u32_e32 v89, vcc, v81, v47
	v_addc_co_u32_e32 v90, vcc, v82, v48, vcc
	global_load_ushort v4, v[89:90], off
	v_add_co_u32_e32 v89, vcc, v83, v47
	v_addc_co_u32_e32 v90, vcc, v84, v48, vcc
	global_load_ushort v12, v[89:90], off
	s_waitcnt vmcnt(1)
	v_cvt_f32_f16_e32 v4, v4
	s_waitcnt vmcnt(0)
	v_cvt_f32_f16_e32 v12, v12
.LBB178_62:                             ;   in Loop: Header=BB178_53 Depth=1
	s_or_b64 exec, exec, s[0:1]
	v_add_co_u32_e32 v89, vcc, 2, v50
	v_addc_co_u32_e32 v90, vcc, 0, v51, vcc
	v_cmp_gt_i64_e32 vcc, s[12:13], v[89:90]
	s_and_saveexec_b64 s[0:1], vcc
	s_cbranch_execz .LBB178_64
; %bb.63:                               ;   in Loop: Header=BB178_53 Depth=1
	v_add_co_u32_e32 v89, vcc, v77, v47
	v_addc_co_u32_e32 v90, vcc, v78, v48, vcc
	global_load_ushort v5, v[89:90], off
	v_add_co_u32_e32 v89, vcc, v79, v47
	v_addc_co_u32_e32 v90, vcc, v80, v48, vcc
	global_load_ushort v13, v[89:90], off
	s_waitcnt vmcnt(1)
	v_cvt_f32_f16_e32 v5, v5
	s_waitcnt vmcnt(0)
	v_cvt_f32_f16_e32 v13, v13
.LBB178_64:                             ;   in Loop: Header=BB178_53 Depth=1
	s_or_b64 exec, exec, s[0:1]
	v_add_co_u32_e32 v89, vcc, 3, v50
	v_addc_co_u32_e32 v90, vcc, 0, v51, vcc
	v_cmp_gt_i64_e32 vcc, s[12:13], v[89:90]
	s_and_saveexec_b64 s[0:1], vcc
	s_cbranch_execz .LBB178_66
; %bb.65:                               ;   in Loop: Header=BB178_53 Depth=1
	v_add_co_u32_e32 v89, vcc, v73, v47
	v_addc_co_u32_e32 v90, vcc, v74, v48, vcc
	global_load_ushort v6, v[89:90], off
	v_add_co_u32_e32 v89, vcc, v75, v47
	v_addc_co_u32_e32 v90, vcc, v76, v48, vcc
	global_load_ushort v14, v[89:90], off
	s_waitcnt vmcnt(1)
	v_cvt_f32_f16_e32 v6, v6
	s_waitcnt vmcnt(0)
	v_cvt_f32_f16_e32 v14, v14
.LBB178_66:                             ;   in Loop: Header=BB178_53 Depth=1
	s_or_b64 exec, exec, s[0:1]
	v_add_co_u32_e32 v89, vcc, 4, v50
	v_addc_co_u32_e32 v90, vcc, 0, v51, vcc
	v_cmp_gt_i64_e32 vcc, s[12:13], v[89:90]
	s_and_saveexec_b64 s[0:1], vcc
	s_cbranch_execz .LBB178_68
; %bb.67:                               ;   in Loop: Header=BB178_53 Depth=1
	v_add_co_u32_e32 v89, vcc, v69, v47
	v_addc_co_u32_e32 v90, vcc, v70, v48, vcc
	global_load_ushort v7, v[89:90], off
	v_add_co_u32_e32 v89, vcc, v71, v47
	v_addc_co_u32_e32 v90, vcc, v72, v48, vcc
	global_load_ushort v15, v[89:90], off
	s_waitcnt vmcnt(1)
	v_cvt_f32_f16_e32 v7, v7
	s_waitcnt vmcnt(0)
	v_cvt_f32_f16_e32 v15, v15
.LBB178_68:                             ;   in Loop: Header=BB178_53 Depth=1
	s_or_b64 exec, exec, s[0:1]
	v_add_co_u32_e32 v89, vcc, 5, v50
	v_addc_co_u32_e32 v90, vcc, 0, v51, vcc
	v_cmp_gt_i64_e32 vcc, s[12:13], v[89:90]
	s_and_saveexec_b64 s[0:1], vcc
	s_cbranch_execz .LBB178_70
; %bb.69:                               ;   in Loop: Header=BB178_53 Depth=1
	v_add_co_u32_e32 v89, vcc, v65, v47
	v_addc_co_u32_e32 v90, vcc, v66, v48, vcc
	global_load_ushort v8, v[89:90], off
	v_add_co_u32_e32 v89, vcc, v67, v47
	v_addc_co_u32_e32 v90, vcc, v68, v48, vcc
	global_load_ushort v16, v[89:90], off
	s_waitcnt vmcnt(1)
	v_cvt_f32_f16_e32 v8, v8
	s_waitcnt vmcnt(0)
	v_cvt_f32_f16_e32 v16, v16
.LBB178_70:                             ;   in Loop: Header=BB178_53 Depth=1
	s_or_b64 exec, exec, s[0:1]
	v_add_co_u32_e32 v89, vcc, 6, v50
	v_addc_co_u32_e32 v90, vcc, 0, v51, vcc
	v_cmp_gt_i64_e32 vcc, s[12:13], v[89:90]
	s_and_saveexec_b64 s[0:1], vcc
	s_cbranch_execz .LBB178_72
; %bb.71:                               ;   in Loop: Header=BB178_53 Depth=1
	v_add_co_u32_e32 v89, vcc, v61, v47
	v_addc_co_u32_e32 v90, vcc, v62, v48, vcc
	global_load_ushort v9, v[89:90], off
	v_add_co_u32_e32 v89, vcc, v63, v47
	v_addc_co_u32_e32 v90, vcc, v64, v48, vcc
	global_load_ushort v17, v[89:90], off
	s_waitcnt vmcnt(1)
	v_cvt_f32_f16_e32 v9, v9
	s_waitcnt vmcnt(0)
	v_cvt_f32_f16_e32 v17, v17
.LBB178_72:                             ;   in Loop: Header=BB178_53 Depth=1
	s_or_b64 exec, exec, s[0:1]
	v_add_co_u32_e32 v89, vcc, 7, v50
	v_addc_co_u32_e32 v90, vcc, 0, v51, vcc
	v_cmp_gt_i64_e32 vcc, s[12:13], v[89:90]
	s_and_saveexec_b64 s[0:1], vcc
	s_cbranch_execz .LBB178_74
; %bb.73:                               ;   in Loop: Header=BB178_53 Depth=1
	v_add_co_u32_e32 v89, vcc, v57, v47
	v_addc_co_u32_e32 v90, vcc, v58, v48, vcc
	global_load_ushort v10, v[89:90], off
	v_add_co_u32_e32 v89, vcc, v59, v47
	v_addc_co_u32_e32 v90, vcc, v60, v48, vcc
	global_load_ushort v18, v[89:90], off
	s_waitcnt vmcnt(1)
	v_cvt_f32_f16_e32 v10, v10
	s_waitcnt vmcnt(0)
	v_cvt_f32_f16_e32 v18, v18
.LBB178_74:                             ;   in Loop: Header=BB178_53 Depth=1
	s_or_b64 exec, exec, s[0:1]
	s_waitcnt vmcnt(0)
	ds_bpermute_b32 v49, v85, v88
	ds_bpermute_b32 v89, v85, v88 offset:4
	v_mul_f32_e32 v3, v11, v3
	ds_bpermute_b32 v11, v85, v88 offset:8
	v_mul_f32_e32 v4, v12, v4
	s_waitcnt lgkmcnt(2)
	v_fma_f32 v49, v3, v49, v87
	s_waitcnt lgkmcnt(1)
	v_fmac_f32_e32 v49, v4, v89
	ds_bpermute_b32 v3, v85, v88 offset:12
	v_mul_f32_e32 v4, v13, v5
	s_waitcnt lgkmcnt(1)
	v_fmac_f32_e32 v49, v4, v11
	ds_bpermute_b32 v4, v85, v88 offset:16
	v_mul_f32_e32 v5, v14, v6
	s_waitcnt lgkmcnt(1)
	v_fmac_f32_e32 v49, v5, v3
	v_mul_f32_e32 v3, v15, v7
	ds_bpermute_b32 v5, v85, v88 offset:20
	s_waitcnt lgkmcnt(1)
	v_fmac_f32_e32 v49, v3, v4
	ds_bpermute_b32 v3, v85, v88 offset:24
	ds_bpermute_b32 v6, v85, v88 offset:28
	v_mul_f32_e32 v4, v16, v8
	s_waitcnt lgkmcnt(2)
	v_fmac_f32_e32 v49, v4, v5
	v_mul_f32_e32 v4, v17, v9
	s_waitcnt lgkmcnt(1)
	v_fmac_f32_e32 v49, v4, v3
	;; [unrolled: 3-line block ×3, first 2 shown]
	s_mov_b64 s[0:1], 0
.LBB178_75:                             ;   in Loop: Header=BB178_53 Depth=1
	s_and_b64 vcc, exec, s[0:1]
	s_cbranch_vccz .LBB178_81
; %bb.76:                               ;   in Loop: Header=BB178_53 Depth=1
	s_load_dword s0, s[10:11], 0x0
	v_mov_b32_e32 v5, 0
	s_waitcnt lgkmcnt(0)
	s_cmp_lt_u32 s6, s0
	s_cselect_b32 s0, 12, 18
	s_add_u32 s0, s10, s0
	s_addc_u32 s1, s11, 0
	global_load_ushort v3, v2, s[0:1]
	s_waitcnt vmcnt(0)
	v_mad_u32_u24 v3, v1, v3, v0
	v_and_b32_e32 v3, 63, v3
	v_cmp_gt_u32_e32 vcc, 8, v3
	s_and_saveexec_b64 s[0:1], vcc
	s_cbranch_execz .LBB178_80
; %bb.77:                               ;   in Loop: Header=BB178_53 Depth=1
	v_add_co_u32_e32 v3, vcc, v50, v3
	v_addc_co_u32_e32 v4, vcc, 0, v51, vcc
	v_cmp_gt_i64_e32 vcc, s[12:13], v[3:4]
	v_mov_b32_e32 v5, 0
	s_and_saveexec_b64 s[26:27], vcc
	s_cbranch_execz .LBB178_79
; %bb.78:                               ;   in Loop: Header=BB178_53 Depth=1
	v_lshlrev_b64 v[3:4], 2, v[3:4]
	v_mov_b32_e32 v5, s21
	v_add_co_u32_e32 v3, vcc, s20, v3
	v_addc_co_u32_e32 v4, vcc, v5, v4, vcc
	global_load_dword v5, v[3:4], off
.LBB178_79:                             ;   in Loop: Header=BB178_53 Depth=1
	s_or_b64 exec, exec, s[26:27]
.LBB178_80:                             ;   in Loop: Header=BB178_53 Depth=1
	s_or_b64 exec, exec, s[0:1]
	v_add_co_u32_e32 v3, vcc, v53, v47
	v_addc_co_u32_e32 v4, vcc, v54, v48, vcc
	global_load_ushort v6, v[3:4], off
	v_add_co_u32_e32 v3, vcc, v55, v47
	v_addc_co_u32_e32 v4, vcc, v56, v48, vcc
	global_load_ushort v7, v[3:4], off
	;; [unrolled: 3-line block ×16, first 2 shown]
	s_waitcnt vmcnt(16)
	ds_bpermute_b32 v51, v85, v5 offset:4
	s_waitcnt vmcnt(15)
	v_cvt_f32_f16_e32 v4, v6
	s_waitcnt vmcnt(14)
	v_cvt_f32_f16_e32 v6, v7
	v_mul_f32_e32 v4, v4, v6
	s_waitcnt vmcnt(13)
	v_cvt_f32_f16_e32 v7, v8
	s_waitcnt vmcnt(12)
	v_cvt_f32_f16_e32 v8, v9
	v_mul_f32_e32 v6, v7, v8
	;; [unrolled: 5-line block ×3, first 2 shown]
	s_waitcnt vmcnt(9)
	v_cvt_f32_f16_e32 v11, v12
	s_waitcnt vmcnt(8)
	v_cvt_f32_f16_e32 v12, v13
	;; [unrolled: 2-line block ×8, first 2 shown]
	ds_bpermute_b32 v49, v85, v5
	s_waitcnt vmcnt(1)
	v_cvt_f32_f16_e32 v50, v50
	s_waitcnt lgkmcnt(0)
	v_fmac_f32_e32 v87, v4, v49
	ds_bpermute_b32 v4, v85, v5 offset:8
	v_fmac_f32_e32 v87, v6, v51
	ds_bpermute_b32 v6, v85, v5 offset:12
	s_waitcnt vmcnt(0)
	v_cvt_f32_f16_e32 v3, v3
	s_waitcnt lgkmcnt(1)
	v_fmac_f32_e32 v87, v7, v4
	ds_bpermute_b32 v4, v85, v5 offset:16
	v_mul_f32_e32 v7, v11, v12
	s_waitcnt lgkmcnt(1)
	v_fmac_f32_e32 v87, v7, v6
	v_mul_f32_e32 v6, v13, v14
	ds_bpermute_b32 v7, v85, v5 offset:20
	s_waitcnt lgkmcnt(1)
	v_fmac_f32_e32 v87, v6, v4
	ds_bpermute_b32 v4, v85, v5 offset:24
	ds_bpermute_b32 v5, v85, v5 offset:28
	v_mul_f32_e32 v6, v15, v16
	s_waitcnt lgkmcnt(2)
	v_fmac_f32_e32 v87, v6, v7
	v_mul_f32_e32 v6, v17, v18
	s_waitcnt lgkmcnt(1)
	v_fmac_f32_e32 v87, v6, v4
	;; [unrolled: 3-line block ×3, first 2 shown]
	v_mov_b32_e32 v49, v87
.LBB178_81:                             ;   in Loop: Header=BB178_53 Depth=1
	v_mov_b32_e32 v3, s17
	v_add_co_u32_e32 v53, vcc, s16, v53
	v_addc_co_u32_e32 v54, vcc, v54, v3, vcc
	v_add_co_u32_e32 v55, vcc, s16, v55
	v_addc_co_u32_e32 v56, vcc, v56, v3, vcc
	;; [unrolled: 2-line block ×30, first 2 shown]
	v_add_co_u32_e32 v83, vcc, s16, v83
	s_add_u32 s24, s24, s7
	v_addc_co_u32_e32 v84, vcc, v84, v3, vcc
	v_mov_b32_e32 v3, s12
	s_addc_u32 s25, s25, 0
	v_mov_b32_e32 v4, s13
	v_cmp_ge_i64_e32 vcc, s[24:25], v[3:4]
	s_add_u32 s18, s18, s7
	s_addc_u32 s19, 0, s19
	s_cbranch_vccnz .LBB178_83
; %bb.82:                               ;   in Loop: Header=BB178_53 Depth=1
	v_mov_b32_e32 v87, v49
	s_branch .LBB178_53
.LBB178_83:
	s_mov_b32 s7, 0
	s_lshl_b64 s[0:1], s[6:7], 5
	v_or_b32_e32 v3, s0, v0
	v_mov_b32_e32 v4, s1
	v_cmp_gt_i64_e32 vcc, s[14:15], v[3:4]
	s_waitcnt lgkmcnt(0)
	s_cmp_lg_u64 s[2:3], 0
	s_cselect_b64 s[0:1], -1, 0
	s_and_b64 s[0:1], vcc, s[0:1]
	s_and_saveexec_b64 s[6:7], s[0:1]
	s_cbranch_execz .LBB178_85
; %bb.84:
	s_load_dword s0, s[4:5], 0x4c
	v_mov_b32_e32 v2, 0
	v_mov_b32_e32 v0, s8
	;; [unrolled: 1-line block ×3, first 2 shown]
	v_cvt_f16_f32_e32 v6, v49
	s_waitcnt lgkmcnt(0)
	s_lshr_b32 s0, s0, 16
	v_mad_u64_u32 v[0:1], s[0:1], s0, v0, v[1:2]
	v_mul_lo_u32 v2, v1, s14
	v_mul_lo_u32 v5, v0, s15
	v_mad_u64_u32 v[0:1], s[0:1], v0, s14, 0
	v_add3_u32 v1, v1, v5, v2
	v_lshlrev_b64 v[0:1], 1, v[0:1]
	v_add_co_u32_e32 v2, vcc, s2, v0
	v_addc_co_u32_e32 v5, vcc, v7, v1, vcc
	v_lshlrev_b64 v[0:1], 1, v[3:4]
	v_add_co_u32_e32 v0, vcc, v2, v0
	v_addc_co_u32_e32 v1, vcc, v5, v1, vcc
	global_store_short v[0:1], v6, off
.LBB178_85:
	s_endpgm
	.section	.rodata,"a",@progbits
	.p2align	6, 0x0
	.amdhsa_kernel _ZN2at6native12_GLOBAL__N_135GammaBetaBackwardCUDAKernelTemplateIN3c104HalfEfLj32ELj1ELj8ELb1ELb0ELb1EEEvllPKT_S7_PKT0_SA_PS5_SB_
		.amdhsa_group_segment_fixed_size 0
		.amdhsa_private_segment_fixed_size 0
		.amdhsa_kernarg_size 320
		.amdhsa_user_sgpr_count 6
		.amdhsa_user_sgpr_private_segment_buffer 1
		.amdhsa_user_sgpr_dispatch_ptr 0
		.amdhsa_user_sgpr_queue_ptr 0
		.amdhsa_user_sgpr_kernarg_segment_ptr 1
		.amdhsa_user_sgpr_dispatch_id 0
		.amdhsa_user_sgpr_flat_scratch_init 0
		.amdhsa_user_sgpr_private_segment_size 0
		.amdhsa_uses_dynamic_stack 0
		.amdhsa_system_sgpr_private_segment_wavefront_offset 0
		.amdhsa_system_sgpr_workgroup_id_x 1
		.amdhsa_system_sgpr_workgroup_id_y 1
		.amdhsa_system_sgpr_workgroup_id_z 0
		.amdhsa_system_sgpr_workgroup_info 0
		.amdhsa_system_vgpr_workitem_id 1
		.amdhsa_next_free_vgpr 91
		.amdhsa_next_free_sgpr 36
		.amdhsa_reserve_vcc 1
		.amdhsa_reserve_flat_scratch 0
		.amdhsa_float_round_mode_32 0
		.amdhsa_float_round_mode_16_64 0
		.amdhsa_float_denorm_mode_32 3
		.amdhsa_float_denorm_mode_16_64 3
		.amdhsa_dx10_clamp 1
		.amdhsa_ieee_mode 1
		.amdhsa_fp16_overflow 0
		.amdhsa_exception_fp_ieee_invalid_op 0
		.amdhsa_exception_fp_denorm_src 0
		.amdhsa_exception_fp_ieee_div_zero 0
		.amdhsa_exception_fp_ieee_overflow 0
		.amdhsa_exception_fp_ieee_underflow 0
		.amdhsa_exception_fp_ieee_inexact 0
		.amdhsa_exception_int_div_zero 0
	.end_amdhsa_kernel
	.section	.text._ZN2at6native12_GLOBAL__N_135GammaBetaBackwardCUDAKernelTemplateIN3c104HalfEfLj32ELj1ELj8ELb1ELb0ELb1EEEvllPKT_S7_PKT0_SA_PS5_SB_,"axG",@progbits,_ZN2at6native12_GLOBAL__N_135GammaBetaBackwardCUDAKernelTemplateIN3c104HalfEfLj32ELj1ELj8ELb1ELb0ELb1EEEvllPKT_S7_PKT0_SA_PS5_SB_,comdat
.Lfunc_end178:
	.size	_ZN2at6native12_GLOBAL__N_135GammaBetaBackwardCUDAKernelTemplateIN3c104HalfEfLj32ELj1ELj8ELb1ELb0ELb1EEEvllPKT_S7_PKT0_SA_PS5_SB_, .Lfunc_end178-_ZN2at6native12_GLOBAL__N_135GammaBetaBackwardCUDAKernelTemplateIN3c104HalfEfLj32ELj1ELj8ELb1ELb0ELb1EEEvllPKT_S7_PKT0_SA_PS5_SB_
                                        ; -- End function
	.set _ZN2at6native12_GLOBAL__N_135GammaBetaBackwardCUDAKernelTemplateIN3c104HalfEfLj32ELj1ELj8ELb1ELb0ELb1EEEvllPKT_S7_PKT0_SA_PS5_SB_.num_vgpr, 91
	.set _ZN2at6native12_GLOBAL__N_135GammaBetaBackwardCUDAKernelTemplateIN3c104HalfEfLj32ELj1ELj8ELb1ELb0ELb1EEEvllPKT_S7_PKT0_SA_PS5_SB_.num_agpr, 0
	.set _ZN2at6native12_GLOBAL__N_135GammaBetaBackwardCUDAKernelTemplateIN3c104HalfEfLj32ELj1ELj8ELb1ELb0ELb1EEEvllPKT_S7_PKT0_SA_PS5_SB_.numbered_sgpr, 36
	.set _ZN2at6native12_GLOBAL__N_135GammaBetaBackwardCUDAKernelTemplateIN3c104HalfEfLj32ELj1ELj8ELb1ELb0ELb1EEEvllPKT_S7_PKT0_SA_PS5_SB_.num_named_barrier, 0
	.set _ZN2at6native12_GLOBAL__N_135GammaBetaBackwardCUDAKernelTemplateIN3c104HalfEfLj32ELj1ELj8ELb1ELb0ELb1EEEvllPKT_S7_PKT0_SA_PS5_SB_.private_seg_size, 0
	.set _ZN2at6native12_GLOBAL__N_135GammaBetaBackwardCUDAKernelTemplateIN3c104HalfEfLj32ELj1ELj8ELb1ELb0ELb1EEEvllPKT_S7_PKT0_SA_PS5_SB_.uses_vcc, 1
	.set _ZN2at6native12_GLOBAL__N_135GammaBetaBackwardCUDAKernelTemplateIN3c104HalfEfLj32ELj1ELj8ELb1ELb0ELb1EEEvllPKT_S7_PKT0_SA_PS5_SB_.uses_flat_scratch, 0
	.set _ZN2at6native12_GLOBAL__N_135GammaBetaBackwardCUDAKernelTemplateIN3c104HalfEfLj32ELj1ELj8ELb1ELb0ELb1EEEvllPKT_S7_PKT0_SA_PS5_SB_.has_dyn_sized_stack, 0
	.set _ZN2at6native12_GLOBAL__N_135GammaBetaBackwardCUDAKernelTemplateIN3c104HalfEfLj32ELj1ELj8ELb1ELb0ELb1EEEvllPKT_S7_PKT0_SA_PS5_SB_.has_recursion, 0
	.set _ZN2at6native12_GLOBAL__N_135GammaBetaBackwardCUDAKernelTemplateIN3c104HalfEfLj32ELj1ELj8ELb1ELb0ELb1EEEvllPKT_S7_PKT0_SA_PS5_SB_.has_indirect_call, 0
	.section	.AMDGPU.csdata,"",@progbits
; Kernel info:
; codeLenInByte = 6300
; TotalNumSgprs: 40
; NumVgprs: 91
; ScratchSize: 0
; MemoryBound: 0
; FloatMode: 240
; IeeeMode: 1
; LDSByteSize: 0 bytes/workgroup (compile time only)
; SGPRBlocks: 4
; VGPRBlocks: 22
; NumSGPRsForWavesPerEU: 40
; NumVGPRsForWavesPerEU: 91
; Occupancy: 2
; WaveLimiterHint : 0
; COMPUTE_PGM_RSRC2:SCRATCH_EN: 0
; COMPUTE_PGM_RSRC2:USER_SGPR: 6
; COMPUTE_PGM_RSRC2:TRAP_HANDLER: 0
; COMPUTE_PGM_RSRC2:TGID_X_EN: 1
; COMPUTE_PGM_RSRC2:TGID_Y_EN: 1
; COMPUTE_PGM_RSRC2:TGID_Z_EN: 0
; COMPUTE_PGM_RSRC2:TIDIG_COMP_CNT: 1
	.section	.text._ZN2at6native12_GLOBAL__N_135GammaBetaBackwardCUDAKernelTemplateIN3c104HalfEfLj32ELj8ELj64ELb0ELb1ELb1EEEvllPKT_S7_PKT0_SA_PS5_SB_,"axG",@progbits,_ZN2at6native12_GLOBAL__N_135GammaBetaBackwardCUDAKernelTemplateIN3c104HalfEfLj32ELj8ELj64ELb0ELb1ELb1EEEvllPKT_S7_PKT0_SA_PS5_SB_,comdat
	.globl	_ZN2at6native12_GLOBAL__N_135GammaBetaBackwardCUDAKernelTemplateIN3c104HalfEfLj32ELj8ELj64ELb0ELb1ELb1EEEvllPKT_S7_PKT0_SA_PS5_SB_ ; -- Begin function _ZN2at6native12_GLOBAL__N_135GammaBetaBackwardCUDAKernelTemplateIN3c104HalfEfLj32ELj8ELj64ELb0ELb1ELb1EEEvllPKT_S7_PKT0_SA_PS5_SB_
	.p2align	8
	.type	_ZN2at6native12_GLOBAL__N_135GammaBetaBackwardCUDAKernelTemplateIN3c104HalfEfLj32ELj8ELj64ELb0ELb1ELb1EEEvllPKT_S7_PKT0_SA_PS5_SB_,@function
_ZN2at6native12_GLOBAL__N_135GammaBetaBackwardCUDAKernelTemplateIN3c104HalfEfLj32ELj8ELj64ELb0ELb1ELb1EEEvllPKT_S7_PKT0_SA_PS5_SB_: ; @_ZN2at6native12_GLOBAL__N_135GammaBetaBackwardCUDAKernelTemplateIN3c104HalfEfLj32ELj8ELj64ELb0ELb1ELb1EEEvllPKT_S7_PKT0_SA_PS5_SB_
; %bb.0:
	s_load_dwordx4 s[8:11], s[4:5], 0x0
	s_lshl_b32 s18, s7, 6
	s_mov_b32 s19, 0
	v_mov_b32_e32 v2, s18
	v_mov_b32_e32 v3, s19
	s_waitcnt lgkmcnt(0)
	v_cmp_gt_i64_e32 vcc, s[8:9], v[2:3]
	s_cbranch_vccnz .LBB179_2
; %bb.1:
	s_mov_b64 s[0:1], 0
	s_branch .LBB179_3
.LBB179_2:
	s_mov_b64 s[0:1], -1
.LBB179_3:
	s_load_dwordx2 s[16:17], s[4:5], 0x30
	v_mov_b32_e32 v3, 0
	s_andn2_b64 vcc, exec, s[0:1]
	v_mbcnt_lo_u32_b32 v8, -1, 0
	s_cbranch_vccnz .LBB179_10
; %bb.4:
	s_load_dword s0, s[4:5], 0x4c
	s_load_dword s7, s[4:5], 0x44
	s_load_dwordx4 s[12:15], s[4:5], 0x10
	s_load_dwordx2 s[2:3], s[4:5], 0x28
	v_lshlrev_b32_e32 v4, 3, v1
	s_waitcnt lgkmcnt(0)
	s_and_b32 s0, s0, 0xffff
	v_mad_u32_u24 v2, v1, s0, v0
	v_and_b32_e32 v5, 63, v2
	v_add_co_u32_e32 v10, vcc, s18, v4
	v_addc_co_u32_e64 v11, s[20:21], 0, 0, vcc
	v_add_co_u32_e32 v4, vcc, v10, v5
	v_cmp_gt_u32_e64 s[0:1], 8, v5
	v_mbcnt_hi_u32_b32 v6, -1, v8
	v_addc_co_u32_e32 v5, vcc, 0, v11, vcc
	v_mul_lo_u32 v14, s11, v10
	v_mul_lo_u32 v15, s10, v11
	v_mad_u64_u32 v[11:12], s[20:21], s10, v10, 0
	v_lshlrev_b32_e32 v6, 2, v6
	v_and_b32_e32 v9, 0x100, v6
	v_lshlrev_b64 v[6:7], 2, v[4:5]
	v_mov_b32_e32 v3, 0
	v_lshl_add_u32 v2, s6, 5, v0
	v_mov_b32_e32 v13, s3
	v_add_co_u32_e32 v6, vcc, s2, v6
	v_add3_u32 v12, v12, v15, v14
	v_addc_co_u32_e32 v7, vcc, v13, v7, vcc
	v_lshlrev_b64 v[11:12], 1, v[11:12]
	v_lshlrev_b64 v[13:14], 1, v[2:3]
	s_lshl_b32 s4, s7, 6
	s_mul_i32 s2, s11, s4
	s_mul_hi_u32 s3, s10, s4
	s_mov_b32 s5, 0
	v_add_co_u32_e32 v2, vcc, v11, v13
	s_add_i32 s3, s3, s2
	s_mul_i32 s2, s10, s4
	v_or_b32_e32 v10, 20, v9
	v_addc_co_u32_e32 v11, vcc, v12, v14, vcc
	v_or_b32_e32 v12, 24, v9
	v_or_b32_e32 v13, 28, v9
	s_lshl_b64 s[20:21], s[4:5], 2
	s_lshl_b64 s[22:23], s[2:3], 1
	;; [unrolled: 1-line block ×3, first 2 shown]
	s_branch .LBB179_7
.LBB179_5:                              ;   in Loop: Header=BB179_7 Depth=1
	s_or_b64 exec, exec, s[24:25]
.LBB179_6:                              ;   in Loop: Header=BB179_7 Depth=1
	s_or_b64 exec, exec, s[2:3]
	v_mov_b32_e32 v16, s13
	v_add_co_u32_e32 v15, vcc, s12, v2
	v_addc_co_u32_e32 v16, vcc, v16, v11, vcc
	v_mov_b32_e32 v21, s11
	v_add_co_u32_e32 v17, vcc, s10, v15
	v_addc_co_u32_e32 v18, vcc, v16, v21, vcc
	global_load_ushort v22, v[15:16], off
	v_mov_b32_e32 v16, s15
	v_add_co_u32_e32 v15, vcc, s14, v2
	v_addc_co_u32_e32 v16, vcc, v16, v11, vcc
	v_add_co_u32_e32 v19, vcc, s10, v15
	global_load_ushort v15, v[15:16], off
	v_addc_co_u32_e32 v20, vcc, v16, v21, vcc
	s_add_u32 s18, s18, s4
	s_addc_u32 s19, s19, 0
	v_add_co_u32_e64 v6, s[2:3], s20, v6
	s_waitcnt vmcnt(1)
	v_cvt_f32_f16_e32 v16, v22
	global_load_ushort v22, v[17:18], off
	s_waitcnt vmcnt(1)
	v_cvt_f32_f16_e32 v15, v15
	v_mul_f32_e32 v15, v16, v15
	ds_bpermute_b32 v16, v9, v14
	s_waitcnt lgkmcnt(0)
	v_fmac_f32_e32 v3, v15, v16
	v_add_co_u32_e32 v15, vcc, s10, v17
	v_addc_co_u32_e32 v16, vcc, v18, v21, vcc
	v_add_co_u32_e32 v17, vcc, s10, v19
	global_load_ushort v19, v[19:20], off
	v_addc_co_u32_e32 v18, vcc, v20, v21, vcc
	s_waitcnt vmcnt(1)
	v_cvt_f32_f16_e32 v20, v22
	global_load_ushort v22, v[15:16], off
	s_waitcnt vmcnt(1)
	v_cvt_f32_f16_e32 v19, v19
	v_mul_f32_e32 v19, v20, v19
	v_or_b32_e32 v20, 4, v9
	ds_bpermute_b32 v20, v20, v14
	s_waitcnt lgkmcnt(0)
	v_fmac_f32_e32 v3, v19, v20
	v_add_co_u32_e32 v19, vcc, s10, v15
	v_addc_co_u32_e32 v20, vcc, v16, v21, vcc
	v_add_co_u32_e32 v15, vcc, s10, v17
	global_load_ushort v17, v[17:18], off
	v_addc_co_u32_e32 v16, vcc, v18, v21, vcc
	s_waitcnt vmcnt(1)
	v_cvt_f32_f16_e32 v18, v22
	global_load_ushort v22, v[19:20], off
	s_waitcnt vmcnt(1)
	v_cvt_f32_f16_e32 v17, v17
	v_mul_f32_e32 v17, v18, v17
	v_or_b32_e32 v18, 8, v9
	;; [unrolled: 15-line block ×4, first 2 shown]
	ds_bpermute_b32 v20, v20, v14
	s_waitcnt lgkmcnt(0)
	v_fmac_f32_e32 v3, v19, v20
	v_add_co_u32_e32 v19, vcc, s10, v15
	v_addc_co_u32_e32 v20, vcc, v16, v21, vcc
	v_add_co_u32_e32 v15, vcc, s10, v17
	global_load_ushort v17, v[17:18], off
	v_addc_co_u32_e32 v16, vcc, v18, v21, vcc
	s_waitcnt vmcnt(1)
	v_cvt_f32_f16_e32 v18, v22
	global_load_ushort v22, v[19:20], off
	s_waitcnt vmcnt(1)
	v_cvt_f32_f16_e32 v17, v17
	v_mul_f32_e32 v17, v18, v17
	ds_bpermute_b32 v18, v10, v14
	s_waitcnt lgkmcnt(0)
	v_fmac_f32_e32 v3, v17, v18
	v_add_co_u32_e32 v17, vcc, s10, v19
	v_addc_co_u32_e32 v18, vcc, v20, v21, vcc
	v_add_co_u32_e32 v19, vcc, s10, v15
	global_load_ushort v15, v[15:16], off
	v_addc_co_u32_e32 v20, vcc, v16, v21, vcc
	s_waitcnt vmcnt(1)
	v_cvt_f32_f16_e32 v16, v22
	s_waitcnt vmcnt(0)
	v_cvt_f32_f16_e32 v15, v15
	v_mul_f32_e32 v15, v16, v15
	ds_bpermute_b32 v16, v12, v14
	ds_bpermute_b32 v14, v13, v14
	s_waitcnt lgkmcnt(1)
	v_fmac_f32_e32 v3, v15, v16
	global_load_ushort v15, v[17:18], off
	global_load_ushort v16, v[19:20], off
	s_waitcnt vmcnt(1)
	v_cvt_f32_f16_e32 v15, v15
	s_waitcnt vmcnt(0)
	v_cvt_f32_f16_e32 v16, v16
	v_mul_f32_e32 v15, v15, v16
	s_waitcnt lgkmcnt(0)
	v_fmac_f32_e32 v3, v15, v14
	v_mov_b32_e32 v15, s9
	v_mov_b32_e32 v14, s8
	v_cmp_lt_i64_e32 vcc, s[18:19], v[14:15]
	v_mov_b32_e32 v14, s21
	v_addc_co_u32_e64 v7, s[2:3], v7, v14, s[2:3]
	v_add_co_u32_e64 v2, s[2:3], s22, v2
	v_mov_b32_e32 v14, s23
	v_addc_co_u32_e64 v11, s[2:3], v11, v14, s[2:3]
	v_add_co_u32_e64 v4, s[2:3], s4, v4
	v_addc_co_u32_e64 v5, s[2:3], 0, v5, s[2:3]
	s_cbranch_vccz .LBB179_10
.LBB179_7:                              ; =>This Inner Loop Header: Depth=1
	v_mov_b32_e32 v14, 0
	s_and_saveexec_b64 s[2:3], s[0:1]
	s_cbranch_execz .LBB179_6
; %bb.8:                                ;   in Loop: Header=BB179_7 Depth=1
	v_cmp_gt_i64_e32 vcc, s[8:9], v[4:5]
	v_mov_b32_e32 v14, 0
	s_and_saveexec_b64 s[24:25], vcc
	s_cbranch_execz .LBB179_5
; %bb.9:                                ;   in Loop: Header=BB179_7 Depth=1
	global_load_dword v14, v[6:7], off
	s_branch .LBB179_5
.LBB179_10:
	v_mad_u32_u24 v2, v1, 33, v0
	v_lshl_add_u32 v4, v2, 2, 0
	ds_write_b32 v4, v3
	v_mov_b32_e32 v3, 0
	ds_write_b32 v4, v3 offset:1056
	v_sub_u32_e32 v3, v2, v1
	s_movk_i32 s0, 0x800
	v_cmp_gt_u32_e32 vcc, s0, v3
	s_waitcnt lgkmcnt(0)
	s_barrier
	s_and_saveexec_b64 s[0:1], vcc
	s_cbranch_execz .LBB179_50
; %bb.11:
	v_and_b32_e32 v2, 63, v3
	v_lshrrev_b32_e32 v1, 6, v3
	v_cmp_gt_u32_e32 vcc, 8, v2
	v_mul_u32_u24_e32 v2, 33, v2
                                        ; implicit-def: $vgpr5
	s_and_saveexec_b64 s[0:1], vcc
; %bb.12:
	v_lshlrev_b32_e32 v4, 2, v1
	v_lshlrev_b32_e32 v5, 2, v2
	v_add3_u32 v4, 0, v4, v5
	ds_read_b32 v5, v4
; %bb.13:
	s_or_b64 exec, exec, s[0:1]
	v_mbcnt_hi_u32_b32 v6, -1, v8
	v_and_b32_e32 v4, 64, v6
	v_add_u32_e32 v7, 64, v4
	v_xor_b32_e32 v4, 4, v6
	v_cmp_lt_i32_e64 s[0:1], v4, v7
	v_cndmask_b32_e64 v4, v6, v4, s[0:1]
	v_lshlrev_b32_e32 v4, 2, v4
	s_waitcnt lgkmcnt(0)
	ds_bpermute_b32 v8, v4, v5
	v_xor_b32_e32 v9, 2, v6
	v_cmp_lt_i32_e64 s[0:1], v9, v7
	s_cmp_lg_u64 s[16:17], 0
	s_mov_b32 s7, 0
	s_waitcnt lgkmcnt(0)
	v_add_f32_e32 v8, v5, v8
	v_cndmask_b32_e64 v5, v6, v9, s[0:1]
	v_lshlrev_b32_e32 v5, 2, v5
	ds_bpermute_b32 v9, v5, v8
	v_cmp_eq_u32_e64 s[0:1], 0, v0
	v_xor_b32_e32 v0, 1, v6
	v_cmp_lt_i32_e64 s[2:3], v0, v7
	v_cndmask_b32_e64 v0, v6, v0, s[2:3]
	s_waitcnt lgkmcnt(0)
	v_add_f32_e32 v8, v8, v9
	v_lshlrev_b32_e32 v0, 2, v0
	ds_bpermute_b32 v6, v0, v8
	s_cselect_b64 s[4:5], -1, 0
	s_and_b64 s[4:5], s[0:1], s[4:5]
	s_lshl_b64 s[0:1], s[6:7], 6
	s_add_u32 s2, s16, s0
	s_addc_u32 s3, s17, s1
	s_waitcnt lgkmcnt(0)
	v_add_f32_e32 v6, v8, v6
	s_and_saveexec_b64 s[0:1], s[4:5]
	s_cbranch_execz .LBB179_15
; %bb.14:
	v_cvt_f16_f32_e32 v7, v6
	v_lshlrev_b32_e32 v8, 1, v1
	global_store_short v8, v7, s[2:3]
.LBB179_15:
	s_or_b64 exec, exec, s[0:1]
	s_movk_i32 s0, 0x700
	v_cmp_gt_u32_e64 s[0:1], s0, v3
	s_and_b64 exec, exec, s[0:1]
	s_cbranch_execz .LBB179_50
; %bb.16:
	s_and_saveexec_b64 s[0:1], vcc
; %bb.17:
	v_lshlrev_b32_e32 v6, 2, v1
	v_lshlrev_b32_e32 v7, 2, v2
	v_add3_u32 v6, 0, v6, v7
	ds_read_b32 v6, v6 offset:16
; %bb.18:
	s_or_b64 exec, exec, s[0:1]
	s_waitcnt lgkmcnt(0)
	ds_bpermute_b32 v7, v4, v6
	s_waitcnt lgkmcnt(0)
	v_add_f32_e32 v6, v6, v7
	ds_bpermute_b32 v7, v5, v6
	s_waitcnt lgkmcnt(0)
	v_add_f32_e32 v6, v6, v7
	ds_bpermute_b32 v7, v0, v6
	s_waitcnt lgkmcnt(0)
	v_add_f32_e32 v6, v6, v7
	s_and_saveexec_b64 s[0:1], s[4:5]
	s_cbranch_execz .LBB179_20
; %bb.19:
	v_cvt_f16_f32_e32 v7, v6
	v_lshlrev_b32_e32 v8, 1, v1
	global_store_short v8, v7, s[2:3] offset:8
.LBB179_20:
	s_or_b64 exec, exec, s[0:1]
	s_movk_i32 s0, 0x600
	v_cmp_gt_u32_e64 s[0:1], s0, v3
	s_and_b64 exec, exec, s[0:1]
	s_cbranch_execz .LBB179_50
; %bb.21:
	s_and_saveexec_b64 s[0:1], vcc
; %bb.22:
	v_lshlrev_b32_e32 v6, 2, v1
	v_lshlrev_b32_e32 v7, 2, v2
	v_add3_u32 v6, 0, v6, v7
	ds_read_b32 v6, v6 offset:32
; %bb.23:
	s_or_b64 exec, exec, s[0:1]
	s_waitcnt lgkmcnt(0)
	ds_bpermute_b32 v7, v4, v6
	s_waitcnt lgkmcnt(0)
	v_add_f32_e32 v6, v6, v7
	ds_bpermute_b32 v7, v5, v6
	s_waitcnt lgkmcnt(0)
	v_add_f32_e32 v6, v6, v7
	ds_bpermute_b32 v7, v0, v6
	s_waitcnt lgkmcnt(0)
	v_add_f32_e32 v6, v6, v7
	s_and_saveexec_b64 s[0:1], s[4:5]
	s_cbranch_execz .LBB179_25
; %bb.24:
	v_cvt_f16_f32_e32 v7, v6
	v_lshlrev_b32_e32 v8, 1, v1
	global_store_short v8, v7, s[2:3] offset:16
.LBB179_25:
	;; [unrolled: 31-line block ×6, first 2 shown]
	s_or_b64 exec, exec, s[0:1]
	s_movk_i32 s0, 0x100
	v_cmp_gt_u32_e64 s[0:1], s0, v3
	s_and_b64 exec, exec, s[0:1]
	s_cbranch_execz .LBB179_50
; %bb.46:
	s_and_saveexec_b64 s[0:1], vcc
; %bb.47:
	v_lshlrev_b32_e32 v3, 2, v1
	v_lshlrev_b32_e32 v2, 2, v2
	v_add3_u32 v2, 0, v3, v2
	ds_read_b32 v6, v2 offset:112
; %bb.48:
	s_or_b64 exec, exec, s[0:1]
	s_waitcnt lgkmcnt(0)
	ds_bpermute_b32 v2, v4, v6
	s_waitcnt lgkmcnt(0)
	v_add_f32_e32 v2, v6, v2
	ds_bpermute_b32 v3, v5, v2
	s_waitcnt lgkmcnt(0)
	v_add_f32_e32 v2, v2, v3
	ds_bpermute_b32 v0, v0, v2
	s_and_saveexec_b64 s[0:1], s[4:5]
	s_xor_b64 s[0:1], exec, s[0:1]
	s_cbranch_execz .LBB179_50
; %bb.49:
	s_waitcnt lgkmcnt(0)
	v_add_f32_e32 v0, v2, v0
	v_cvt_f16_f32_e32 v0, v0
	v_lshlrev_b32_e32 v1, 1, v1
	global_store_short v1, v0, s[2:3] offset:56
.LBB179_50:
	s_endpgm
	.section	.rodata,"a",@progbits
	.p2align	6, 0x0
	.amdhsa_kernel _ZN2at6native12_GLOBAL__N_135GammaBetaBackwardCUDAKernelTemplateIN3c104HalfEfLj32ELj8ELj64ELb0ELb1ELb1EEEvllPKT_S7_PKT0_SA_PS5_SB_
		.amdhsa_group_segment_fixed_size 0
		.amdhsa_private_segment_fixed_size 0
		.amdhsa_kernarg_size 320
		.amdhsa_user_sgpr_count 6
		.amdhsa_user_sgpr_private_segment_buffer 1
		.amdhsa_user_sgpr_dispatch_ptr 0
		.amdhsa_user_sgpr_queue_ptr 0
		.amdhsa_user_sgpr_kernarg_segment_ptr 1
		.amdhsa_user_sgpr_dispatch_id 0
		.amdhsa_user_sgpr_flat_scratch_init 0
		.amdhsa_user_sgpr_private_segment_size 0
		.amdhsa_uses_dynamic_stack 0
		.amdhsa_system_sgpr_private_segment_wavefront_offset 0
		.amdhsa_system_sgpr_workgroup_id_x 1
		.amdhsa_system_sgpr_workgroup_id_y 1
		.amdhsa_system_sgpr_workgroup_id_z 0
		.amdhsa_system_sgpr_workgroup_info 0
		.amdhsa_system_vgpr_workitem_id 1
		.amdhsa_next_free_vgpr 23
		.amdhsa_next_free_sgpr 26
		.amdhsa_reserve_vcc 1
		.amdhsa_reserve_flat_scratch 0
		.amdhsa_float_round_mode_32 0
		.amdhsa_float_round_mode_16_64 0
		.amdhsa_float_denorm_mode_32 3
		.amdhsa_float_denorm_mode_16_64 3
		.amdhsa_dx10_clamp 1
		.amdhsa_ieee_mode 1
		.amdhsa_fp16_overflow 0
		.amdhsa_exception_fp_ieee_invalid_op 0
		.amdhsa_exception_fp_denorm_src 0
		.amdhsa_exception_fp_ieee_div_zero 0
		.amdhsa_exception_fp_ieee_overflow 0
		.amdhsa_exception_fp_ieee_underflow 0
		.amdhsa_exception_fp_ieee_inexact 0
		.amdhsa_exception_int_div_zero 0
	.end_amdhsa_kernel
	.section	.text._ZN2at6native12_GLOBAL__N_135GammaBetaBackwardCUDAKernelTemplateIN3c104HalfEfLj32ELj8ELj64ELb0ELb1ELb1EEEvllPKT_S7_PKT0_SA_PS5_SB_,"axG",@progbits,_ZN2at6native12_GLOBAL__N_135GammaBetaBackwardCUDAKernelTemplateIN3c104HalfEfLj32ELj8ELj64ELb0ELb1ELb1EEEvllPKT_S7_PKT0_SA_PS5_SB_,comdat
.Lfunc_end179:
	.size	_ZN2at6native12_GLOBAL__N_135GammaBetaBackwardCUDAKernelTemplateIN3c104HalfEfLj32ELj8ELj64ELb0ELb1ELb1EEEvllPKT_S7_PKT0_SA_PS5_SB_, .Lfunc_end179-_ZN2at6native12_GLOBAL__N_135GammaBetaBackwardCUDAKernelTemplateIN3c104HalfEfLj32ELj8ELj64ELb0ELb1ELb1EEEvllPKT_S7_PKT0_SA_PS5_SB_
                                        ; -- End function
	.set _ZN2at6native12_GLOBAL__N_135GammaBetaBackwardCUDAKernelTemplateIN3c104HalfEfLj32ELj8ELj64ELb0ELb1ELb1EEEvllPKT_S7_PKT0_SA_PS5_SB_.num_vgpr, 23
	.set _ZN2at6native12_GLOBAL__N_135GammaBetaBackwardCUDAKernelTemplateIN3c104HalfEfLj32ELj8ELj64ELb0ELb1ELb1EEEvllPKT_S7_PKT0_SA_PS5_SB_.num_agpr, 0
	.set _ZN2at6native12_GLOBAL__N_135GammaBetaBackwardCUDAKernelTemplateIN3c104HalfEfLj32ELj8ELj64ELb0ELb1ELb1EEEvllPKT_S7_PKT0_SA_PS5_SB_.numbered_sgpr, 26
	.set _ZN2at6native12_GLOBAL__N_135GammaBetaBackwardCUDAKernelTemplateIN3c104HalfEfLj32ELj8ELj64ELb0ELb1ELb1EEEvllPKT_S7_PKT0_SA_PS5_SB_.num_named_barrier, 0
	.set _ZN2at6native12_GLOBAL__N_135GammaBetaBackwardCUDAKernelTemplateIN3c104HalfEfLj32ELj8ELj64ELb0ELb1ELb1EEEvllPKT_S7_PKT0_SA_PS5_SB_.private_seg_size, 0
	.set _ZN2at6native12_GLOBAL__N_135GammaBetaBackwardCUDAKernelTemplateIN3c104HalfEfLj32ELj8ELj64ELb0ELb1ELb1EEEvllPKT_S7_PKT0_SA_PS5_SB_.uses_vcc, 1
	.set _ZN2at6native12_GLOBAL__N_135GammaBetaBackwardCUDAKernelTemplateIN3c104HalfEfLj32ELj8ELj64ELb0ELb1ELb1EEEvllPKT_S7_PKT0_SA_PS5_SB_.uses_flat_scratch, 0
	.set _ZN2at6native12_GLOBAL__N_135GammaBetaBackwardCUDAKernelTemplateIN3c104HalfEfLj32ELj8ELj64ELb0ELb1ELb1EEEvllPKT_S7_PKT0_SA_PS5_SB_.has_dyn_sized_stack, 0
	.set _ZN2at6native12_GLOBAL__N_135GammaBetaBackwardCUDAKernelTemplateIN3c104HalfEfLj32ELj8ELj64ELb0ELb1ELb1EEEvllPKT_S7_PKT0_SA_PS5_SB_.has_recursion, 0
	.set _ZN2at6native12_GLOBAL__N_135GammaBetaBackwardCUDAKernelTemplateIN3c104HalfEfLj32ELj8ELj64ELb0ELb1ELb1EEEvllPKT_S7_PKT0_SA_PS5_SB_.has_indirect_call, 0
	.section	.AMDGPU.csdata,"",@progbits
; Kernel info:
; codeLenInByte = 2268
; TotalNumSgprs: 30
; NumVgprs: 23
; ScratchSize: 0
; MemoryBound: 0
; FloatMode: 240
; IeeeMode: 1
; LDSByteSize: 0 bytes/workgroup (compile time only)
; SGPRBlocks: 3
; VGPRBlocks: 5
; NumSGPRsForWavesPerEU: 30
; NumVGPRsForWavesPerEU: 23
; Occupancy: 10
; WaveLimiterHint : 0
; COMPUTE_PGM_RSRC2:SCRATCH_EN: 0
; COMPUTE_PGM_RSRC2:USER_SGPR: 6
; COMPUTE_PGM_RSRC2:TRAP_HANDLER: 0
; COMPUTE_PGM_RSRC2:TGID_X_EN: 1
; COMPUTE_PGM_RSRC2:TGID_Y_EN: 1
; COMPUTE_PGM_RSRC2:TGID_Z_EN: 0
; COMPUTE_PGM_RSRC2:TIDIG_COMP_CNT: 1
	.section	.text._ZN2at6native12_GLOBAL__N_135GammaBetaBackwardCUDAKernelTemplateIN3c104HalfEfLj32ELj8ELj64ELb0ELb0ELb1EEEvllPKT_S7_PKT0_SA_PS5_SB_,"axG",@progbits,_ZN2at6native12_GLOBAL__N_135GammaBetaBackwardCUDAKernelTemplateIN3c104HalfEfLj32ELj8ELj64ELb0ELb0ELb1EEEvllPKT_S7_PKT0_SA_PS5_SB_,comdat
	.globl	_ZN2at6native12_GLOBAL__N_135GammaBetaBackwardCUDAKernelTemplateIN3c104HalfEfLj32ELj8ELj64ELb0ELb0ELb1EEEvllPKT_S7_PKT0_SA_PS5_SB_ ; -- Begin function _ZN2at6native12_GLOBAL__N_135GammaBetaBackwardCUDAKernelTemplateIN3c104HalfEfLj32ELj8ELj64ELb0ELb0ELb1EEEvllPKT_S7_PKT0_SA_PS5_SB_
	.p2align	8
	.type	_ZN2at6native12_GLOBAL__N_135GammaBetaBackwardCUDAKernelTemplateIN3c104HalfEfLj32ELj8ELj64ELb0ELb0ELb1EEEvllPKT_S7_PKT0_SA_PS5_SB_,@function
_ZN2at6native12_GLOBAL__N_135GammaBetaBackwardCUDAKernelTemplateIN3c104HalfEfLj32ELj8ELj64ELb0ELb0ELb1EEEvllPKT_S7_PKT0_SA_PS5_SB_: ; @_ZN2at6native12_GLOBAL__N_135GammaBetaBackwardCUDAKernelTemplateIN3c104HalfEfLj32ELj8ELj64ELb0ELb0ELb1EEEvllPKT_S7_PKT0_SA_PS5_SB_
; %bb.0:
	s_load_dwordx8 s[12:19], s[4:5], 0x0
	s_load_dwordx2 s[10:11], s[4:5], 0x28
	s_lshl_b32 s20, s7, 6
	s_lshl_b32 s33, s6, 5
	s_mov_b32 s21, 0
	v_mov_b32_e32 v2, s20
	s_or_b32 s0, s33, 31
	v_mov_b32_e32 v3, s21
	v_mov_b32_e32 v48, s0
	;; [unrolled: 1-line block ×3, first 2 shown]
	s_waitcnt lgkmcnt(0)
	v_cmp_gt_i64_e64 s[0:1], s[12:13], v[2:3]
	v_cmp_le_i64_e32 vcc, s[14:15], v[48:49]
	v_cndmask_b32_e64 v2, 0, 1, s[0:1]
	v_cmp_ne_u32_e64 s[0:1], 1, v2
	s_cbranch_vccz .LBB180_49
; %bb.1:
	s_and_b64 vcc, exec, s[0:1]
	s_cbranch_vccnz .LBB180_50
; %bb.2:
	v_lshlrev_b32_e32 v21, 3, v1
	v_add_co_u32_e32 v9, vcc, s20, v21
	v_addc_co_u32_e64 v10, s[2:3], 0, 0, vcc
	v_mul_lo_u32 v7, s15, v9
	v_mul_lo_u32 v8, s14, v10
	v_mad_u64_u32 v[5:6], s[2:3], s14, v9, 0
	v_mov_b32_e32 v2, 0
	s_load_dword s7, s[4:5], 0x44
	v_add_u32_e32 v3, s33, v0
	v_mov_b32_e32 v4, v2
	v_add3_u32 v6, v6, v8, v7
	v_cmp_gt_i64_e64 s[2:3], s[14:15], v[3:4]
	v_lshlrev_b64 v[19:20], 1, v[3:4]
	v_lshlrev_b64 v[3:4], 1, v[5:6]
	s_add_u32 s22, s4, 64
	v_mov_b32_e32 v7, s17
	v_add_co_u32_e32 v22, vcc, s16, v3
	s_addc_u32 s23, s5, 0
	s_waitcnt lgkmcnt(0)
	s_lshl_b32 s7, s7, 6
	v_addc_co_u32_e32 v23, vcc, v7, v4, vcc
	s_mul_i32 s8, s15, s7
	s_mul_hi_u32 s9, s14, s7
	v_add_co_u32_e32 v7, vcc, 7, v9
	s_add_i32 s9, s9, s8
	s_mul_i32 s8, s14, s7
	v_addc_co_u32_e32 v8, vcc, 0, v10, vcc
	s_lshl_b64 s[24:25], s[8:9], 1
	v_mul_lo_u32 v12, s15, v7
	v_mul_lo_u32 v13, s14, v8
	v_mad_u64_u32 v[7:8], s[8:9], s14, v7, 0
	v_mov_b32_e32 v11, s19
	v_add_co_u32_e32 v24, vcc, s18, v3
	v_add3_u32 v8, v8, v13, v12
	v_addc_co_u32_e32 v25, vcc, v11, v4, vcc
	v_lshlrev_b64 v[3:4], 1, v[7:8]
	v_mov_b32_e32 v7, s17
	v_add_co_u32_e32 v26, vcc, s16, v3
	v_addc_co_u32_e32 v27, vcc, v7, v4, vcc
	v_add_co_u32_e32 v7, vcc, 6, v9
	v_addc_co_u32_e32 v8, vcc, 0, v10, vcc
	v_mul_lo_u32 v12, s15, v7
	v_mul_lo_u32 v13, s14, v8
	v_mad_u64_u32 v[7:8], s[8:9], s14, v7, 0
	v_add_co_u32_e32 v28, vcc, s18, v3
	v_add3_u32 v8, v8, v13, v12
	v_addc_co_u32_e32 v29, vcc, v11, v4, vcc
	v_lshlrev_b64 v[3:4], 1, v[7:8]
	v_mov_b32_e32 v7, s17
	v_add_co_u32_e32 v30, vcc, s16, v3
	v_addc_co_u32_e32 v31, vcc, v7, v4, vcc
	v_add_co_u32_e32 v7, vcc, 5, v9
	v_addc_co_u32_e32 v8, vcc, 0, v10, vcc
	v_mul_lo_u32 v12, s15, v7
	v_mul_lo_u32 v13, s14, v8
	v_mad_u64_u32 v[7:8], s[8:9], s14, v7, 0
	;; [unrolled: 12-line block ×5, first 2 shown]
	v_add_co_u32_e32 v44, vcc, s18, v3
	v_add3_u32 v8, v8, v10, v9
	v_addc_co_u32_e32 v45, vcc, v11, v4, vcc
	v_lshlrev_b64 v[3:4], 1, v[7:8]
	v_mov_b32_e32 v7, s17
	v_add_co_u32_e32 v46, vcc, s16, v3
	v_addc_co_u32_e32 v47, vcc, v7, v4, vcc
	v_mov_b32_e32 v7, s19
	v_add_co_u32_e32 v48, vcc, s18, v3
	v_addc_co_u32_e32 v50, vcc, v7, v4, vcc
	;; [unrolled: 3-line block ×3, first 2 shown]
	v_lshlrev_b64 v[3:4], 1, v[3:4]
	v_mov_b32_e32 v5, s17
	v_add_co_u32_e32 v51, vcc, s16, v3
	v_addc_co_u32_e32 v52, vcc, v5, v4, vcc
	v_add_co_u32_e32 v53, vcc, s18, v3
	v_mbcnt_lo_u32_b32 v3, -1, 0
	v_mbcnt_hi_u32_b32 v3, -1, v3
	v_mov_b32_e32 v5, s19
	s_add_u32 s26, s20, 63
	v_lshlrev_b32_e32 v3, 2, v3
	v_addc_co_u32_e32 v54, vcc, v5, v4, vcc
	s_addc_u32 s27, 0, 0
	v_and_b32_e32 v55, 0x100, v3
	s_mov_b64 s[28:29], s[20:21]
	v_mov_b32_e32 v56, 0
.LBB180_3:                              ; =>This Inner Loop Header: Depth=1
	v_mov_b32_e32 v3, s12
	v_mov_b32_e32 v4, s13
	v_cmp_ge_i64_e32 vcc, s[26:27], v[3:4]
	v_mov_b32_e32 v3, s27
	v_add_co_u32_e64 v57, s[8:9], s26, v21
	v_addc_co_u32_e64 v58, s[8:9], 0, v3, s[8:9]
	s_mov_b64 s[8:9], -1
	s_and_b64 vcc, exec, vcc
                                        ; implicit-def: $vgpr3_vgpr4_vgpr5_vgpr6_vgpr7_vgpr8_vgpr9_vgpr10
                                        ; implicit-def: $vgpr49
                                        ; implicit-def: $vgpr11_vgpr12_vgpr13_vgpr14_vgpr15_vgpr16_vgpr17_vgpr18
                                        ; implicit-def: $vgpr3
	s_cbranch_vccz .LBB180_25
; %bb.4:                                ;   in Loop: Header=BB180_3 Depth=1
	s_load_dword s8, s[22:23], 0xc
	v_mov_b32_e32 v59, 0
	s_waitcnt lgkmcnt(0)
	s_and_b32 s8, s8, 0xffff
	v_mad_u32_u24 v3, v1, s8, v0
	v_and_b32_e32 v3, 63, v3
	v_cmp_gt_u32_e32 vcc, 8, v3
	s_and_saveexec_b64 s[8:9], vcc
	s_cbranch_execz .LBB180_8
; %bb.5:                                ;   in Loop: Header=BB180_3 Depth=1
	v_add_co_u32_e32 v3, vcc, v57, v3
	v_addc_co_u32_e32 v4, vcc, 0, v58, vcc
	v_add_co_u32_e32 v3, vcc, 0xffffffc1, v3
	v_addc_co_u32_e32 v4, vcc, -1, v4, vcc
	v_cmp_gt_i64_e32 vcc, s[12:13], v[3:4]
	v_mov_b32_e32 v59, 0
	s_and_saveexec_b64 s[30:31], vcc
	s_cbranch_execz .LBB180_7
; %bb.6:                                ;   in Loop: Header=BB180_3 Depth=1
	v_lshlrev_b64 v[3:4], 2, v[3:4]
	v_mov_b32_e32 v5, s11
	v_add_co_u32_e32 v3, vcc, s10, v3
	v_addc_co_u32_e32 v4, vcc, v5, v4, vcc
	global_load_dword v59, v[3:4], off
.LBB180_7:                              ;   in Loop: Header=BB180_3 Depth=1
	s_or_b64 exec, exec, s[30:31]
.LBB180_8:                              ;   in Loop: Header=BB180_3 Depth=1
	s_or_b64 exec, exec, s[8:9]
	v_add_co_u32_e32 v3, vcc, 0xffffffc1, v57
	v_addc_co_u32_e32 v4, vcc, -1, v58, vcc
	v_mov_b32_e32 v9, v2
	v_cmp_gt_i64_e32 vcc, s[12:13], v[3:4]
	v_mov_b32_e32 v3, v2
	v_mov_b32_e32 v4, v2
	;; [unrolled: 1-line block ×15, first 2 shown]
	s_and_b64 s[30:31], s[2:3], vcc
	v_mov_b32_e32 v9, v8
	v_mov_b32_e32 v8, v7
	;; [unrolled: 1-line block ×7, first 2 shown]
	s_and_saveexec_b64 s[8:9], s[30:31]
	s_cbranch_execz .LBB180_10
; %bb.9:                                ;   in Loop: Header=BB180_3 Depth=1
	v_add_co_u32_e32 v3, vcc, v22, v19
	v_addc_co_u32_e32 v4, vcc, v23, v20, vcc
	global_load_ushort v11, v[3:4], off
	v_add_co_u32_e32 v3, vcc, v24, v19
	v_addc_co_u32_e32 v4, vcc, v25, v20, vcc
	global_load_ushort v15, v[3:4], off
	v_mov_b32_e32 v4, v2
	v_mov_b32_e32 v5, v2
	;; [unrolled: 1-line block ×13, first 2 shown]
	s_waitcnt vmcnt(1)
	v_cvt_f32_f16_e32 v3, v11
	s_waitcnt vmcnt(0)
	v_cvt_f32_f16_e32 v11, v15
	v_mov_b32_e32 v15, v2
.LBB180_10:                             ;   in Loop: Header=BB180_3 Depth=1
	s_or_b64 exec, exec, s[8:9]
	v_add_co_u32_e32 v60, vcc, 0xffffffc2, v57
	v_addc_co_u32_e32 v61, vcc, -1, v58, vcc
	v_cmp_gt_i64_e32 vcc, s[12:13], v[60:61]
	s_and_b64 s[30:31], s[2:3], vcc
	s_and_saveexec_b64 s[8:9], s[30:31]
	s_cbranch_execz .LBB180_12
; %bb.11:                               ;   in Loop: Header=BB180_3 Depth=1
	v_add_co_u32_e32 v60, vcc, v51, v19
	v_addc_co_u32_e32 v61, vcc, v52, v20, vcc
	global_load_ushort v4, v[60:61], off
	v_add_co_u32_e32 v60, vcc, v53, v19
	v_addc_co_u32_e32 v61, vcc, v54, v20, vcc
	global_load_ushort v12, v[60:61], off
	s_waitcnt vmcnt(1)
	v_cvt_f32_f16_e32 v4, v4
	s_waitcnt vmcnt(0)
	v_cvt_f32_f16_e32 v12, v12
.LBB180_12:                             ;   in Loop: Header=BB180_3 Depth=1
	s_or_b64 exec, exec, s[8:9]
	v_add_co_u32_e32 v60, vcc, 0xffffffc3, v57
	v_addc_co_u32_e32 v61, vcc, -1, v58, vcc
	v_cmp_gt_i64_e32 vcc, s[12:13], v[60:61]
	s_and_b64 s[30:31], s[2:3], vcc
	s_and_saveexec_b64 s[8:9], s[30:31]
	s_cbranch_execz .LBB180_14
; %bb.13:                               ;   in Loop: Header=BB180_3 Depth=1
	v_add_co_u32_e32 v60, vcc, v46, v19
	v_addc_co_u32_e32 v61, vcc, v47, v20, vcc
	global_load_ushort v5, v[60:61], off
	v_add_co_u32_e32 v60, vcc, v48, v19
	v_addc_co_u32_e32 v61, vcc, v50, v20, vcc
	global_load_ushort v13, v[60:61], off
	s_waitcnt vmcnt(1)
	v_cvt_f32_f16_e32 v5, v5
	s_waitcnt vmcnt(0)
	v_cvt_f32_f16_e32 v13, v13
.LBB180_14:                             ;   in Loop: Header=BB180_3 Depth=1
	;; [unrolled: 19-line block ×7, first 2 shown]
	s_or_b64 exec, exec, s[8:9]
	s_waitcnt vmcnt(0)
	ds_bpermute_b32 v49, v55, v59
	ds_bpermute_b32 v60, v55, v59 offset:4
	v_mul_f32_e32 v3, v11, v3
	ds_bpermute_b32 v11, v55, v59 offset:8
	v_mul_f32_e32 v4, v12, v4
	s_waitcnt lgkmcnt(2)
	v_fma_f32 v49, v3, v49, v56
	s_waitcnt lgkmcnt(1)
	v_fmac_f32_e32 v49, v4, v60
	ds_bpermute_b32 v3, v55, v59 offset:12
	v_mul_f32_e32 v4, v13, v5
	s_waitcnt lgkmcnt(1)
	v_fmac_f32_e32 v49, v4, v11
	ds_bpermute_b32 v4, v55, v59 offset:16
	v_mul_f32_e32 v5, v14, v6
	s_waitcnt lgkmcnt(1)
	v_fmac_f32_e32 v49, v5, v3
	v_mul_f32_e32 v3, v15, v7
	ds_bpermute_b32 v5, v55, v59 offset:20
	s_waitcnt lgkmcnt(1)
	v_fmac_f32_e32 v49, v3, v4
	ds_bpermute_b32 v4, v55, v59 offset:24
	ds_bpermute_b32 v3, v55, v59 offset:28
	v_mul_f32_e32 v6, v16, v8
	s_waitcnt lgkmcnt(2)
	v_fmac_f32_e32 v49, v6, v5
	v_mul_f32_e32 v5, v17, v9
	s_waitcnt lgkmcnt(1)
	v_fmac_f32_e32 v49, v5, v4
	s_mov_b64 s[8:9], 0
.LBB180_25:                             ;   in Loop: Header=BB180_3 Depth=1
	s_and_b64 vcc, exec, s[8:9]
	s_cbranch_vccz .LBB180_40
; %bb.26:                               ;   in Loop: Header=BB180_3 Depth=1
	s_load_dword s8, s[22:23], 0x0
	v_mov_b32_e32 v49, 0
	s_waitcnt lgkmcnt(0)
	s_cmp_lt_u32 s6, s8
	s_cselect_b32 s8, 12, 18
	s_add_u32 s8, s22, s8
	s_addc_u32 s9, s23, 0
	global_load_ushort v3, v2, s[8:9]
	s_waitcnt vmcnt(0)
	v_mad_u32_u24 v3, v1, v3, v0
	v_and_b32_e32 v3, 63, v3
	v_cmp_gt_u32_e32 vcc, 8, v3
	s_and_saveexec_b64 s[8:9], vcc
	s_cbranch_execz .LBB180_30
; %bb.27:                               ;   in Loop: Header=BB180_3 Depth=1
	v_add_co_u32_e32 v3, vcc, v57, v3
	v_addc_co_u32_e32 v4, vcc, 0, v58, vcc
	v_add_co_u32_e32 v3, vcc, 0xffffffc1, v3
	v_addc_co_u32_e32 v4, vcc, -1, v4, vcc
	v_cmp_gt_i64_e32 vcc, s[12:13], v[3:4]
	v_mov_b32_e32 v49, 0
	s_and_saveexec_b64 s[30:31], vcc
	s_cbranch_execz .LBB180_29
; %bb.28:                               ;   in Loop: Header=BB180_3 Depth=1
	v_lshlrev_b64 v[3:4], 2, v[3:4]
	v_mov_b32_e32 v5, s11
	v_add_co_u32_e32 v3, vcc, s10, v3
	v_addc_co_u32_e32 v4, vcc, v5, v4, vcc
	global_load_dword v49, v[3:4], off
.LBB180_29:                             ;   in Loop: Header=BB180_3 Depth=1
	s_or_b64 exec, exec, s[30:31]
.LBB180_30:                             ;   in Loop: Header=BB180_3 Depth=1
	s_or_b64 exec, exec, s[8:9]
	v_mov_b32_e32 v9, v2
	v_mov_b32_e32 v3, v2
	;; [unrolled: 1-line block ×23, first 2 shown]
	s_and_saveexec_b64 s[8:9], s[2:3]
	s_cbranch_execnz .LBB180_42
; %bb.31:                               ;   in Loop: Header=BB180_3 Depth=1
	s_or_b64 exec, exec, s[8:9]
	s_and_saveexec_b64 s[8:9], s[2:3]
	s_cbranch_execnz .LBB180_43
.LBB180_32:                             ;   in Loop: Header=BB180_3 Depth=1
	s_or_b64 exec, exec, s[8:9]
	s_and_saveexec_b64 s[8:9], s[2:3]
	s_cbranch_execnz .LBB180_44
.LBB180_33:                             ;   in Loop: Header=BB180_3 Depth=1
	s_or_b64 exec, exec, s[8:9]
	s_and_saveexec_b64 s[8:9], s[2:3]
	s_cbranch_execnz .LBB180_45
.LBB180_34:                             ;   in Loop: Header=BB180_3 Depth=1
	s_or_b64 exec, exec, s[8:9]
	s_and_saveexec_b64 s[8:9], s[2:3]
	s_cbranch_execnz .LBB180_46
.LBB180_35:                             ;   in Loop: Header=BB180_3 Depth=1
	s_or_b64 exec, exec, s[8:9]
	s_and_saveexec_b64 s[8:9], s[2:3]
	s_cbranch_execnz .LBB180_47
.LBB180_36:                             ;   in Loop: Header=BB180_3 Depth=1
	s_or_b64 exec, exec, s[8:9]
	s_and_saveexec_b64 s[8:9], s[2:3]
	s_cbranch_execnz .LBB180_48
.LBB180_37:                             ;   in Loop: Header=BB180_3 Depth=1
	s_or_b64 exec, exec, s[8:9]
	s_and_saveexec_b64 s[8:9], s[2:3]
	s_cbranch_execz .LBB180_39
.LBB180_38:                             ;   in Loop: Header=BB180_3 Depth=1
	v_add_co_u32_e32 v57, vcc, v26, v19
	v_addc_co_u32_e32 v58, vcc, v27, v20, vcc
	global_load_ushort v10, v[57:58], off
	v_add_co_u32_e32 v57, vcc, v28, v19
	v_addc_co_u32_e32 v58, vcc, v29, v20, vcc
	global_load_ushort v18, v[57:58], off
	s_waitcnt vmcnt(1)
	v_cvt_f32_f16_e32 v10, v10
	s_waitcnt vmcnt(0)
	v_cvt_f32_f16_e32 v18, v18
.LBB180_39:                             ;   in Loop: Header=BB180_3 Depth=1
	s_or_b64 exec, exec, s[8:9]
	s_waitcnt vmcnt(0)
	ds_bpermute_b32 v57, v55, v49
	ds_bpermute_b32 v58, v55, v49 offset:4
	v_mul_f32_e32 v3, v11, v3
	ds_bpermute_b32 v11, v55, v49 offset:8
	v_mul_f32_e32 v4, v12, v4
	s_waitcnt lgkmcnt(2)
	v_fmac_f32_e32 v56, v3, v57
	s_waitcnt lgkmcnt(1)
	v_fmac_f32_e32 v56, v4, v58
	ds_bpermute_b32 v3, v55, v49 offset:12
	v_mul_f32_e32 v4, v13, v5
	s_waitcnt lgkmcnt(1)
	v_fmac_f32_e32 v56, v4, v11
	ds_bpermute_b32 v4, v55, v49 offset:16
	v_mul_f32_e32 v5, v14, v6
	s_waitcnt lgkmcnt(1)
	v_fmac_f32_e32 v56, v5, v3
	v_mul_f32_e32 v3, v15, v7
	ds_bpermute_b32 v5, v55, v49 offset:20
	s_waitcnt lgkmcnt(1)
	v_fmac_f32_e32 v56, v3, v4
	ds_bpermute_b32 v4, v55, v49 offset:24
	ds_bpermute_b32 v3, v55, v49 offset:28
	v_mul_f32_e32 v6, v16, v8
	s_waitcnt lgkmcnt(2)
	v_fmac_f32_e32 v56, v6, v5
	v_mul_f32_e32 v5, v17, v9
	s_waitcnt lgkmcnt(1)
	v_fmac_f32_e32 v56, v5, v4
	v_mov_b32_e32 v49, v56
.LBB180_40:                             ;   in Loop: Header=BB180_3 Depth=1
	v_mul_f32_e32 v4, v10, v18
	s_waitcnt lgkmcnt(0)
	v_fmac_f32_e32 v49, v4, v3
	v_mov_b32_e32 v3, s25
	v_add_co_u32_e32 v22, vcc, s24, v22
	v_addc_co_u32_e32 v23, vcc, v23, v3, vcc
	v_add_co_u32_e32 v24, vcc, s24, v24
	v_addc_co_u32_e32 v25, vcc, v25, v3, vcc
	;; [unrolled: 2-line block ×15, first 2 shown]
	v_add_co_u32_e32 v53, vcc, s24, v53
	s_add_u32 s28, s28, s7
	v_addc_co_u32_e32 v54, vcc, v54, v3, vcc
	v_mov_b32_e32 v3, s12
	s_addc_u32 s29, s29, 0
	v_mov_b32_e32 v4, s13
	v_cmp_lt_i64_e32 vcc, s[28:29], v[3:4]
	s_add_u32 s26, s26, s7
	s_addc_u32 s27, s27, 0
	s_cbranch_vccz .LBB180_50
; %bb.41:                               ;   in Loop: Header=BB180_3 Depth=1
	v_mov_b32_e32 v56, v49
	s_branch .LBB180_3
.LBB180_42:                             ;   in Loop: Header=BB180_3 Depth=1
	v_add_co_u32_e32 v3, vcc, v22, v19
	v_addc_co_u32_e32 v4, vcc, v23, v20, vcc
	global_load_ushort v11, v[3:4], off
	v_add_co_u32_e32 v3, vcc, v24, v19
	v_addc_co_u32_e32 v4, vcc, v25, v20, vcc
	global_load_ushort v15, v[3:4], off
	v_mov_b32_e32 v4, v2
	v_mov_b32_e32 v5, v2
	;; [unrolled: 1-line block ×13, first 2 shown]
	s_waitcnt vmcnt(1)
	v_cvt_f32_f16_e32 v3, v11
	s_waitcnt vmcnt(0)
	v_cvt_f32_f16_e32 v11, v15
	v_mov_b32_e32 v15, v2
	s_or_b64 exec, exec, s[8:9]
	s_and_saveexec_b64 s[8:9], s[2:3]
	s_cbranch_execz .LBB180_32
.LBB180_43:                             ;   in Loop: Header=BB180_3 Depth=1
	v_add_co_u32_e32 v57, vcc, v51, v19
	v_addc_co_u32_e32 v58, vcc, v52, v20, vcc
	global_load_ushort v4, v[57:58], off
	v_add_co_u32_e32 v57, vcc, v53, v19
	v_addc_co_u32_e32 v58, vcc, v54, v20, vcc
	global_load_ushort v12, v[57:58], off
	s_waitcnt vmcnt(1)
	v_cvt_f32_f16_e32 v4, v4
	s_waitcnt vmcnt(0)
	v_cvt_f32_f16_e32 v12, v12
	s_or_b64 exec, exec, s[8:9]
	s_and_saveexec_b64 s[8:9], s[2:3]
	s_cbranch_execz .LBB180_33
.LBB180_44:                             ;   in Loop: Header=BB180_3 Depth=1
	v_add_co_u32_e32 v57, vcc, v46, v19
	v_addc_co_u32_e32 v58, vcc, v47, v20, vcc
	global_load_ushort v5, v[57:58], off
	v_add_co_u32_e32 v57, vcc, v48, v19
	v_addc_co_u32_e32 v58, vcc, v50, v20, vcc
	global_load_ushort v13, v[57:58], off
	s_waitcnt vmcnt(1)
	v_cvt_f32_f16_e32 v5, v5
	s_waitcnt vmcnt(0)
	v_cvt_f32_f16_e32 v13, v13
	s_or_b64 exec, exec, s[8:9]
	s_and_saveexec_b64 s[8:9], s[2:3]
	s_cbranch_execz .LBB180_34
.LBB180_45:                             ;   in Loop: Header=BB180_3 Depth=1
	v_add_co_u32_e32 v57, vcc, v42, v19
	v_addc_co_u32_e32 v58, vcc, v43, v20, vcc
	global_load_ushort v6, v[57:58], off
	v_add_co_u32_e32 v57, vcc, v44, v19
	v_addc_co_u32_e32 v58, vcc, v45, v20, vcc
	global_load_ushort v14, v[57:58], off
	s_waitcnt vmcnt(1)
	v_cvt_f32_f16_e32 v6, v6
	s_waitcnt vmcnt(0)
	v_cvt_f32_f16_e32 v14, v14
	s_or_b64 exec, exec, s[8:9]
	s_and_saveexec_b64 s[8:9], s[2:3]
	s_cbranch_execz .LBB180_35
.LBB180_46:                             ;   in Loop: Header=BB180_3 Depth=1
	v_add_co_u32_e32 v57, vcc, v38, v19
	v_addc_co_u32_e32 v58, vcc, v39, v20, vcc
	global_load_ushort v7, v[57:58], off
	v_add_co_u32_e32 v57, vcc, v40, v19
	v_addc_co_u32_e32 v58, vcc, v41, v20, vcc
	global_load_ushort v15, v[57:58], off
	s_waitcnt vmcnt(1)
	v_cvt_f32_f16_e32 v7, v7
	s_waitcnt vmcnt(0)
	v_cvt_f32_f16_e32 v15, v15
	s_or_b64 exec, exec, s[8:9]
	s_and_saveexec_b64 s[8:9], s[2:3]
	s_cbranch_execz .LBB180_36
.LBB180_47:                             ;   in Loop: Header=BB180_3 Depth=1
	v_add_co_u32_e32 v57, vcc, v34, v19
	v_addc_co_u32_e32 v58, vcc, v35, v20, vcc
	global_load_ushort v8, v[57:58], off
	v_add_co_u32_e32 v57, vcc, v36, v19
	v_addc_co_u32_e32 v58, vcc, v37, v20, vcc
	global_load_ushort v16, v[57:58], off
	s_waitcnt vmcnt(1)
	v_cvt_f32_f16_e32 v8, v8
	s_waitcnt vmcnt(0)
	v_cvt_f32_f16_e32 v16, v16
	s_or_b64 exec, exec, s[8:9]
	s_and_saveexec_b64 s[8:9], s[2:3]
	s_cbranch_execz .LBB180_37
.LBB180_48:                             ;   in Loop: Header=BB180_3 Depth=1
	v_add_co_u32_e32 v57, vcc, v30, v19
	v_addc_co_u32_e32 v58, vcc, v31, v20, vcc
	global_load_ushort v9, v[57:58], off
	v_add_co_u32_e32 v57, vcc, v32, v19
	v_addc_co_u32_e32 v58, vcc, v33, v20, vcc
	global_load_ushort v17, v[57:58], off
	s_waitcnt vmcnt(1)
	v_cvt_f32_f16_e32 v9, v9
	s_waitcnt vmcnt(0)
	v_cvt_f32_f16_e32 v17, v17
	s_or_b64 exec, exec, s[8:9]
	s_and_saveexec_b64 s[8:9], s[2:3]
	s_cbranch_execnz .LBB180_38
	s_branch .LBB180_39
.LBB180_49:
                                        ; implicit-def: $vgpr49
	s_branch .LBB180_51
.LBB180_50:
	s_cbranch_execnz .LBB180_83
.LBB180_51:
	s_and_b64 vcc, exec, s[0:1]
	v_mov_b32_e32 v49, 0
	s_cbranch_vccnz .LBB180_83
; %bb.52:
	v_lshlrev_b32_e32 v50, 3, v1
	v_add_co_u32_e32 v8, vcc, s20, v50
	v_addc_co_u32_e64 v9, s[0:1], 0, 0, vcc
	s_load_dword s7, s[4:5], 0x44
	v_mul_lo_u32 v4, s15, v8
	v_mul_lo_u32 v5, s14, v9
	v_mad_u64_u32 v[2:3], s[0:1], s14, v8, 0
	s_add_u32 s2, s4, 64
	s_addc_u32 s3, s5, 0
	v_add3_u32 v3, v3, v5, v4
	s_waitcnt lgkmcnt(0)
	s_lshl_b32 s7, s7, 6
	v_lshlrev_b64 v[4:5], 1, v[2:3]
	s_mul_i32 s0, s15, s7
	s_mul_hi_u32 s1, s14, s7
	v_mov_b32_e32 v6, s17
	v_add_co_u32_e32 v51, vcc, s16, v4
	s_add_i32 s1, s1, s0
	s_mul_i32 s0, s14, s7
	v_addc_co_u32_e32 v52, vcc, v6, v5, vcc
	s_lshl_b64 s[8:9], s[0:1], 1
	v_mov_b32_e32 v6, s19
	v_add_co_u32_e32 v53, vcc, s18, v4
	s_add_u32 s22, s20, 63
	v_addc_co_u32_e32 v54, vcc, v6, v5, vcc
	s_addc_u32 s23, 0, 0
	v_lshlrev_b32_e32 v4, 4, v1
	s_lshl_b64 s[0:1], s[20:21], 1
	v_mov_b32_e32 v5, s1
	v_add_co_u32_e32 v10, vcc, s0, v4
	v_addc_co_u32_e32 v11, vcc, 0, v5, vcc
	v_add_co_u32_e32 v12, vcc, 2, v10
	v_addc_co_u32_e32 v6, vcc, 0, v11, vcc
	v_mov_b32_e32 v4, s16
	v_mul_lo_u32 v14, s14, v6
	v_mov_b32_e32 v6, s18
	v_mov_b32_e32 v5, s17
	;; [unrolled: 1-line block ×3, first 2 shown]
	v_mad_u64_u32 v[19:20], s[0:1], s14, v12, v[4:5]
	v_mul_lo_u32 v15, s15, v12
	v_mad_u64_u32 v[21:22], s[0:1], s14, v12, v[6:7]
	v_add_co_u32_e32 v12, vcc, 4, v10
	v_addc_co_u32_e32 v16, vcc, 0, v11, vcc
	v_mov_b32_e32 v13, s15
	v_add_co_u32_e32 v2, vcc, s14, v2
	v_addc_co_u32_e32 v3, vcc, v3, v13, vcc
	v_mul_lo_u32 v17, s15, v12
	v_mad_u64_u32 v[23:24], s[0:1], s14, v12, v[4:5]
	v_mad_u64_u32 v[25:26], s[0:1], s14, v12, v[6:7]
	v_add_co_u32_e32 v12, vcc, 6, v10
	v_addc_co_u32_e32 v13, vcc, 0, v11, vcc
	v_add3_u32 v20, v15, v20, v14
	v_add3_u32 v22, v15, v22, v14
	v_mul_lo_u32 v13, s14, v13
	v_mul_lo_u32 v14, s15, v12
	v_mad_u64_u32 v[27:28], s[0:1], s14, v12, v[4:5]
	v_mad_u64_u32 v[29:30], s[0:1], s14, v12, v[6:7]
	v_add_co_u32_e32 v12, vcc, 8, v10
	v_mul_lo_u32 v16, s14, v16
	v_addc_co_u32_e32 v15, vcc, 0, v11, vcc
	v_mul_lo_u32 v18, s15, v12
	v_mad_u64_u32 v[31:32], s[0:1], s14, v12, v[4:5]
	v_mad_u64_u32 v[33:34], s[0:1], s14, v12, v[6:7]
	v_add_co_u32_e32 v12, vcc, 10, v10
	v_add3_u32 v28, v14, v28, v13
	v_add3_u32 v30, v14, v30, v13
	v_addc_co_u32_e32 v13, vcc, 0, v11, vcc
	v_mul_lo_u32 v14, s15, v12
	v_mad_u64_u32 v[35:36], s[0:1], s14, v12, v[4:5]
	v_mad_u64_u32 v[37:38], s[0:1], s14, v12, v[6:7]
	v_add_co_u32_e32 v12, vcc, 12, v10
	v_add3_u32 v24, v17, v24, v16
	v_add3_u32 v26, v17, v26, v16
	v_addc_co_u32_e32 v16, vcc, 0, v11, vcc
	v_add_co_u32_e32 v10, vcc, 14, v10
	v_addc_co_u32_e32 v11, vcc, 0, v11, vcc
	v_mad_u64_u32 v[39:40], s[0:1], s14, v12, v[4:5]
	v_mad_u64_u32 v[43:44], s[0:1], s14, v10, v[4:5]
	v_add_co_u32_e32 v4, vcc, 7, v8
	v_addc_co_u32_e32 v5, vcc, 0, v9, vcc
	v_mad_u64_u32 v[41:42], s[0:1], s14, v12, v[6:7]
	v_mad_u64_u32 v[45:46], s[0:1], s14, v10, v[6:7]
	v_mul_lo_u32 v6, s15, v10
	v_mul_lo_u32 v7, s14, v5
	;; [unrolled: 1-line block ×3, first 2 shown]
	v_mad_u64_u32 v[4:5], s[0:1], s14, v4, 0
	v_mul_lo_u32 v11, s14, v11
	v_mul_lo_u32 v17, s15, v12
	v_add3_u32 v5, v5, v7, v10
	v_lshlrev_b64 v[4:5], 1, v[4:5]
	v_add3_u32 v44, v6, v44, v11
	v_add3_u32 v46, v6, v46, v11
	v_mov_b32_e32 v6, s17
	v_add_co_u32_e32 v55, vcc, s16, v4
	v_addc_co_u32_e32 v56, vcc, v6, v5, vcc
	v_add_co_u32_e32 v6, vcc, 6, v8
	v_addc_co_u32_e32 v7, vcc, 0, v9, vcc
	v_mul_lo_u32 v11, s14, v7
	v_mul_lo_u32 v12, s15, v6
	v_mad_u64_u32 v[6:7], s[0:1], s14, v6, 0
	v_mov_b32_e32 v10, s19
	v_add_co_u32_e32 v57, vcc, s18, v4
	v_add3_u32 v7, v7, v11, v12
	v_addc_co_u32_e32 v58, vcc, v10, v5, vcc
	v_lshlrev_b64 v[4:5], 1, v[6:7]
	v_mov_b32_e32 v6, s17
	v_add_co_u32_e32 v59, vcc, s16, v4
	v_addc_co_u32_e32 v60, vcc, v6, v5, vcc
	v_add_co_u32_e32 v6, vcc, 5, v8
	v_addc_co_u32_e32 v7, vcc, 0, v9, vcc
	v_mul_lo_u32 v11, s14, v7
	v_mul_lo_u32 v12, s15, v6
	v_mad_u64_u32 v[6:7], s[0:1], s14, v6, 0
	v_add_co_u32_e32 v61, vcc, s18, v4
	v_add3_u32 v7, v7, v11, v12
	v_addc_co_u32_e32 v62, vcc, v10, v5, vcc
	v_lshlrev_b64 v[4:5], 1, v[6:7]
	v_mov_b32_e32 v6, s17
	v_add_co_u32_e32 v63, vcc, s16, v4
	v_addc_co_u32_e32 v64, vcc, v6, v5, vcc
	v_add_co_u32_e32 v6, vcc, 4, v8
	v_addc_co_u32_e32 v7, vcc, 0, v9, vcc
	v_mul_lo_u32 v11, s14, v7
	v_mul_lo_u32 v12, s15, v6
	v_mad_u64_u32 v[6:7], s[0:1], s14, v6, 0
	;; [unrolled: 12-line block ×4, first 2 shown]
	v_add_co_u32_e32 v73, vcc, s18, v4
	v_add3_u32 v7, v7, v8, v9
	v_addc_co_u32_e32 v74, vcc, v10, v5, vcc
	v_lshlrev_b64 v[4:5], 1, v[6:7]
	v_mov_b32_e32 v6, s17
	v_add_co_u32_e32 v75, vcc, s16, v4
	v_addc_co_u32_e32 v76, vcc, v6, v5, vcc
	v_mov_b32_e32 v6, s19
	v_add_co_u32_e32 v77, vcc, s18, v4
	v_lshlrev_b64 v[2:3], 1, v[2:3]
	v_addc_co_u32_e32 v78, vcc, v6, v5, vcc
	v_mov_b32_e32 v4, s17
	v_add_co_u32_e32 v79, vcc, s16, v2
	v_addc_co_u32_e32 v80, vcc, v4, v3, vcc
	v_mov_b32_e32 v4, s19
	v_add_co_u32_e32 v81, vcc, s18, v2
	v_mov_b32_e32 v2, 0
	v_mul_lo_u32 v15, s14, v15
	v_mul_lo_u32 v13, s14, v13
	;; [unrolled: 1-line block ×3, first 2 shown]
	v_addc_co_u32_e32 v82, vcc, v4, v3, vcc
	v_add_u32_e32 v3, s33, v0
	v_mov_b32_e32 v4, v2
	v_lshlrev_b64 v[47:48], 1, v[3:4]
	v_mbcnt_lo_u32_b32 v3, -1, 0
	v_mbcnt_hi_u32_b32 v3, -1, v3
	v_lshlrev_b32_e32 v3, 2, v3
	v_add3_u32 v32, v18, v32, v15
	v_add3_u32 v34, v18, v34, v15
	v_add3_u32 v36, v14, v36, v13
	v_add3_u32 v38, v14, v38, v13
	v_add3_u32 v40, v17, v40, v16
	v_add3_u32 v42, v17, v42, v16
	v_and_b32_e32 v83, 0x100, v3
	v_mov_b32_e32 v84, 0
.LBB180_53:                             ; =>This Inner Loop Header: Depth=1
	v_mov_b32_e32 v3, s12
	v_mov_b32_e32 v4, s13
	v_cmp_ge_i64_e32 vcc, s[22:23], v[3:4]
	v_mov_b32_e32 v3, s23
	v_add_co_u32_e64 v85, s[0:1], s22, v50
	v_addc_co_u32_e64 v86, s[0:1], 0, v3, s[0:1]
	s_mov_b64 s[0:1], -1
                                        ; implicit-def: $vgpr49
	s_cbranch_vccz .LBB180_75
; %bb.54:                               ;   in Loop: Header=BB180_53 Depth=1
	s_load_dword s0, s[2:3], 0xc
	v_mov_b32_e32 v87, 0
	s_waitcnt lgkmcnt(0)
	s_and_b32 s0, s0, 0xffff
	v_mad_u32_u24 v3, v1, s0, v0
	v_and_b32_e32 v3, 63, v3
	v_cmp_gt_u32_e32 vcc, 8, v3
	s_and_saveexec_b64 s[0:1], vcc
	s_cbranch_execz .LBB180_58
; %bb.55:                               ;   in Loop: Header=BB180_53 Depth=1
	v_add_co_u32_e32 v3, vcc, v85, v3
	v_addc_co_u32_e32 v4, vcc, 0, v86, vcc
	v_add_co_u32_e32 v3, vcc, 0xffffffc1, v3
	v_addc_co_u32_e32 v4, vcc, -1, v4, vcc
	v_cmp_gt_i64_e32 vcc, s[12:13], v[3:4]
	v_mov_b32_e32 v87, 0
	s_and_saveexec_b64 s[16:17], vcc
	s_cbranch_execz .LBB180_57
; %bb.56:                               ;   in Loop: Header=BB180_53 Depth=1
	v_lshlrev_b64 v[3:4], 2, v[3:4]
	v_mov_b32_e32 v5, s11
	v_add_co_u32_e32 v3, vcc, s10, v3
	v_addc_co_u32_e32 v4, vcc, v5, v4, vcc
	global_load_dword v87, v[3:4], off
.LBB180_57:                             ;   in Loop: Header=BB180_53 Depth=1
	s_or_b64 exec, exec, s[16:17]
.LBB180_58:                             ;   in Loop: Header=BB180_53 Depth=1
	s_or_b64 exec, exec, s[0:1]
	v_add_co_u32_e32 v3, vcc, 0xffffffc1, v85
	v_addc_co_u32_e32 v4, vcc, -1, v86, vcc
	v_mov_b32_e32 v9, v2
	v_cmp_gt_i64_e32 vcc, s[12:13], v[3:4]
	v_mov_b32_e32 v3, v2
	v_mov_b32_e32 v4, v2
	;; [unrolled: 1-line block ×22, first 2 shown]
	s_and_saveexec_b64 s[0:1], vcc
	s_cbranch_execz .LBB180_60
; %bb.59:                               ;   in Loop: Header=BB180_53 Depth=1
	v_add_co_u32_e32 v3, vcc, v51, v47
	v_addc_co_u32_e32 v4, vcc, v52, v48, vcc
	global_load_ushort v11, v[3:4], off
	v_add_co_u32_e32 v3, vcc, v53, v47
	v_addc_co_u32_e32 v4, vcc, v54, v48, vcc
	global_load_ushort v15, v[3:4], off
	v_mov_b32_e32 v4, v2
	v_mov_b32_e32 v5, v2
	;; [unrolled: 1-line block ×13, first 2 shown]
	s_waitcnt vmcnt(1)
	v_cvt_f32_f16_e32 v3, v11
	s_waitcnt vmcnt(0)
	v_cvt_f32_f16_e32 v11, v15
	v_mov_b32_e32 v15, v2
.LBB180_60:                             ;   in Loop: Header=BB180_53 Depth=1
	s_or_b64 exec, exec, s[0:1]
	v_add_co_u32_e32 v88, vcc, 0xffffffc2, v85
	v_addc_co_u32_e32 v89, vcc, -1, v86, vcc
	v_cmp_gt_i64_e32 vcc, s[12:13], v[88:89]
	s_and_saveexec_b64 s[0:1], vcc
	s_cbranch_execz .LBB180_62
; %bb.61:                               ;   in Loop: Header=BB180_53 Depth=1
	v_add_co_u32_e32 v88, vcc, v79, v47
	v_addc_co_u32_e32 v89, vcc, v80, v48, vcc
	global_load_ushort v4, v[88:89], off
	v_add_co_u32_e32 v88, vcc, v81, v47
	v_addc_co_u32_e32 v89, vcc, v82, v48, vcc
	global_load_ushort v12, v[88:89], off
	s_waitcnt vmcnt(1)
	v_cvt_f32_f16_e32 v4, v4
	s_waitcnt vmcnt(0)
	v_cvt_f32_f16_e32 v12, v12
.LBB180_62:                             ;   in Loop: Header=BB180_53 Depth=1
	s_or_b64 exec, exec, s[0:1]
	v_add_co_u32_e32 v88, vcc, 0xffffffc3, v85
	v_addc_co_u32_e32 v89, vcc, -1, v86, vcc
	v_cmp_gt_i64_e32 vcc, s[12:13], v[88:89]
	s_and_saveexec_b64 s[0:1], vcc
	s_cbranch_execz .LBB180_64
; %bb.63:                               ;   in Loop: Header=BB180_53 Depth=1
	v_add_co_u32_e32 v88, vcc, v75, v47
	v_addc_co_u32_e32 v89, vcc, v76, v48, vcc
	global_load_ushort v5, v[88:89], off
	v_add_co_u32_e32 v88, vcc, v77, v47
	v_addc_co_u32_e32 v89, vcc, v78, v48, vcc
	global_load_ushort v13, v[88:89], off
	s_waitcnt vmcnt(1)
	v_cvt_f32_f16_e32 v5, v5
	s_waitcnt vmcnt(0)
	v_cvt_f32_f16_e32 v13, v13
.LBB180_64:                             ;   in Loop: Header=BB180_53 Depth=1
	;; [unrolled: 18-line block ×7, first 2 shown]
	s_or_b64 exec, exec, s[0:1]
	s_waitcnt vmcnt(0)
	ds_bpermute_b32 v49, v83, v87
	ds_bpermute_b32 v88, v83, v87 offset:4
	v_mul_f32_e32 v3, v11, v3
	ds_bpermute_b32 v11, v83, v87 offset:8
	v_mul_f32_e32 v4, v12, v4
	s_waitcnt lgkmcnt(2)
	v_fma_f32 v49, v3, v49, v84
	s_waitcnt lgkmcnt(1)
	v_fmac_f32_e32 v49, v4, v88
	ds_bpermute_b32 v3, v83, v87 offset:12
	v_mul_f32_e32 v4, v13, v5
	s_waitcnt lgkmcnt(1)
	v_fmac_f32_e32 v49, v4, v11
	ds_bpermute_b32 v4, v83, v87 offset:16
	v_mul_f32_e32 v5, v14, v6
	s_waitcnt lgkmcnt(1)
	v_fmac_f32_e32 v49, v5, v3
	v_mul_f32_e32 v3, v15, v7
	ds_bpermute_b32 v5, v83, v87 offset:20
	s_waitcnt lgkmcnt(1)
	v_fmac_f32_e32 v49, v3, v4
	ds_bpermute_b32 v3, v83, v87 offset:24
	ds_bpermute_b32 v6, v83, v87 offset:28
	v_mul_f32_e32 v4, v16, v8
	s_waitcnt lgkmcnt(2)
	v_fmac_f32_e32 v49, v4, v5
	v_mul_f32_e32 v4, v17, v9
	s_waitcnt lgkmcnt(1)
	v_fmac_f32_e32 v49, v4, v3
	;; [unrolled: 3-line block ×3, first 2 shown]
	s_mov_b64 s[0:1], 0
.LBB180_75:                             ;   in Loop: Header=BB180_53 Depth=1
	s_and_b64 vcc, exec, s[0:1]
	s_cbranch_vccz .LBB180_81
; %bb.76:                               ;   in Loop: Header=BB180_53 Depth=1
	s_load_dword s0, s[2:3], 0x0
	v_mov_b32_e32 v5, 0
	s_waitcnt lgkmcnt(0)
	s_cmp_lt_u32 s6, s0
	s_cselect_b32 s0, 12, 18
	s_add_u32 s0, s2, s0
	s_addc_u32 s1, s3, 0
	global_load_ushort v3, v2, s[0:1]
	s_waitcnt vmcnt(0)
	v_mad_u32_u24 v3, v1, v3, v0
	v_and_b32_e32 v3, 63, v3
	v_cmp_gt_u32_e32 vcc, 8, v3
	s_and_saveexec_b64 s[0:1], vcc
	s_cbranch_execz .LBB180_80
; %bb.77:                               ;   in Loop: Header=BB180_53 Depth=1
	v_add_co_u32_e32 v3, vcc, v85, v3
	v_addc_co_u32_e32 v4, vcc, 0, v86, vcc
	v_add_co_u32_e32 v3, vcc, 0xffffffc1, v3
	v_addc_co_u32_e32 v4, vcc, -1, v4, vcc
	v_cmp_gt_i64_e32 vcc, s[12:13], v[3:4]
	v_mov_b32_e32 v5, 0
	s_and_saveexec_b64 s[16:17], vcc
	s_cbranch_execz .LBB180_79
; %bb.78:                               ;   in Loop: Header=BB180_53 Depth=1
	v_lshlrev_b64 v[3:4], 2, v[3:4]
	v_mov_b32_e32 v5, s11
	v_add_co_u32_e32 v3, vcc, s10, v3
	v_addc_co_u32_e32 v4, vcc, v5, v4, vcc
	global_load_dword v5, v[3:4], off
.LBB180_79:                             ;   in Loop: Header=BB180_53 Depth=1
	s_or_b64 exec, exec, s[16:17]
.LBB180_80:                             ;   in Loop: Header=BB180_53 Depth=1
	s_or_b64 exec, exec, s[0:1]
	v_add_co_u32_e32 v3, vcc, v51, v47
	v_addc_co_u32_e32 v4, vcc, v52, v48, vcc
	global_load_ushort v6, v[3:4], off
	v_add_co_u32_e32 v3, vcc, v53, v47
	v_addc_co_u32_e32 v4, vcc, v54, v48, vcc
	global_load_ushort v7, v[3:4], off
	v_add_co_u32_e32 v3, vcc, v19, v47
	v_addc_co_u32_e32 v4, vcc, v20, v48, vcc
	global_load_ushort v8, v[3:4], off
	v_add_co_u32_e32 v3, vcc, v21, v47
	v_addc_co_u32_e32 v4, vcc, v22, v48, vcc
	global_load_ushort v9, v[3:4], off
	v_add_co_u32_e32 v3, vcc, v23, v47
	v_addc_co_u32_e32 v4, vcc, v24, v48, vcc
	global_load_ushort v10, v[3:4], off
	v_add_co_u32_e32 v3, vcc, v25, v47
	v_addc_co_u32_e32 v4, vcc, v26, v48, vcc
	global_load_ushort v11, v[3:4], off
	v_add_co_u32_e32 v3, vcc, v27, v47
	v_addc_co_u32_e32 v4, vcc, v28, v48, vcc
	global_load_ushort v12, v[3:4], off
	v_add_co_u32_e32 v3, vcc, v29, v47
	v_addc_co_u32_e32 v4, vcc, v30, v48, vcc
	global_load_ushort v13, v[3:4], off
	v_add_co_u32_e32 v3, vcc, v31, v47
	v_addc_co_u32_e32 v4, vcc, v32, v48, vcc
	global_load_ushort v14, v[3:4], off
	v_add_co_u32_e32 v3, vcc, v33, v47
	v_addc_co_u32_e32 v4, vcc, v34, v48, vcc
	global_load_ushort v15, v[3:4], off
	v_add_co_u32_e32 v3, vcc, v35, v47
	v_addc_co_u32_e32 v4, vcc, v36, v48, vcc
	global_load_ushort v16, v[3:4], off
	v_add_co_u32_e32 v3, vcc, v37, v47
	v_addc_co_u32_e32 v4, vcc, v38, v48, vcc
	global_load_ushort v17, v[3:4], off
	v_add_co_u32_e32 v3, vcc, v39, v47
	v_addc_co_u32_e32 v4, vcc, v40, v48, vcc
	global_load_ushort v18, v[3:4], off
	v_add_co_u32_e32 v3, vcc, v41, v47
	v_addc_co_u32_e32 v4, vcc, v42, v48, vcc
	global_load_ushort v49, v[3:4], off
	v_add_co_u32_e32 v3, vcc, v43, v47
	v_addc_co_u32_e32 v4, vcc, v44, v48, vcc
	global_load_ushort v85, v[3:4], off
	v_add_co_u32_e32 v3, vcc, v45, v47
	v_addc_co_u32_e32 v4, vcc, v46, v48, vcc
	global_load_ushort v3, v[3:4], off
	s_waitcnt vmcnt(16)
	ds_bpermute_b32 v86, v83, v5 offset:4
	s_waitcnt vmcnt(15)
	v_cvt_f32_f16_e32 v4, v6
	s_waitcnt vmcnt(14)
	v_cvt_f32_f16_e32 v6, v7
	v_mul_f32_e32 v4, v4, v6
	s_waitcnt vmcnt(13)
	v_cvt_f32_f16_e32 v7, v8
	s_waitcnt vmcnt(12)
	v_cvt_f32_f16_e32 v8, v9
	v_mul_f32_e32 v6, v7, v8
	;; [unrolled: 5-line block ×3, first 2 shown]
	s_waitcnt vmcnt(9)
	v_cvt_f32_f16_e32 v11, v12
	s_waitcnt vmcnt(8)
	v_cvt_f32_f16_e32 v12, v13
	;; [unrolled: 2-line block ×8, first 2 shown]
	ds_bpermute_b32 v49, v83, v5
	s_waitcnt vmcnt(1)
	v_cvt_f32_f16_e32 v85, v85
	s_waitcnt lgkmcnt(0)
	v_fmac_f32_e32 v84, v4, v49
	ds_bpermute_b32 v4, v83, v5 offset:8
	v_fmac_f32_e32 v84, v6, v86
	ds_bpermute_b32 v6, v83, v5 offset:12
	s_waitcnt vmcnt(0)
	v_cvt_f32_f16_e32 v3, v3
	s_waitcnt lgkmcnt(1)
	v_fmac_f32_e32 v84, v7, v4
	ds_bpermute_b32 v4, v83, v5 offset:16
	v_mul_f32_e32 v7, v11, v12
	s_waitcnt lgkmcnt(1)
	v_fmac_f32_e32 v84, v7, v6
	v_mul_f32_e32 v6, v13, v14
	ds_bpermute_b32 v7, v83, v5 offset:20
	s_waitcnt lgkmcnt(1)
	v_fmac_f32_e32 v84, v6, v4
	ds_bpermute_b32 v4, v83, v5 offset:24
	ds_bpermute_b32 v5, v83, v5 offset:28
	v_mul_f32_e32 v6, v15, v16
	s_waitcnt lgkmcnt(2)
	v_fmac_f32_e32 v84, v6, v7
	v_mul_f32_e32 v6, v17, v18
	s_waitcnt lgkmcnt(1)
	v_fmac_f32_e32 v84, v6, v4
	;; [unrolled: 3-line block ×3, first 2 shown]
	v_mov_b32_e32 v49, v84
.LBB180_81:                             ;   in Loop: Header=BB180_53 Depth=1
	v_mov_b32_e32 v5, s9
	v_add_co_u32_e32 v51, vcc, s8, v51
	v_addc_co_u32_e32 v52, vcc, v52, v5, vcc
	v_add_co_u32_e32 v53, vcc, s8, v53
	v_addc_co_u32_e32 v54, vcc, v54, v5, vcc
	;; [unrolled: 2-line block ×28, first 2 shown]
	s_add_u32 s20, s20, s7
	v_add_co_u32_e32 v79, vcc, s8, v79
	v_mov_b32_e32 v3, s12
	s_addc_u32 s21, s21, 0
	v_addc_co_u32_e32 v80, vcc, v80, v5, vcc
	v_mov_b32_e32 v4, s13
	v_cmp_ge_i64_e32 vcc, s[20:21], v[3:4]
	s_add_u32 s22, s22, s7
	v_add_co_u32_e64 v81, s[0:1], s8, v81
	s_addc_u32 s23, s23, 0
	v_addc_co_u32_e64 v82, s[0:1], v82, v5, s[0:1]
	s_cbranch_vccnz .LBB180_83
; %bb.82:                               ;   in Loop: Header=BB180_53 Depth=1
	v_mov_b32_e32 v84, v49
	s_branch .LBB180_53
.LBB180_83:
	v_mad_u32_u24 v2, v1, 33, v0
	v_lshl_add_u32 v3, v2, 2, 0
	v_mov_b32_e32 v4, 0
	ds_write_b32 v3, v4 offset:1056
	v_sub_u32_e32 v4, v2, v1
	s_movk_i32 s0, 0x800
	v_cmp_gt_u32_e32 vcc, s0, v4
	ds_write_b32 v3, v49
	s_waitcnt lgkmcnt(0)
	s_barrier
	s_and_saveexec_b64 s[0:1], vcc
	s_cbranch_execz .LBB180_123
; %bb.84:
	s_load_dwordx2 s[4:5], s[4:5], 0x30
	v_and_b32_e32 v1, 63, v4
	v_lshrrev_b32_e32 v2, 6, v4
	v_cmp_gt_u32_e32 vcc, 8, v1
	v_mul_u32_u24_e32 v3, 33, v1
                                        ; implicit-def: $vgpr1
	s_and_saveexec_b64 s[0:1], vcc
; %bb.85:
	v_lshlrev_b32_e32 v1, 2, v2
	v_lshlrev_b32_e32 v5, 2, v3
	v_add3_u32 v1, 0, v1, v5
	ds_read_b32 v1, v1
; %bb.86:
	s_or_b64 exec, exec, s[0:1]
	v_mbcnt_lo_u32_b32 v5, -1, 0
	v_mbcnt_hi_u32_b32 v7, -1, v5
	v_and_b32_e32 v5, 64, v7
	v_add_u32_e32 v8, 64, v5
	v_xor_b32_e32 v5, 4, v7
	v_cmp_lt_i32_e64 s[0:1], v5, v8
	v_cndmask_b32_e64 v5, v7, v5, s[0:1]
	v_lshlrev_b32_e32 v5, 2, v5
	s_waitcnt lgkmcnt(0)
	ds_bpermute_b32 v6, v5, v1
	v_xor_b32_e32 v9, 2, v7
	v_cmp_lt_i32_e64 s[0:1], v9, v8
	s_mov_b32 s7, 0
	s_lshl_b64 s[6:7], s[6:7], 5
	s_waitcnt lgkmcnt(0)
	v_add_f32_e32 v1, v1, v6
	v_cndmask_b32_e64 v6, v7, v9, s[0:1]
	v_lshlrev_b32_e32 v6, 2, v6
	ds_bpermute_b32 v9, v6, v1
	v_cmp_ne_u32_e64 s[0:1], 0, v0
	v_xor_b32_e32 v0, 1, v7
	v_cmp_lt_i32_e64 s[2:3], v0, v8
	v_cndmask_b32_e64 v0, v7, v0, s[2:3]
	s_waitcnt lgkmcnt(0)
	v_add_f32_e32 v9, v1, v9
	v_lshlrev_b32_e32 v7, 2, v0
	ds_bpermute_b32 v8, v7, v9
	v_or_b32_e32 v0, s6, v2
	v_mov_b32_e32 v1, s7
	v_cmp_le_i64_e64 s[2:3], s[14:15], v[0:1]
	s_cmp_eq_u64 s[4:5], 0
	s_cselect_b64 s[8:9], -1, 0
	s_or_b64 s[2:3], s[0:1], s[2:3]
	s_waitcnt lgkmcnt(0)
	v_add_f32_e32 v8, v9, v8
	s_nor_b64 s[2:3], s[8:9], s[2:3]
	s_and_saveexec_b64 s[10:11], s[2:3]
	s_cbranch_execz .LBB180_88
; %bb.87:
	v_lshlrev_b64 v[0:1], 1, v[0:1]
	v_cvt_f16_f32_e32 v10, v8
	v_mov_b32_e32 v9, s5
	v_add_co_u32_e64 v0, s[2:3], s4, v0
	v_addc_co_u32_e64 v1, s[2:3], v9, v1, s[2:3]
	global_store_short v[0:1], v10, off
.LBB180_88:
	s_or_b64 exec, exec, s[10:11]
	s_movk_i32 s2, 0x700
	v_cmp_gt_u32_e64 s[2:3], s2, v4
	s_and_b64 exec, exec, s[2:3]
	s_cbranch_execz .LBB180_123
; %bb.89:
	s_and_saveexec_b64 s[2:3], vcc
; %bb.90:
	v_lshlrev_b32_e32 v0, 2, v2
	v_lshlrev_b32_e32 v1, 2, v3
	v_add3_u32 v0, 0, v0, v1
	ds_read_b32 v8, v0 offset:16
; %bb.91:
	s_or_b64 exec, exec, s[2:3]
	s_waitcnt lgkmcnt(0)
	ds_bpermute_b32 v0, v5, v8
	v_mov_b32_e32 v9, s7
	s_waitcnt lgkmcnt(0)
	v_add_f32_e32 v0, v8, v0
	ds_bpermute_b32 v1, v6, v0
	v_add_u32_e32 v8, 4, v2
	s_waitcnt lgkmcnt(0)
	v_add_f32_e32 v10, v0, v1
	ds_bpermute_b32 v11, v7, v10
	v_add_co_u32_e64 v0, s[2:3], s6, v8
	v_addc_co_u32_e64 v1, s[2:3], 0, v9, s[2:3]
	v_cmp_le_i64_e64 s[2:3], s[14:15], v[0:1]
	s_waitcnt lgkmcnt(0)
	v_add_f32_e32 v0, v10, v11
	s_or_b64 s[2:3], s[0:1], s[2:3]
	s_nor_b64 s[2:3], s[8:9], s[2:3]
	s_and_saveexec_b64 s[10:11], s[2:3]
	s_cbranch_execz .LBB180_93
; %bb.92:
	v_mov_b32_e32 v1, s7
	v_add_co_u32_e64 v8, s[2:3], s6, v2
	v_addc_co_u32_e64 v9, s[2:3], 0, v1, s[2:3]
	v_lshlrev_b64 v[8:9], 1, v[8:9]
	v_cvt_f16_f32_e32 v10, v0
	v_mov_b32_e32 v1, s5
	v_add_co_u32_e64 v8, s[2:3], s4, v8
	v_addc_co_u32_e64 v9, s[2:3], v1, v9, s[2:3]
	global_store_short v[8:9], v10, off offset:8
.LBB180_93:
	s_or_b64 exec, exec, s[10:11]
	s_movk_i32 s2, 0x600
	v_cmp_gt_u32_e64 s[2:3], s2, v4
	s_and_b64 exec, exec, s[2:3]
	s_cbranch_execz .LBB180_123
; %bb.94:
	s_and_saveexec_b64 s[2:3], vcc
; %bb.95:
	v_lshlrev_b32_e32 v0, 2, v2
	v_lshlrev_b32_e32 v1, 2, v3
	v_add3_u32 v0, 0, v0, v1
	ds_read_b32 v0, v0 offset:32
; %bb.96:
	s_or_b64 exec, exec, s[2:3]
	s_waitcnt lgkmcnt(0)
	ds_bpermute_b32 v1, v5, v0
	v_add_u32_e32 v8, 8, v2
	v_mov_b32_e32 v9, s7
	s_waitcnt lgkmcnt(0)
	v_add_f32_e32 v0, v0, v1
	ds_bpermute_b32 v1, v6, v0
	s_waitcnt lgkmcnt(0)
	v_add_f32_e32 v10, v0, v1
	ds_bpermute_b32 v11, v7, v10
	v_add_co_u32_e64 v0, s[2:3], s6, v8
	v_addc_co_u32_e64 v1, s[2:3], 0, v9, s[2:3]
	v_cmp_le_i64_e64 s[2:3], s[14:15], v[0:1]
	s_waitcnt lgkmcnt(0)
	v_add_f32_e32 v0, v10, v11
	s_or_b64 s[2:3], s[0:1], s[2:3]
	s_nor_b64 s[2:3], s[8:9], s[2:3]
	s_and_saveexec_b64 s[10:11], s[2:3]
	s_cbranch_execz .LBB180_98
; %bb.97:
	v_mov_b32_e32 v1, s7
	v_add_co_u32_e64 v8, s[2:3], s6, v2
	v_addc_co_u32_e64 v9, s[2:3], 0, v1, s[2:3]
	v_lshlrev_b64 v[8:9], 1, v[8:9]
	v_cvt_f16_f32_e32 v10, v0
	v_mov_b32_e32 v1, s5
	v_add_co_u32_e64 v8, s[2:3], s4, v8
	v_addc_co_u32_e64 v9, s[2:3], v1, v9, s[2:3]
	global_store_short v[8:9], v10, off offset:16
.LBB180_98:
	s_or_b64 exec, exec, s[10:11]
	s_movk_i32 s2, 0x500
	v_cmp_gt_u32_e64 s[2:3], s2, v4
	s_and_b64 exec, exec, s[2:3]
	s_cbranch_execz .LBB180_123
; %bb.99:
	s_and_saveexec_b64 s[2:3], vcc
; %bb.100:
	v_lshlrev_b32_e32 v0, 2, v2
	v_lshlrev_b32_e32 v1, 2, v3
	v_add3_u32 v0, 0, v0, v1
	ds_read_b32 v0, v0 offset:48
; %bb.101:
	s_or_b64 exec, exec, s[2:3]
	s_waitcnt lgkmcnt(0)
	ds_bpermute_b32 v1, v5, v0
	v_add_u32_e32 v8, 12, v2
	v_mov_b32_e32 v9, s7
	s_waitcnt lgkmcnt(0)
	v_add_f32_e32 v0, v0, v1
	ds_bpermute_b32 v1, v6, v0
	s_waitcnt lgkmcnt(0)
	v_add_f32_e32 v10, v0, v1
	ds_bpermute_b32 v11, v7, v10
	v_add_co_u32_e64 v0, s[2:3], s6, v8
	v_addc_co_u32_e64 v1, s[2:3], 0, v9, s[2:3]
	v_cmp_le_i64_e64 s[2:3], s[14:15], v[0:1]
	s_waitcnt lgkmcnt(0)
	v_add_f32_e32 v0, v10, v11
	s_or_b64 s[2:3], s[0:1], s[2:3]
	s_nor_b64 s[2:3], s[8:9], s[2:3]
	s_and_saveexec_b64 s[10:11], s[2:3]
	s_cbranch_execz .LBB180_103
; %bb.102:
	v_mov_b32_e32 v1, s7
	v_add_co_u32_e64 v8, s[2:3], s6, v2
	v_addc_co_u32_e64 v9, s[2:3], 0, v1, s[2:3]
	v_lshlrev_b64 v[8:9], 1, v[8:9]
	v_cvt_f16_f32_e32 v10, v0
	v_mov_b32_e32 v1, s5
	v_add_co_u32_e64 v8, s[2:3], s4, v8
	v_addc_co_u32_e64 v9, s[2:3], v1, v9, s[2:3]
	global_store_short v[8:9], v10, off offset:24
.LBB180_103:
	s_or_b64 exec, exec, s[10:11]
	s_movk_i32 s2, 0x400
	v_cmp_gt_u32_e64 s[2:3], s2, v4
	s_and_b64 exec, exec, s[2:3]
	s_cbranch_execz .LBB180_123
; %bb.104:
	s_and_saveexec_b64 s[2:3], vcc
; %bb.105:
	v_lshlrev_b32_e32 v0, 2, v2
	v_lshlrev_b32_e32 v1, 2, v3
	v_add3_u32 v0, 0, v0, v1
	ds_read_b32 v0, v0 offset:64
; %bb.106:
	s_or_b64 exec, exec, s[2:3]
	s_waitcnt lgkmcnt(0)
	ds_bpermute_b32 v1, v5, v0
	v_add_u32_e32 v9, 16, v2
	s_waitcnt lgkmcnt(0)
	v_add_f32_e32 v0, v0, v1
	ds_bpermute_b32 v8, v6, v0
	v_mov_b32_e32 v1, s7
	s_waitcnt lgkmcnt(0)
	v_add_f32_e32 v8, v0, v8
	ds_bpermute_b32 v10, v7, v8
	v_or_b32_e32 v0, s6, v9
	v_cmp_le_i64_e64 s[2:3], s[14:15], v[0:1]
	s_or_b64 s[2:3], s[0:1], s[2:3]
	s_waitcnt lgkmcnt(0)
	v_add_f32_e32 v0, v8, v10
	s_nor_b64 s[2:3], s[8:9], s[2:3]
	s_and_saveexec_b64 s[10:11], s[2:3]
	s_cbranch_execz .LBB180_108
; %bb.107:
	v_mov_b32_e32 v1, s7
	v_add_co_u32_e64 v8, s[2:3], s6, v2
	v_addc_co_u32_e64 v9, s[2:3], 0, v1, s[2:3]
	v_lshlrev_b64 v[8:9], 1, v[8:9]
	v_cvt_f16_f32_e32 v10, v0
	v_mov_b32_e32 v1, s5
	v_add_co_u32_e64 v8, s[2:3], s4, v8
	v_addc_co_u32_e64 v9, s[2:3], v1, v9, s[2:3]
	global_store_short v[8:9], v10, off offset:32
.LBB180_108:
	s_or_b64 exec, exec, s[10:11]
	s_movk_i32 s2, 0x300
	v_cmp_gt_u32_e64 s[2:3], s2, v4
	s_and_b64 exec, exec, s[2:3]
	s_cbranch_execz .LBB180_123
; %bb.109:
	s_and_saveexec_b64 s[2:3], vcc
; %bb.110:
	v_lshlrev_b32_e32 v0, 2, v2
	v_lshlrev_b32_e32 v1, 2, v3
	v_add3_u32 v0, 0, v0, v1
	ds_read_b32 v0, v0 offset:80
; %bb.111:
	s_or_b64 exec, exec, s[2:3]
	s_waitcnt lgkmcnt(0)
	ds_bpermute_b32 v1, v5, v0
	v_add_u32_e32 v8, 20, v2
	v_mov_b32_e32 v9, s7
	s_waitcnt lgkmcnt(0)
	v_add_f32_e32 v0, v0, v1
	ds_bpermute_b32 v1, v6, v0
	s_waitcnt lgkmcnt(0)
	v_add_f32_e32 v10, v0, v1
	ds_bpermute_b32 v11, v7, v10
	v_add_co_u32_e64 v0, s[2:3], s6, v8
	v_addc_co_u32_e64 v1, s[2:3], 0, v9, s[2:3]
	v_cmp_le_i64_e64 s[2:3], s[14:15], v[0:1]
	s_waitcnt lgkmcnt(0)
	v_add_f32_e32 v0, v10, v11
	s_or_b64 s[2:3], s[0:1], s[2:3]
	s_nor_b64 s[2:3], s[8:9], s[2:3]
	s_and_saveexec_b64 s[10:11], s[2:3]
	s_cbranch_execz .LBB180_113
; %bb.112:
	v_mov_b32_e32 v1, s7
	v_add_co_u32_e64 v8, s[2:3], s6, v2
	v_addc_co_u32_e64 v9, s[2:3], 0, v1, s[2:3]
	v_lshlrev_b64 v[8:9], 1, v[8:9]
	v_cvt_f16_f32_e32 v10, v0
	v_mov_b32_e32 v1, s5
	v_add_co_u32_e64 v8, s[2:3], s4, v8
	v_addc_co_u32_e64 v9, s[2:3], v1, v9, s[2:3]
	global_store_short v[8:9], v10, off offset:40
.LBB180_113:
	s_or_b64 exec, exec, s[10:11]
	s_movk_i32 s2, 0x200
	v_cmp_gt_u32_e64 s[2:3], s2, v4
	s_and_b64 exec, exec, s[2:3]
	s_cbranch_execz .LBB180_123
; %bb.114:
	s_and_saveexec_b64 s[2:3], vcc
; %bb.115:
	v_lshlrev_b32_e32 v0, 2, v2
	v_lshlrev_b32_e32 v1, 2, v3
	v_add3_u32 v0, 0, v0, v1
	ds_read_b32 v0, v0 offset:96
; %bb.116:
	s_or_b64 exec, exec, s[2:3]
	s_waitcnt lgkmcnt(0)
	ds_bpermute_b32 v1, v5, v0
	v_add_u32_e32 v9, 24, v2
	s_waitcnt lgkmcnt(0)
	v_add_f32_e32 v0, v0, v1
	ds_bpermute_b32 v8, v6, v0
	v_mov_b32_e32 v1, s7
	s_waitcnt lgkmcnt(0)
	v_add_f32_e32 v8, v0, v8
	ds_bpermute_b32 v10, v7, v8
	v_or_b32_e32 v0, s6, v9
	v_cmp_le_i64_e64 s[2:3], s[14:15], v[0:1]
	s_or_b64 s[2:3], s[0:1], s[2:3]
	s_waitcnt lgkmcnt(0)
	v_add_f32_e32 v0, v8, v10
	s_nor_b64 s[2:3], s[8:9], s[2:3]
	s_and_saveexec_b64 s[10:11], s[2:3]
	s_cbranch_execz .LBB180_118
; %bb.117:
	v_mov_b32_e32 v1, s7
	v_add_co_u32_e64 v8, s[2:3], s6, v2
	v_addc_co_u32_e64 v9, s[2:3], 0, v1, s[2:3]
	v_lshlrev_b64 v[8:9], 1, v[8:9]
	v_cvt_f16_f32_e32 v10, v0
	v_mov_b32_e32 v1, s5
	v_add_co_u32_e64 v8, s[2:3], s4, v8
	v_addc_co_u32_e64 v9, s[2:3], v1, v9, s[2:3]
	global_store_short v[8:9], v10, off offset:48
.LBB180_118:
	s_or_b64 exec, exec, s[10:11]
	s_movk_i32 s2, 0x100
	v_cmp_gt_u32_e64 s[2:3], s2, v4
	s_and_b64 exec, exec, s[2:3]
	s_cbranch_execz .LBB180_123
; %bb.119:
	s_and_saveexec_b64 s[2:3], vcc
; %bb.120:
	v_lshlrev_b32_e32 v0, 2, v2
	v_lshlrev_b32_e32 v1, 2, v3
	v_add3_u32 v0, 0, v0, v1
	ds_read_b32 v0, v0 offset:112
; %bb.121:
	s_or_b64 exec, exec, s[2:3]
	s_waitcnt lgkmcnt(0)
	ds_bpermute_b32 v1, v5, v0
	v_add_u32_e32 v3, 28, v2
	v_or_b32_e32 v3, s6, v3
	v_mov_b32_e32 v4, s7
	v_cmp_le_i64_e32 vcc, s[14:15], v[3:4]
	s_waitcnt lgkmcnt(0)
	v_add_f32_e32 v0, v0, v1
	ds_bpermute_b32 v1, v6, v0
	s_or_b64 s[0:1], s[0:1], vcc
	s_nor_b64 s[0:1], s[8:9], s[0:1]
	s_waitcnt lgkmcnt(0)
	v_add_f32_e32 v0, v0, v1
	ds_bpermute_b32 v1, v7, v0
	s_and_saveexec_b64 s[2:3], s[0:1]
	s_xor_b64 s[2:3], exec, s[2:3]
	s_cbranch_execz .LBB180_123
; %bb.122:
	s_waitcnt lgkmcnt(0)
	v_add_f32_e32 v3, v0, v1
	v_mov_b32_e32 v1, s7
	v_add_co_u32_e32 v0, vcc, s6, v2
	v_addc_co_u32_e32 v1, vcc, 0, v1, vcc
	v_lshlrev_b64 v[0:1], 1, v[0:1]
	v_cvt_f16_f32_e32 v3, v3
	v_mov_b32_e32 v2, s5
	v_add_co_u32_e32 v0, vcc, s4, v0
	v_addc_co_u32_e32 v1, vcc, v2, v1, vcc
	global_store_short v[0:1], v3, off offset:56
.LBB180_123:
	s_endpgm
	.section	.rodata,"a",@progbits
	.p2align	6, 0x0
	.amdhsa_kernel _ZN2at6native12_GLOBAL__N_135GammaBetaBackwardCUDAKernelTemplateIN3c104HalfEfLj32ELj8ELj64ELb0ELb0ELb1EEEvllPKT_S7_PKT0_SA_PS5_SB_
		.amdhsa_group_segment_fixed_size 0
		.amdhsa_private_segment_fixed_size 0
		.amdhsa_kernarg_size 320
		.amdhsa_user_sgpr_count 6
		.amdhsa_user_sgpr_private_segment_buffer 1
		.amdhsa_user_sgpr_dispatch_ptr 0
		.amdhsa_user_sgpr_queue_ptr 0
		.amdhsa_user_sgpr_kernarg_segment_ptr 1
		.amdhsa_user_sgpr_dispatch_id 0
		.amdhsa_user_sgpr_flat_scratch_init 0
		.amdhsa_user_sgpr_private_segment_size 0
		.amdhsa_uses_dynamic_stack 0
		.amdhsa_system_sgpr_private_segment_wavefront_offset 0
		.amdhsa_system_sgpr_workgroup_id_x 1
		.amdhsa_system_sgpr_workgroup_id_y 1
		.amdhsa_system_sgpr_workgroup_id_z 0
		.amdhsa_system_sgpr_workgroup_info 0
		.amdhsa_system_vgpr_workitem_id 1
		.amdhsa_next_free_vgpr 90
		.amdhsa_next_free_sgpr 34
		.amdhsa_reserve_vcc 1
		.amdhsa_reserve_flat_scratch 0
		.amdhsa_float_round_mode_32 0
		.amdhsa_float_round_mode_16_64 0
		.amdhsa_float_denorm_mode_32 3
		.amdhsa_float_denorm_mode_16_64 3
		.amdhsa_dx10_clamp 1
		.amdhsa_ieee_mode 1
		.amdhsa_fp16_overflow 0
		.amdhsa_exception_fp_ieee_invalid_op 0
		.amdhsa_exception_fp_denorm_src 0
		.amdhsa_exception_fp_ieee_div_zero 0
		.amdhsa_exception_fp_ieee_overflow 0
		.amdhsa_exception_fp_ieee_underflow 0
		.amdhsa_exception_fp_ieee_inexact 0
		.amdhsa_exception_int_div_zero 0
	.end_amdhsa_kernel
	.section	.text._ZN2at6native12_GLOBAL__N_135GammaBetaBackwardCUDAKernelTemplateIN3c104HalfEfLj32ELj8ELj64ELb0ELb0ELb1EEEvllPKT_S7_PKT0_SA_PS5_SB_,"axG",@progbits,_ZN2at6native12_GLOBAL__N_135GammaBetaBackwardCUDAKernelTemplateIN3c104HalfEfLj32ELj8ELj64ELb0ELb0ELb1EEEvllPKT_S7_PKT0_SA_PS5_SB_,comdat
.Lfunc_end180:
	.size	_ZN2at6native12_GLOBAL__N_135GammaBetaBackwardCUDAKernelTemplateIN3c104HalfEfLj32ELj8ELj64ELb0ELb0ELb1EEEvllPKT_S7_PKT0_SA_PS5_SB_, .Lfunc_end180-_ZN2at6native12_GLOBAL__N_135GammaBetaBackwardCUDAKernelTemplateIN3c104HalfEfLj32ELj8ELj64ELb0ELb0ELb1EEEvllPKT_S7_PKT0_SA_PS5_SB_
                                        ; -- End function
	.set _ZN2at6native12_GLOBAL__N_135GammaBetaBackwardCUDAKernelTemplateIN3c104HalfEfLj32ELj8ELj64ELb0ELb0ELb1EEEvllPKT_S7_PKT0_SA_PS5_SB_.num_vgpr, 90
	.set _ZN2at6native12_GLOBAL__N_135GammaBetaBackwardCUDAKernelTemplateIN3c104HalfEfLj32ELj8ELj64ELb0ELb0ELb1EEEvllPKT_S7_PKT0_SA_PS5_SB_.num_agpr, 0
	.set _ZN2at6native12_GLOBAL__N_135GammaBetaBackwardCUDAKernelTemplateIN3c104HalfEfLj32ELj8ELj64ELb0ELb0ELb1EEEvllPKT_S7_PKT0_SA_PS5_SB_.numbered_sgpr, 34
	.set _ZN2at6native12_GLOBAL__N_135GammaBetaBackwardCUDAKernelTemplateIN3c104HalfEfLj32ELj8ELj64ELb0ELb0ELb1EEEvllPKT_S7_PKT0_SA_PS5_SB_.num_named_barrier, 0
	.set _ZN2at6native12_GLOBAL__N_135GammaBetaBackwardCUDAKernelTemplateIN3c104HalfEfLj32ELj8ELj64ELb0ELb0ELb1EEEvllPKT_S7_PKT0_SA_PS5_SB_.private_seg_size, 0
	.set _ZN2at6native12_GLOBAL__N_135GammaBetaBackwardCUDAKernelTemplateIN3c104HalfEfLj32ELj8ELj64ELb0ELb0ELb1EEEvllPKT_S7_PKT0_SA_PS5_SB_.uses_vcc, 1
	.set _ZN2at6native12_GLOBAL__N_135GammaBetaBackwardCUDAKernelTemplateIN3c104HalfEfLj32ELj8ELj64ELb0ELb0ELb1EEEvllPKT_S7_PKT0_SA_PS5_SB_.uses_flat_scratch, 0
	.set _ZN2at6native12_GLOBAL__N_135GammaBetaBackwardCUDAKernelTemplateIN3c104HalfEfLj32ELj8ELj64ELb0ELb0ELb1EEEvllPKT_S7_PKT0_SA_PS5_SB_.has_dyn_sized_stack, 0
	.set _ZN2at6native12_GLOBAL__N_135GammaBetaBackwardCUDAKernelTemplateIN3c104HalfEfLj32ELj8ELj64ELb0ELb0ELb1EEEvllPKT_S7_PKT0_SA_PS5_SB_.has_recursion, 0
	.set _ZN2at6native12_GLOBAL__N_135GammaBetaBackwardCUDAKernelTemplateIN3c104HalfEfLj32ELj8ELj64ELb0ELb0ELb1EEEvllPKT_S7_PKT0_SA_PS5_SB_.has_indirect_call, 0
	.section	.AMDGPU.csdata,"",@progbits
; Kernel info:
; codeLenInByte = 8056
; TotalNumSgprs: 38
; NumVgprs: 90
; ScratchSize: 0
; MemoryBound: 0
; FloatMode: 240
; IeeeMode: 1
; LDSByteSize: 0 bytes/workgroup (compile time only)
; SGPRBlocks: 4
; VGPRBlocks: 22
; NumSGPRsForWavesPerEU: 38
; NumVGPRsForWavesPerEU: 90
; Occupancy: 2
; WaveLimiterHint : 0
; COMPUTE_PGM_RSRC2:SCRATCH_EN: 0
; COMPUTE_PGM_RSRC2:USER_SGPR: 6
; COMPUTE_PGM_RSRC2:TRAP_HANDLER: 0
; COMPUTE_PGM_RSRC2:TGID_X_EN: 1
; COMPUTE_PGM_RSRC2:TGID_Y_EN: 1
; COMPUTE_PGM_RSRC2:TGID_Z_EN: 0
; COMPUTE_PGM_RSRC2:TIDIG_COMP_CNT: 1
	.section	.text._ZN2at6native12_GLOBAL__N_135GammaBetaBackwardCUDAKernelTemplateIN3c104HalfEfLj32ELj16ELj128ELb0ELb1ELb1EEEvllPKT_S7_PKT0_SA_PS5_SB_,"axG",@progbits,_ZN2at6native12_GLOBAL__N_135GammaBetaBackwardCUDAKernelTemplateIN3c104HalfEfLj32ELj16ELj128ELb0ELb1ELb1EEEvllPKT_S7_PKT0_SA_PS5_SB_,comdat
	.globl	_ZN2at6native12_GLOBAL__N_135GammaBetaBackwardCUDAKernelTemplateIN3c104HalfEfLj32ELj16ELj128ELb0ELb1ELb1EEEvllPKT_S7_PKT0_SA_PS5_SB_ ; -- Begin function _ZN2at6native12_GLOBAL__N_135GammaBetaBackwardCUDAKernelTemplateIN3c104HalfEfLj32ELj16ELj128ELb0ELb1ELb1EEEvllPKT_S7_PKT0_SA_PS5_SB_
	.p2align	8
	.type	_ZN2at6native12_GLOBAL__N_135GammaBetaBackwardCUDAKernelTemplateIN3c104HalfEfLj32ELj16ELj128ELb0ELb1ELb1EEEvllPKT_S7_PKT0_SA_PS5_SB_,@function
_ZN2at6native12_GLOBAL__N_135GammaBetaBackwardCUDAKernelTemplateIN3c104HalfEfLj32ELj16ELj128ELb0ELb1ELb1EEEvllPKT_S7_PKT0_SA_PS5_SB_: ; @_ZN2at6native12_GLOBAL__N_135GammaBetaBackwardCUDAKernelTemplateIN3c104HalfEfLj32ELj16ELj128ELb0ELb1ELb1EEEvllPKT_S7_PKT0_SA_PS5_SB_
; %bb.0:
	s_load_dwordx4 s[8:11], s[4:5], 0x0
	s_lshl_b32 s18, s7, 7
	s_mov_b32 s19, 0
	v_mov_b32_e32 v2, s18
	v_mov_b32_e32 v3, s19
	s_waitcnt lgkmcnt(0)
	v_cmp_gt_i64_e32 vcc, s[8:9], v[2:3]
	s_cbranch_vccnz .LBB181_2
; %bb.1:
	s_mov_b64 s[0:1], 0
	s_branch .LBB181_3
.LBB181_2:
	s_mov_b64 s[0:1], -1
.LBB181_3:
	s_load_dwordx2 s[16:17], s[4:5], 0x30
	v_mov_b32_e32 v3, 0
	s_andn2_b64 vcc, exec, s[0:1]
	v_mbcnt_lo_u32_b32 v8, -1, 0
	s_cbranch_vccnz .LBB181_10
; %bb.4:
	s_load_dword s0, s[4:5], 0x4c
	s_load_dword s7, s[4:5], 0x44
	s_load_dwordx4 s[12:15], s[4:5], 0x10
	s_load_dwordx2 s[2:3], s[4:5], 0x28
	v_lshlrev_b32_e32 v4, 3, v1
	s_waitcnt lgkmcnt(0)
	s_and_b32 s0, s0, 0xffff
	v_mad_u32_u24 v2, v1, s0, v0
	v_and_b32_e32 v5, 63, v2
	v_add_co_u32_e32 v10, vcc, s18, v4
	v_addc_co_u32_e64 v11, s[20:21], 0, 0, vcc
	v_add_co_u32_e32 v4, vcc, v10, v5
	v_cmp_gt_u32_e64 s[0:1], 8, v5
	v_mbcnt_hi_u32_b32 v6, -1, v8
	v_addc_co_u32_e32 v5, vcc, 0, v11, vcc
	v_mul_lo_u32 v14, s11, v10
	v_mul_lo_u32 v15, s10, v11
	v_mad_u64_u32 v[11:12], s[20:21], s10, v10, 0
	v_lshlrev_b32_e32 v6, 2, v6
	v_and_b32_e32 v9, 0x100, v6
	v_lshlrev_b64 v[6:7], 2, v[4:5]
	v_mov_b32_e32 v3, 0
	v_lshl_add_u32 v2, s6, 5, v0
	v_mov_b32_e32 v13, s3
	v_add_co_u32_e32 v6, vcc, s2, v6
	v_add3_u32 v12, v12, v15, v14
	v_addc_co_u32_e32 v7, vcc, v13, v7, vcc
	v_lshlrev_b64 v[11:12], 1, v[11:12]
	v_lshlrev_b64 v[13:14], 1, v[2:3]
	s_lshl_b32 s4, s7, 7
	s_mul_i32 s2, s11, s4
	s_mul_hi_u32 s3, s10, s4
	s_mov_b32 s5, 0
	v_add_co_u32_e32 v2, vcc, v11, v13
	s_add_i32 s3, s3, s2
	s_mul_i32 s2, s10, s4
	v_or_b32_e32 v10, 20, v9
	v_addc_co_u32_e32 v11, vcc, v12, v14, vcc
	v_or_b32_e32 v12, 24, v9
	v_or_b32_e32 v13, 28, v9
	s_lshl_b64 s[20:21], s[4:5], 2
	s_lshl_b64 s[22:23], s[2:3], 1
	s_lshl_b64 s[10:11], s[10:11], 1
	s_branch .LBB181_7
.LBB181_5:                              ;   in Loop: Header=BB181_7 Depth=1
	s_or_b64 exec, exec, s[24:25]
.LBB181_6:                              ;   in Loop: Header=BB181_7 Depth=1
	s_or_b64 exec, exec, s[2:3]
	v_mov_b32_e32 v16, s13
	v_add_co_u32_e32 v15, vcc, s12, v2
	v_addc_co_u32_e32 v16, vcc, v16, v11, vcc
	v_mov_b32_e32 v21, s11
	v_add_co_u32_e32 v17, vcc, s10, v15
	v_addc_co_u32_e32 v18, vcc, v16, v21, vcc
	global_load_ushort v22, v[15:16], off
	v_mov_b32_e32 v16, s15
	v_add_co_u32_e32 v15, vcc, s14, v2
	v_addc_co_u32_e32 v16, vcc, v16, v11, vcc
	v_add_co_u32_e32 v19, vcc, s10, v15
	global_load_ushort v15, v[15:16], off
	v_addc_co_u32_e32 v20, vcc, v16, v21, vcc
	s_add_u32 s18, s18, s4
	s_addc_u32 s19, s19, 0
	v_add_co_u32_e64 v6, s[2:3], s20, v6
	s_waitcnt vmcnt(1)
	v_cvt_f32_f16_e32 v16, v22
	global_load_ushort v22, v[17:18], off
	s_waitcnt vmcnt(1)
	v_cvt_f32_f16_e32 v15, v15
	v_mul_f32_e32 v15, v16, v15
	ds_bpermute_b32 v16, v9, v14
	s_waitcnt lgkmcnt(0)
	v_fmac_f32_e32 v3, v15, v16
	v_add_co_u32_e32 v15, vcc, s10, v17
	v_addc_co_u32_e32 v16, vcc, v18, v21, vcc
	v_add_co_u32_e32 v17, vcc, s10, v19
	global_load_ushort v19, v[19:20], off
	v_addc_co_u32_e32 v18, vcc, v20, v21, vcc
	s_waitcnt vmcnt(1)
	v_cvt_f32_f16_e32 v20, v22
	global_load_ushort v22, v[15:16], off
	s_waitcnt vmcnt(1)
	v_cvt_f32_f16_e32 v19, v19
	v_mul_f32_e32 v19, v20, v19
	v_or_b32_e32 v20, 4, v9
	ds_bpermute_b32 v20, v20, v14
	s_waitcnt lgkmcnt(0)
	v_fmac_f32_e32 v3, v19, v20
	v_add_co_u32_e32 v19, vcc, s10, v15
	v_addc_co_u32_e32 v20, vcc, v16, v21, vcc
	v_add_co_u32_e32 v15, vcc, s10, v17
	global_load_ushort v17, v[17:18], off
	v_addc_co_u32_e32 v16, vcc, v18, v21, vcc
	s_waitcnt vmcnt(1)
	v_cvt_f32_f16_e32 v18, v22
	global_load_ushort v22, v[19:20], off
	s_waitcnt vmcnt(1)
	v_cvt_f32_f16_e32 v17, v17
	v_mul_f32_e32 v17, v18, v17
	v_or_b32_e32 v18, 8, v9
	;; [unrolled: 15-line block ×4, first 2 shown]
	ds_bpermute_b32 v20, v20, v14
	s_waitcnt lgkmcnt(0)
	v_fmac_f32_e32 v3, v19, v20
	v_add_co_u32_e32 v19, vcc, s10, v15
	v_addc_co_u32_e32 v20, vcc, v16, v21, vcc
	v_add_co_u32_e32 v15, vcc, s10, v17
	global_load_ushort v17, v[17:18], off
	v_addc_co_u32_e32 v16, vcc, v18, v21, vcc
	s_waitcnt vmcnt(1)
	v_cvt_f32_f16_e32 v18, v22
	global_load_ushort v22, v[19:20], off
	s_waitcnt vmcnt(1)
	v_cvt_f32_f16_e32 v17, v17
	v_mul_f32_e32 v17, v18, v17
	ds_bpermute_b32 v18, v10, v14
	s_waitcnt lgkmcnt(0)
	v_fmac_f32_e32 v3, v17, v18
	v_add_co_u32_e32 v17, vcc, s10, v19
	v_addc_co_u32_e32 v18, vcc, v20, v21, vcc
	v_add_co_u32_e32 v19, vcc, s10, v15
	global_load_ushort v15, v[15:16], off
	v_addc_co_u32_e32 v20, vcc, v16, v21, vcc
	s_waitcnt vmcnt(1)
	v_cvt_f32_f16_e32 v16, v22
	s_waitcnt vmcnt(0)
	v_cvt_f32_f16_e32 v15, v15
	v_mul_f32_e32 v15, v16, v15
	ds_bpermute_b32 v16, v12, v14
	ds_bpermute_b32 v14, v13, v14
	s_waitcnt lgkmcnt(1)
	v_fmac_f32_e32 v3, v15, v16
	global_load_ushort v15, v[17:18], off
	global_load_ushort v16, v[19:20], off
	s_waitcnt vmcnt(1)
	v_cvt_f32_f16_e32 v15, v15
	s_waitcnt vmcnt(0)
	v_cvt_f32_f16_e32 v16, v16
	v_mul_f32_e32 v15, v15, v16
	s_waitcnt lgkmcnt(0)
	v_fmac_f32_e32 v3, v15, v14
	v_mov_b32_e32 v15, s9
	v_mov_b32_e32 v14, s8
	v_cmp_lt_i64_e32 vcc, s[18:19], v[14:15]
	v_mov_b32_e32 v14, s21
	v_addc_co_u32_e64 v7, s[2:3], v7, v14, s[2:3]
	v_add_co_u32_e64 v2, s[2:3], s22, v2
	v_mov_b32_e32 v14, s23
	v_addc_co_u32_e64 v11, s[2:3], v11, v14, s[2:3]
	v_add_co_u32_e64 v4, s[2:3], s4, v4
	v_addc_co_u32_e64 v5, s[2:3], 0, v5, s[2:3]
	s_cbranch_vccz .LBB181_10
.LBB181_7:                              ; =>This Inner Loop Header: Depth=1
	v_mov_b32_e32 v14, 0
	s_and_saveexec_b64 s[2:3], s[0:1]
	s_cbranch_execz .LBB181_6
; %bb.8:                                ;   in Loop: Header=BB181_7 Depth=1
	v_cmp_gt_i64_e32 vcc, s[8:9], v[4:5]
	v_mov_b32_e32 v14, 0
	s_and_saveexec_b64 s[24:25], vcc
	s_cbranch_execz .LBB181_5
; %bb.9:                                ;   in Loop: Header=BB181_7 Depth=1
	global_load_dword v14, v[6:7], off
	s_branch .LBB181_5
.LBB181_10:
	v_mad_u32_u24 v2, v1, 33, v0
	v_lshl_add_u32 v4, v2, 2, 0
	ds_write_b32 v4, v3
	v_mov_b32_e32 v3, 0
	ds_write_b32 v4, v3 offset:2112
	v_sub_u32_e32 v3, v2, v1
	s_movk_i32 s0, 0x800
	v_cmp_gt_u32_e32 vcc, s0, v3
	s_waitcnt lgkmcnt(0)
	s_barrier
	s_and_saveexec_b64 s[0:1], vcc
	s_cbranch_execz .LBB181_30
; %bb.11:
	v_and_b32_e32 v2, 63, v3
	v_lshrrev_b32_e32 v1, 6, v3
	v_cmp_gt_u32_e32 vcc, 16, v2
	v_mul_u32_u24_e32 v2, 33, v2
                                        ; implicit-def: $vgpr5
	s_and_saveexec_b64 s[0:1], vcc
; %bb.12:
	v_lshlrev_b32_e32 v4, 2, v1
	v_lshlrev_b32_e32 v5, 2, v2
	v_add3_u32 v4, 0, v4, v5
	ds_read_b32 v5, v4
; %bb.13:
	s_or_b64 exec, exec, s[0:1]
	v_mbcnt_hi_u32_b32 v7, -1, v8
	v_and_b32_e32 v4, 64, v7
	v_add_u32_e32 v8, 64, v4
	v_xor_b32_e32 v4, 8, v7
	v_cmp_lt_i32_e64 s[0:1], v4, v8
	v_cndmask_b32_e64 v4, v7, v4, s[0:1]
	v_lshlrev_b32_e32 v4, 2, v4
	s_waitcnt lgkmcnt(0)
	ds_bpermute_b32 v6, v4, v5
	v_xor_b32_e32 v9, 4, v7
	v_cmp_lt_i32_e64 s[0:1], v9, v8
	v_xor_b32_e32 v10, 2, v7
	s_cmp_lg_u64 s[16:17], 0
	s_waitcnt lgkmcnt(0)
	v_add_f32_e32 v6, v5, v6
	v_cndmask_b32_e64 v5, v7, v9, s[0:1]
	v_lshlrev_b32_e32 v5, 2, v5
	ds_bpermute_b32 v9, v5, v6
	v_cmp_lt_i32_e64 s[0:1], v10, v8
	s_mov_b32 s7, 0
	s_cselect_b64 s[4:5], -1, 0
	s_waitcnt lgkmcnt(0)
	v_add_f32_e32 v9, v6, v9
	v_cndmask_b32_e64 v6, v7, v10, s[0:1]
	v_lshlrev_b32_e32 v6, 2, v6
	ds_bpermute_b32 v10, v6, v9
	v_cmp_eq_u32_e64 s[0:1], 0, v0
	v_xor_b32_e32 v0, 1, v7
	v_cmp_lt_i32_e64 s[2:3], v0, v8
	v_cndmask_b32_e64 v0, v7, v0, s[2:3]
	s_waitcnt lgkmcnt(0)
	v_add_f32_e32 v9, v9, v10
	v_lshlrev_b32_e32 v0, 2, v0
	ds_bpermute_b32 v7, v0, v9
	s_and_b64 s[4:5], s[0:1], s[4:5]
	s_lshl_b64 s[0:1], s[6:7], 6
	s_add_u32 s2, s16, s0
	s_addc_u32 s3, s17, s1
	s_waitcnt lgkmcnt(0)
	v_add_f32_e32 v7, v9, v7
	s_and_saveexec_b64 s[0:1], s[4:5]
	s_cbranch_execz .LBB181_15
; %bb.14:
	v_cvt_f16_f32_e32 v8, v7
	v_lshlrev_b32_e32 v9, 1, v1
	global_store_short v9, v8, s[2:3]
.LBB181_15:
	s_or_b64 exec, exec, s[0:1]
	s_movk_i32 s0, 0x600
	v_cmp_gt_u32_e64 s[0:1], s0, v3
	s_and_b64 exec, exec, s[0:1]
	s_cbranch_execz .LBB181_30
; %bb.16:
	s_and_saveexec_b64 s[0:1], vcc
; %bb.17:
	v_lshlrev_b32_e32 v7, 2, v1
	v_lshlrev_b32_e32 v8, 2, v2
	v_add3_u32 v7, 0, v7, v8
	ds_read_b32 v7, v7 offset:32
; %bb.18:
	s_or_b64 exec, exec, s[0:1]
	s_waitcnt lgkmcnt(0)
	ds_bpermute_b32 v8, v4, v7
	s_waitcnt lgkmcnt(0)
	v_add_f32_e32 v7, v7, v8
	ds_bpermute_b32 v8, v5, v7
	s_waitcnt lgkmcnt(0)
	v_add_f32_e32 v7, v7, v8
	;; [unrolled: 3-line block ×4, first 2 shown]
	s_and_saveexec_b64 s[0:1], s[4:5]
	s_cbranch_execz .LBB181_20
; %bb.19:
	v_cvt_f16_f32_e32 v8, v7
	v_lshlrev_b32_e32 v9, 1, v1
	global_store_short v9, v8, s[2:3] offset:16
.LBB181_20:
	s_or_b64 exec, exec, s[0:1]
	s_movk_i32 s0, 0x400
	v_cmp_gt_u32_e64 s[0:1], s0, v3
	s_and_b64 exec, exec, s[0:1]
	s_cbranch_execz .LBB181_30
; %bb.21:
	s_and_saveexec_b64 s[0:1], vcc
; %bb.22:
	v_lshlrev_b32_e32 v7, 2, v1
	v_lshlrev_b32_e32 v8, 2, v2
	v_add3_u32 v7, 0, v7, v8
	ds_read_b32 v7, v7 offset:64
; %bb.23:
	s_or_b64 exec, exec, s[0:1]
	s_waitcnt lgkmcnt(0)
	ds_bpermute_b32 v8, v4, v7
	s_waitcnt lgkmcnt(0)
	v_add_f32_e32 v7, v7, v8
	ds_bpermute_b32 v8, v5, v7
	s_waitcnt lgkmcnt(0)
	v_add_f32_e32 v7, v7, v8
	;; [unrolled: 3-line block ×4, first 2 shown]
	s_and_saveexec_b64 s[0:1], s[4:5]
	s_cbranch_execz .LBB181_25
; %bb.24:
	v_cvt_f16_f32_e32 v8, v7
	v_lshlrev_b32_e32 v9, 1, v1
	global_store_short v9, v8, s[2:3] offset:32
.LBB181_25:
	s_or_b64 exec, exec, s[0:1]
	s_movk_i32 s0, 0x200
	v_cmp_gt_u32_e64 s[0:1], s0, v3
	s_and_b64 exec, exec, s[0:1]
	s_cbranch_execz .LBB181_30
; %bb.26:
	s_and_saveexec_b64 s[0:1], vcc
; %bb.27:
	v_lshlrev_b32_e32 v3, 2, v1
	v_lshlrev_b32_e32 v2, 2, v2
	v_add3_u32 v2, 0, v3, v2
	ds_read_b32 v7, v2 offset:96
; %bb.28:
	s_or_b64 exec, exec, s[0:1]
	s_waitcnt lgkmcnt(0)
	ds_bpermute_b32 v2, v4, v7
	s_waitcnt lgkmcnt(0)
	v_add_f32_e32 v2, v7, v2
	ds_bpermute_b32 v3, v5, v2
	s_waitcnt lgkmcnt(0)
	v_add_f32_e32 v2, v2, v3
	;; [unrolled: 3-line block ×3, first 2 shown]
	ds_bpermute_b32 v0, v0, v2
	s_and_saveexec_b64 s[0:1], s[4:5]
	s_xor_b64 s[0:1], exec, s[0:1]
	s_cbranch_execz .LBB181_30
; %bb.29:
	s_waitcnt lgkmcnt(0)
	v_add_f32_e32 v0, v2, v0
	v_cvt_f16_f32_e32 v0, v0
	v_lshlrev_b32_e32 v1, 1, v1
	global_store_short v1, v0, s[2:3] offset:48
.LBB181_30:
	s_endpgm
	.section	.rodata,"a",@progbits
	.p2align	6, 0x0
	.amdhsa_kernel _ZN2at6native12_GLOBAL__N_135GammaBetaBackwardCUDAKernelTemplateIN3c104HalfEfLj32ELj16ELj128ELb0ELb1ELb1EEEvllPKT_S7_PKT0_SA_PS5_SB_
		.amdhsa_group_segment_fixed_size 0
		.amdhsa_private_segment_fixed_size 0
		.amdhsa_kernarg_size 320
		.amdhsa_user_sgpr_count 6
		.amdhsa_user_sgpr_private_segment_buffer 1
		.amdhsa_user_sgpr_dispatch_ptr 0
		.amdhsa_user_sgpr_queue_ptr 0
		.amdhsa_user_sgpr_kernarg_segment_ptr 1
		.amdhsa_user_sgpr_dispatch_id 0
		.amdhsa_user_sgpr_flat_scratch_init 0
		.amdhsa_user_sgpr_private_segment_size 0
		.amdhsa_uses_dynamic_stack 0
		.amdhsa_system_sgpr_private_segment_wavefront_offset 0
		.amdhsa_system_sgpr_workgroup_id_x 1
		.amdhsa_system_sgpr_workgroup_id_y 1
		.amdhsa_system_sgpr_workgroup_id_z 0
		.amdhsa_system_sgpr_workgroup_info 0
		.amdhsa_system_vgpr_workitem_id 1
		.amdhsa_next_free_vgpr 23
		.amdhsa_next_free_sgpr 26
		.amdhsa_reserve_vcc 1
		.amdhsa_reserve_flat_scratch 0
		.amdhsa_float_round_mode_32 0
		.amdhsa_float_round_mode_16_64 0
		.amdhsa_float_denorm_mode_32 3
		.amdhsa_float_denorm_mode_16_64 3
		.amdhsa_dx10_clamp 1
		.amdhsa_ieee_mode 1
		.amdhsa_fp16_overflow 0
		.amdhsa_exception_fp_ieee_invalid_op 0
		.amdhsa_exception_fp_denorm_src 0
		.amdhsa_exception_fp_ieee_div_zero 0
		.amdhsa_exception_fp_ieee_overflow 0
		.amdhsa_exception_fp_ieee_underflow 0
		.amdhsa_exception_fp_ieee_inexact 0
		.amdhsa_exception_int_div_zero 0
	.end_amdhsa_kernel
	.section	.text._ZN2at6native12_GLOBAL__N_135GammaBetaBackwardCUDAKernelTemplateIN3c104HalfEfLj32ELj16ELj128ELb0ELb1ELb1EEEvllPKT_S7_PKT0_SA_PS5_SB_,"axG",@progbits,_ZN2at6native12_GLOBAL__N_135GammaBetaBackwardCUDAKernelTemplateIN3c104HalfEfLj32ELj16ELj128ELb0ELb1ELb1EEEvllPKT_S7_PKT0_SA_PS5_SB_,comdat
.Lfunc_end181:
	.size	_ZN2at6native12_GLOBAL__N_135GammaBetaBackwardCUDAKernelTemplateIN3c104HalfEfLj32ELj16ELj128ELb0ELb1ELb1EEEvllPKT_S7_PKT0_SA_PS5_SB_, .Lfunc_end181-_ZN2at6native12_GLOBAL__N_135GammaBetaBackwardCUDAKernelTemplateIN3c104HalfEfLj32ELj16ELj128ELb0ELb1ELb1EEEvllPKT_S7_PKT0_SA_PS5_SB_
                                        ; -- End function
	.set _ZN2at6native12_GLOBAL__N_135GammaBetaBackwardCUDAKernelTemplateIN3c104HalfEfLj32ELj16ELj128ELb0ELb1ELb1EEEvllPKT_S7_PKT0_SA_PS5_SB_.num_vgpr, 23
	.set _ZN2at6native12_GLOBAL__N_135GammaBetaBackwardCUDAKernelTemplateIN3c104HalfEfLj32ELj16ELj128ELb0ELb1ELb1EEEvllPKT_S7_PKT0_SA_PS5_SB_.num_agpr, 0
	.set _ZN2at6native12_GLOBAL__N_135GammaBetaBackwardCUDAKernelTemplateIN3c104HalfEfLj32ELj16ELj128ELb0ELb1ELb1EEEvllPKT_S7_PKT0_SA_PS5_SB_.numbered_sgpr, 26
	.set _ZN2at6native12_GLOBAL__N_135GammaBetaBackwardCUDAKernelTemplateIN3c104HalfEfLj32ELj16ELj128ELb0ELb1ELb1EEEvllPKT_S7_PKT0_SA_PS5_SB_.num_named_barrier, 0
	.set _ZN2at6native12_GLOBAL__N_135GammaBetaBackwardCUDAKernelTemplateIN3c104HalfEfLj32ELj16ELj128ELb0ELb1ELb1EEEvllPKT_S7_PKT0_SA_PS5_SB_.private_seg_size, 0
	.set _ZN2at6native12_GLOBAL__N_135GammaBetaBackwardCUDAKernelTemplateIN3c104HalfEfLj32ELj16ELj128ELb0ELb1ELb1EEEvllPKT_S7_PKT0_SA_PS5_SB_.uses_vcc, 1
	.set _ZN2at6native12_GLOBAL__N_135GammaBetaBackwardCUDAKernelTemplateIN3c104HalfEfLj32ELj16ELj128ELb0ELb1ELb1EEEvllPKT_S7_PKT0_SA_PS5_SB_.uses_flat_scratch, 0
	.set _ZN2at6native12_GLOBAL__N_135GammaBetaBackwardCUDAKernelTemplateIN3c104HalfEfLj32ELj16ELj128ELb0ELb1ELb1EEEvllPKT_S7_PKT0_SA_PS5_SB_.has_dyn_sized_stack, 0
	.set _ZN2at6native12_GLOBAL__N_135GammaBetaBackwardCUDAKernelTemplateIN3c104HalfEfLj32ELj16ELj128ELb0ELb1ELb1EEEvllPKT_S7_PKT0_SA_PS5_SB_.has_recursion, 0
	.set _ZN2at6native12_GLOBAL__N_135GammaBetaBackwardCUDAKernelTemplateIN3c104HalfEfLj32ELj16ELj128ELb0ELb1ELb1EEEvllPKT_S7_PKT0_SA_PS5_SB_.has_indirect_call, 0
	.section	.AMDGPU.csdata,"",@progbits
; Kernel info:
; codeLenInByte = 1828
; TotalNumSgprs: 30
; NumVgprs: 23
; ScratchSize: 0
; MemoryBound: 0
; FloatMode: 240
; IeeeMode: 1
; LDSByteSize: 0 bytes/workgroup (compile time only)
; SGPRBlocks: 3
; VGPRBlocks: 5
; NumSGPRsForWavesPerEU: 30
; NumVGPRsForWavesPerEU: 23
; Occupancy: 10
; WaveLimiterHint : 0
; COMPUTE_PGM_RSRC2:SCRATCH_EN: 0
; COMPUTE_PGM_RSRC2:USER_SGPR: 6
; COMPUTE_PGM_RSRC2:TRAP_HANDLER: 0
; COMPUTE_PGM_RSRC2:TGID_X_EN: 1
; COMPUTE_PGM_RSRC2:TGID_Y_EN: 1
; COMPUTE_PGM_RSRC2:TGID_Z_EN: 0
; COMPUTE_PGM_RSRC2:TIDIG_COMP_CNT: 1
	.section	.text._ZN2at6native12_GLOBAL__N_135GammaBetaBackwardCUDAKernelTemplateIN3c104HalfEfLj32ELj16ELj128ELb0ELb0ELb1EEEvllPKT_S7_PKT0_SA_PS5_SB_,"axG",@progbits,_ZN2at6native12_GLOBAL__N_135GammaBetaBackwardCUDAKernelTemplateIN3c104HalfEfLj32ELj16ELj128ELb0ELb0ELb1EEEvllPKT_S7_PKT0_SA_PS5_SB_,comdat
	.globl	_ZN2at6native12_GLOBAL__N_135GammaBetaBackwardCUDAKernelTemplateIN3c104HalfEfLj32ELj16ELj128ELb0ELb0ELb1EEEvllPKT_S7_PKT0_SA_PS5_SB_ ; -- Begin function _ZN2at6native12_GLOBAL__N_135GammaBetaBackwardCUDAKernelTemplateIN3c104HalfEfLj32ELj16ELj128ELb0ELb0ELb1EEEvllPKT_S7_PKT0_SA_PS5_SB_
	.p2align	8
	.type	_ZN2at6native12_GLOBAL__N_135GammaBetaBackwardCUDAKernelTemplateIN3c104HalfEfLj32ELj16ELj128ELb0ELb0ELb1EEEvllPKT_S7_PKT0_SA_PS5_SB_,@function
_ZN2at6native12_GLOBAL__N_135GammaBetaBackwardCUDAKernelTemplateIN3c104HalfEfLj32ELj16ELj128ELb0ELb0ELb1EEEvllPKT_S7_PKT0_SA_PS5_SB_: ; @_ZN2at6native12_GLOBAL__N_135GammaBetaBackwardCUDAKernelTemplateIN3c104HalfEfLj32ELj16ELj128ELb0ELb0ELb1EEEvllPKT_S7_PKT0_SA_PS5_SB_
; %bb.0:
	s_load_dwordx8 s[12:19], s[4:5], 0x0
	s_load_dwordx2 s[10:11], s[4:5], 0x28
	s_lshl_b32 s20, s7, 7
	s_lshl_b32 s33, s6, 5
	s_mov_b32 s21, 0
	v_mov_b32_e32 v2, s20
	s_or_b32 s0, s33, 31
	v_mov_b32_e32 v3, s21
	v_mov_b32_e32 v48, s0
	;; [unrolled: 1-line block ×3, first 2 shown]
	s_waitcnt lgkmcnt(0)
	v_cmp_gt_i64_e64 s[0:1], s[12:13], v[2:3]
	v_cmp_le_i64_e32 vcc, s[14:15], v[48:49]
	v_cndmask_b32_e64 v2, 0, 1, s[0:1]
	v_cmp_ne_u32_e64 s[0:1], 1, v2
	s_cbranch_vccz .LBB182_49
; %bb.1:
	s_and_b64 vcc, exec, s[0:1]
	s_cbranch_vccnz .LBB182_50
; %bb.2:
	v_lshlrev_b32_e32 v21, 3, v1
	v_add_co_u32_e32 v9, vcc, s20, v21
	v_addc_co_u32_e64 v10, s[2:3], 0, 0, vcc
	v_mul_lo_u32 v7, s15, v9
	v_mul_lo_u32 v8, s14, v10
	v_mad_u64_u32 v[5:6], s[2:3], s14, v9, 0
	v_mov_b32_e32 v2, 0
	s_load_dword s7, s[4:5], 0x44
	v_add_u32_e32 v3, s33, v0
	v_mov_b32_e32 v4, v2
	v_add3_u32 v6, v6, v8, v7
	v_cmp_gt_i64_e64 s[2:3], s[14:15], v[3:4]
	v_lshlrev_b64 v[19:20], 1, v[3:4]
	v_lshlrev_b64 v[3:4], 1, v[5:6]
	s_add_u32 s22, s4, 64
	v_mov_b32_e32 v7, s17
	v_add_co_u32_e32 v22, vcc, s16, v3
	s_addc_u32 s23, s5, 0
	s_waitcnt lgkmcnt(0)
	s_lshl_b32 s7, s7, 7
	v_addc_co_u32_e32 v23, vcc, v7, v4, vcc
	s_mul_i32 s8, s15, s7
	s_mul_hi_u32 s9, s14, s7
	v_add_co_u32_e32 v7, vcc, 7, v9
	s_add_i32 s9, s9, s8
	s_mul_i32 s8, s14, s7
	v_addc_co_u32_e32 v8, vcc, 0, v10, vcc
	s_lshl_b64 s[24:25], s[8:9], 1
	v_mul_lo_u32 v12, s15, v7
	v_mul_lo_u32 v13, s14, v8
	v_mad_u64_u32 v[7:8], s[8:9], s14, v7, 0
	v_mov_b32_e32 v11, s19
	v_add_co_u32_e32 v24, vcc, s18, v3
	v_add3_u32 v8, v8, v13, v12
	v_addc_co_u32_e32 v25, vcc, v11, v4, vcc
	v_lshlrev_b64 v[3:4], 1, v[7:8]
	v_mov_b32_e32 v7, s17
	v_add_co_u32_e32 v26, vcc, s16, v3
	v_addc_co_u32_e32 v27, vcc, v7, v4, vcc
	v_add_co_u32_e32 v7, vcc, 6, v9
	v_addc_co_u32_e32 v8, vcc, 0, v10, vcc
	v_mul_lo_u32 v12, s15, v7
	v_mul_lo_u32 v13, s14, v8
	v_mad_u64_u32 v[7:8], s[8:9], s14, v7, 0
	v_add_co_u32_e32 v28, vcc, s18, v3
	v_add3_u32 v8, v8, v13, v12
	v_addc_co_u32_e32 v29, vcc, v11, v4, vcc
	v_lshlrev_b64 v[3:4], 1, v[7:8]
	v_mov_b32_e32 v7, s17
	v_add_co_u32_e32 v30, vcc, s16, v3
	v_addc_co_u32_e32 v31, vcc, v7, v4, vcc
	v_add_co_u32_e32 v7, vcc, 5, v9
	v_addc_co_u32_e32 v8, vcc, 0, v10, vcc
	v_mul_lo_u32 v12, s15, v7
	v_mul_lo_u32 v13, s14, v8
	v_mad_u64_u32 v[7:8], s[8:9], s14, v7, 0
	;; [unrolled: 12-line block ×5, first 2 shown]
	v_add_co_u32_e32 v44, vcc, s18, v3
	v_add3_u32 v8, v8, v10, v9
	v_addc_co_u32_e32 v45, vcc, v11, v4, vcc
	v_lshlrev_b64 v[3:4], 1, v[7:8]
	v_mov_b32_e32 v7, s17
	v_add_co_u32_e32 v46, vcc, s16, v3
	v_addc_co_u32_e32 v47, vcc, v7, v4, vcc
	v_mov_b32_e32 v7, s19
	v_add_co_u32_e32 v48, vcc, s18, v3
	v_addc_co_u32_e32 v50, vcc, v7, v4, vcc
	;; [unrolled: 3-line block ×3, first 2 shown]
	v_lshlrev_b64 v[3:4], 1, v[3:4]
	v_mov_b32_e32 v5, s17
	v_add_co_u32_e32 v51, vcc, s16, v3
	v_addc_co_u32_e32 v52, vcc, v5, v4, vcc
	v_add_co_u32_e32 v53, vcc, s18, v3
	v_mbcnt_lo_u32_b32 v3, -1, 0
	v_mbcnt_hi_u32_b32 v3, -1, v3
	v_mov_b32_e32 v5, s19
	s_add_u32 s26, s20, 0x7f
	v_lshlrev_b32_e32 v3, 2, v3
	v_addc_co_u32_e32 v54, vcc, v5, v4, vcc
	s_addc_u32 s27, 0, 0
	v_and_b32_e32 v55, 0x100, v3
	s_mov_b64 s[28:29], s[20:21]
	v_mov_b32_e32 v56, 0
.LBB182_3:                              ; =>This Inner Loop Header: Depth=1
	v_mov_b32_e32 v3, s12
	v_mov_b32_e32 v4, s13
	v_cmp_ge_i64_e32 vcc, s[26:27], v[3:4]
	v_mov_b32_e32 v3, s27
	v_add_co_u32_e64 v57, s[8:9], s26, v21
	v_addc_co_u32_e64 v58, s[8:9], 0, v3, s[8:9]
	s_mov_b64 s[8:9], -1
	s_and_b64 vcc, exec, vcc
                                        ; implicit-def: $vgpr3_vgpr4_vgpr5_vgpr6_vgpr7_vgpr8_vgpr9_vgpr10
                                        ; implicit-def: $vgpr49
                                        ; implicit-def: $vgpr11_vgpr12_vgpr13_vgpr14_vgpr15_vgpr16_vgpr17_vgpr18
                                        ; implicit-def: $vgpr3
	s_cbranch_vccz .LBB182_25
; %bb.4:                                ;   in Loop: Header=BB182_3 Depth=1
	s_load_dword s8, s[22:23], 0xc
	v_mov_b32_e32 v59, 0
	s_waitcnt lgkmcnt(0)
	s_and_b32 s8, s8, 0xffff
	v_mad_u32_u24 v3, v1, s8, v0
	v_and_b32_e32 v3, 63, v3
	v_cmp_gt_u32_e32 vcc, 8, v3
	s_and_saveexec_b64 s[8:9], vcc
	s_cbranch_execz .LBB182_8
; %bb.5:                                ;   in Loop: Header=BB182_3 Depth=1
	v_add_co_u32_e32 v3, vcc, v57, v3
	v_addc_co_u32_e32 v4, vcc, 0, v58, vcc
	v_add_co_u32_e32 v3, vcc, 0xffffff81, v3
	v_addc_co_u32_e32 v4, vcc, -1, v4, vcc
	v_cmp_gt_i64_e32 vcc, s[12:13], v[3:4]
	v_mov_b32_e32 v59, 0
	s_and_saveexec_b64 s[30:31], vcc
	s_cbranch_execz .LBB182_7
; %bb.6:                                ;   in Loop: Header=BB182_3 Depth=1
	v_lshlrev_b64 v[3:4], 2, v[3:4]
	v_mov_b32_e32 v5, s11
	v_add_co_u32_e32 v3, vcc, s10, v3
	v_addc_co_u32_e32 v4, vcc, v5, v4, vcc
	global_load_dword v59, v[3:4], off
.LBB182_7:                              ;   in Loop: Header=BB182_3 Depth=1
	s_or_b64 exec, exec, s[30:31]
.LBB182_8:                              ;   in Loop: Header=BB182_3 Depth=1
	s_or_b64 exec, exec, s[8:9]
	v_add_co_u32_e32 v3, vcc, 0xffffff81, v57
	v_addc_co_u32_e32 v4, vcc, -1, v58, vcc
	v_mov_b32_e32 v9, v2
	v_cmp_gt_i64_e32 vcc, s[12:13], v[3:4]
	v_mov_b32_e32 v3, v2
	v_mov_b32_e32 v4, v2
	;; [unrolled: 1-line block ×15, first 2 shown]
	s_and_b64 s[30:31], s[2:3], vcc
	v_mov_b32_e32 v9, v8
	v_mov_b32_e32 v8, v7
	v_mov_b32_e32 v7, v6
	v_mov_b32_e32 v6, v5
	v_mov_b32_e32 v5, v4
	v_mov_b32_e32 v4, v3
	v_mov_b32_e32 v3, v2
	s_and_saveexec_b64 s[8:9], s[30:31]
	s_cbranch_execz .LBB182_10
; %bb.9:                                ;   in Loop: Header=BB182_3 Depth=1
	v_add_co_u32_e32 v3, vcc, v22, v19
	v_addc_co_u32_e32 v4, vcc, v23, v20, vcc
	global_load_ushort v11, v[3:4], off
	v_add_co_u32_e32 v3, vcc, v24, v19
	v_addc_co_u32_e32 v4, vcc, v25, v20, vcc
	global_load_ushort v15, v[3:4], off
	v_mov_b32_e32 v4, v2
	v_mov_b32_e32 v5, v2
	;; [unrolled: 1-line block ×13, first 2 shown]
	s_waitcnt vmcnt(1)
	v_cvt_f32_f16_e32 v3, v11
	s_waitcnt vmcnt(0)
	v_cvt_f32_f16_e32 v11, v15
	v_mov_b32_e32 v15, v2
.LBB182_10:                             ;   in Loop: Header=BB182_3 Depth=1
	s_or_b64 exec, exec, s[8:9]
	v_add_co_u32_e32 v60, vcc, 0xffffff82, v57
	v_addc_co_u32_e32 v61, vcc, -1, v58, vcc
	v_cmp_gt_i64_e32 vcc, s[12:13], v[60:61]
	s_and_b64 s[30:31], s[2:3], vcc
	s_and_saveexec_b64 s[8:9], s[30:31]
	s_cbranch_execz .LBB182_12
; %bb.11:                               ;   in Loop: Header=BB182_3 Depth=1
	v_add_co_u32_e32 v60, vcc, v51, v19
	v_addc_co_u32_e32 v61, vcc, v52, v20, vcc
	global_load_ushort v4, v[60:61], off
	v_add_co_u32_e32 v60, vcc, v53, v19
	v_addc_co_u32_e32 v61, vcc, v54, v20, vcc
	global_load_ushort v12, v[60:61], off
	s_waitcnt vmcnt(1)
	v_cvt_f32_f16_e32 v4, v4
	s_waitcnt vmcnt(0)
	v_cvt_f32_f16_e32 v12, v12
.LBB182_12:                             ;   in Loop: Header=BB182_3 Depth=1
	s_or_b64 exec, exec, s[8:9]
	v_add_co_u32_e32 v60, vcc, 0xffffff83, v57
	v_addc_co_u32_e32 v61, vcc, -1, v58, vcc
	v_cmp_gt_i64_e32 vcc, s[12:13], v[60:61]
	s_and_b64 s[30:31], s[2:3], vcc
	s_and_saveexec_b64 s[8:9], s[30:31]
	s_cbranch_execz .LBB182_14
; %bb.13:                               ;   in Loop: Header=BB182_3 Depth=1
	v_add_co_u32_e32 v60, vcc, v46, v19
	v_addc_co_u32_e32 v61, vcc, v47, v20, vcc
	global_load_ushort v5, v[60:61], off
	v_add_co_u32_e32 v60, vcc, v48, v19
	v_addc_co_u32_e32 v61, vcc, v50, v20, vcc
	global_load_ushort v13, v[60:61], off
	s_waitcnt vmcnt(1)
	v_cvt_f32_f16_e32 v5, v5
	s_waitcnt vmcnt(0)
	v_cvt_f32_f16_e32 v13, v13
.LBB182_14:                             ;   in Loop: Header=BB182_3 Depth=1
	;; [unrolled: 19-line block ×7, first 2 shown]
	s_or_b64 exec, exec, s[8:9]
	s_waitcnt vmcnt(0)
	ds_bpermute_b32 v49, v55, v59
	ds_bpermute_b32 v60, v55, v59 offset:4
	v_mul_f32_e32 v3, v11, v3
	ds_bpermute_b32 v11, v55, v59 offset:8
	v_mul_f32_e32 v4, v12, v4
	s_waitcnt lgkmcnt(2)
	v_fma_f32 v49, v3, v49, v56
	s_waitcnt lgkmcnt(1)
	v_fmac_f32_e32 v49, v4, v60
	ds_bpermute_b32 v3, v55, v59 offset:12
	v_mul_f32_e32 v4, v13, v5
	s_waitcnt lgkmcnt(1)
	v_fmac_f32_e32 v49, v4, v11
	ds_bpermute_b32 v4, v55, v59 offset:16
	v_mul_f32_e32 v5, v14, v6
	s_waitcnt lgkmcnt(1)
	v_fmac_f32_e32 v49, v5, v3
	v_mul_f32_e32 v3, v15, v7
	ds_bpermute_b32 v5, v55, v59 offset:20
	s_waitcnt lgkmcnt(1)
	v_fmac_f32_e32 v49, v3, v4
	ds_bpermute_b32 v4, v55, v59 offset:24
	ds_bpermute_b32 v3, v55, v59 offset:28
	v_mul_f32_e32 v6, v16, v8
	s_waitcnt lgkmcnt(2)
	v_fmac_f32_e32 v49, v6, v5
	v_mul_f32_e32 v5, v17, v9
	s_waitcnt lgkmcnt(1)
	v_fmac_f32_e32 v49, v5, v4
	s_mov_b64 s[8:9], 0
.LBB182_25:                             ;   in Loop: Header=BB182_3 Depth=1
	s_and_b64 vcc, exec, s[8:9]
	s_cbranch_vccz .LBB182_40
; %bb.26:                               ;   in Loop: Header=BB182_3 Depth=1
	s_load_dword s8, s[22:23], 0x0
	v_mov_b32_e32 v49, 0
	s_waitcnt lgkmcnt(0)
	s_cmp_lt_u32 s6, s8
	s_cselect_b32 s8, 12, 18
	s_add_u32 s8, s22, s8
	s_addc_u32 s9, s23, 0
	global_load_ushort v3, v2, s[8:9]
	s_waitcnt vmcnt(0)
	v_mad_u32_u24 v3, v1, v3, v0
	v_and_b32_e32 v3, 63, v3
	v_cmp_gt_u32_e32 vcc, 8, v3
	s_and_saveexec_b64 s[8:9], vcc
	s_cbranch_execz .LBB182_30
; %bb.27:                               ;   in Loop: Header=BB182_3 Depth=1
	v_add_co_u32_e32 v3, vcc, v57, v3
	v_addc_co_u32_e32 v4, vcc, 0, v58, vcc
	v_add_co_u32_e32 v3, vcc, 0xffffff81, v3
	v_addc_co_u32_e32 v4, vcc, -1, v4, vcc
	v_cmp_gt_i64_e32 vcc, s[12:13], v[3:4]
	v_mov_b32_e32 v49, 0
	s_and_saveexec_b64 s[30:31], vcc
	s_cbranch_execz .LBB182_29
; %bb.28:                               ;   in Loop: Header=BB182_3 Depth=1
	v_lshlrev_b64 v[3:4], 2, v[3:4]
	v_mov_b32_e32 v5, s11
	v_add_co_u32_e32 v3, vcc, s10, v3
	v_addc_co_u32_e32 v4, vcc, v5, v4, vcc
	global_load_dword v49, v[3:4], off
.LBB182_29:                             ;   in Loop: Header=BB182_3 Depth=1
	s_or_b64 exec, exec, s[30:31]
.LBB182_30:                             ;   in Loop: Header=BB182_3 Depth=1
	s_or_b64 exec, exec, s[8:9]
	v_mov_b32_e32 v9, v2
	v_mov_b32_e32 v3, v2
	;; [unrolled: 1-line block ×23, first 2 shown]
	s_and_saveexec_b64 s[8:9], s[2:3]
	s_cbranch_execnz .LBB182_42
; %bb.31:                               ;   in Loop: Header=BB182_3 Depth=1
	s_or_b64 exec, exec, s[8:9]
	s_and_saveexec_b64 s[8:9], s[2:3]
	s_cbranch_execnz .LBB182_43
.LBB182_32:                             ;   in Loop: Header=BB182_3 Depth=1
	s_or_b64 exec, exec, s[8:9]
	s_and_saveexec_b64 s[8:9], s[2:3]
	s_cbranch_execnz .LBB182_44
.LBB182_33:                             ;   in Loop: Header=BB182_3 Depth=1
	s_or_b64 exec, exec, s[8:9]
	s_and_saveexec_b64 s[8:9], s[2:3]
	s_cbranch_execnz .LBB182_45
.LBB182_34:                             ;   in Loop: Header=BB182_3 Depth=1
	s_or_b64 exec, exec, s[8:9]
	s_and_saveexec_b64 s[8:9], s[2:3]
	s_cbranch_execnz .LBB182_46
.LBB182_35:                             ;   in Loop: Header=BB182_3 Depth=1
	s_or_b64 exec, exec, s[8:9]
	s_and_saveexec_b64 s[8:9], s[2:3]
	s_cbranch_execnz .LBB182_47
.LBB182_36:                             ;   in Loop: Header=BB182_3 Depth=1
	s_or_b64 exec, exec, s[8:9]
	s_and_saveexec_b64 s[8:9], s[2:3]
	s_cbranch_execnz .LBB182_48
.LBB182_37:                             ;   in Loop: Header=BB182_3 Depth=1
	s_or_b64 exec, exec, s[8:9]
	s_and_saveexec_b64 s[8:9], s[2:3]
	s_cbranch_execz .LBB182_39
.LBB182_38:                             ;   in Loop: Header=BB182_3 Depth=1
	v_add_co_u32_e32 v57, vcc, v26, v19
	v_addc_co_u32_e32 v58, vcc, v27, v20, vcc
	global_load_ushort v10, v[57:58], off
	v_add_co_u32_e32 v57, vcc, v28, v19
	v_addc_co_u32_e32 v58, vcc, v29, v20, vcc
	global_load_ushort v18, v[57:58], off
	s_waitcnt vmcnt(1)
	v_cvt_f32_f16_e32 v10, v10
	s_waitcnt vmcnt(0)
	v_cvt_f32_f16_e32 v18, v18
.LBB182_39:                             ;   in Loop: Header=BB182_3 Depth=1
	s_or_b64 exec, exec, s[8:9]
	s_waitcnt vmcnt(0)
	ds_bpermute_b32 v57, v55, v49
	ds_bpermute_b32 v58, v55, v49 offset:4
	v_mul_f32_e32 v3, v11, v3
	ds_bpermute_b32 v11, v55, v49 offset:8
	v_mul_f32_e32 v4, v12, v4
	s_waitcnt lgkmcnt(2)
	v_fmac_f32_e32 v56, v3, v57
	s_waitcnt lgkmcnt(1)
	v_fmac_f32_e32 v56, v4, v58
	ds_bpermute_b32 v3, v55, v49 offset:12
	v_mul_f32_e32 v4, v13, v5
	s_waitcnt lgkmcnt(1)
	v_fmac_f32_e32 v56, v4, v11
	ds_bpermute_b32 v4, v55, v49 offset:16
	v_mul_f32_e32 v5, v14, v6
	s_waitcnt lgkmcnt(1)
	v_fmac_f32_e32 v56, v5, v3
	v_mul_f32_e32 v3, v15, v7
	ds_bpermute_b32 v5, v55, v49 offset:20
	s_waitcnt lgkmcnt(1)
	v_fmac_f32_e32 v56, v3, v4
	ds_bpermute_b32 v4, v55, v49 offset:24
	ds_bpermute_b32 v3, v55, v49 offset:28
	v_mul_f32_e32 v6, v16, v8
	s_waitcnt lgkmcnt(2)
	v_fmac_f32_e32 v56, v6, v5
	v_mul_f32_e32 v5, v17, v9
	s_waitcnt lgkmcnt(1)
	v_fmac_f32_e32 v56, v5, v4
	v_mov_b32_e32 v49, v56
.LBB182_40:                             ;   in Loop: Header=BB182_3 Depth=1
	v_mul_f32_e32 v4, v10, v18
	s_waitcnt lgkmcnt(0)
	v_fmac_f32_e32 v49, v4, v3
	v_mov_b32_e32 v3, s25
	v_add_co_u32_e32 v22, vcc, s24, v22
	v_addc_co_u32_e32 v23, vcc, v23, v3, vcc
	v_add_co_u32_e32 v24, vcc, s24, v24
	v_addc_co_u32_e32 v25, vcc, v25, v3, vcc
	;; [unrolled: 2-line block ×15, first 2 shown]
	v_add_co_u32_e32 v53, vcc, s24, v53
	s_add_u32 s28, s28, s7
	v_addc_co_u32_e32 v54, vcc, v54, v3, vcc
	v_mov_b32_e32 v3, s12
	s_addc_u32 s29, s29, 0
	v_mov_b32_e32 v4, s13
	v_cmp_lt_i64_e32 vcc, s[28:29], v[3:4]
	s_add_u32 s26, s26, s7
	s_addc_u32 s27, s27, 0
	s_cbranch_vccz .LBB182_50
; %bb.41:                               ;   in Loop: Header=BB182_3 Depth=1
	v_mov_b32_e32 v56, v49
	s_branch .LBB182_3
.LBB182_42:                             ;   in Loop: Header=BB182_3 Depth=1
	v_add_co_u32_e32 v3, vcc, v22, v19
	v_addc_co_u32_e32 v4, vcc, v23, v20, vcc
	global_load_ushort v11, v[3:4], off
	v_add_co_u32_e32 v3, vcc, v24, v19
	v_addc_co_u32_e32 v4, vcc, v25, v20, vcc
	global_load_ushort v15, v[3:4], off
	v_mov_b32_e32 v4, v2
	v_mov_b32_e32 v5, v2
	;; [unrolled: 1-line block ×13, first 2 shown]
	s_waitcnt vmcnt(1)
	v_cvt_f32_f16_e32 v3, v11
	s_waitcnt vmcnt(0)
	v_cvt_f32_f16_e32 v11, v15
	v_mov_b32_e32 v15, v2
	s_or_b64 exec, exec, s[8:9]
	s_and_saveexec_b64 s[8:9], s[2:3]
	s_cbranch_execz .LBB182_32
.LBB182_43:                             ;   in Loop: Header=BB182_3 Depth=1
	v_add_co_u32_e32 v57, vcc, v51, v19
	v_addc_co_u32_e32 v58, vcc, v52, v20, vcc
	global_load_ushort v4, v[57:58], off
	v_add_co_u32_e32 v57, vcc, v53, v19
	v_addc_co_u32_e32 v58, vcc, v54, v20, vcc
	global_load_ushort v12, v[57:58], off
	s_waitcnt vmcnt(1)
	v_cvt_f32_f16_e32 v4, v4
	s_waitcnt vmcnt(0)
	v_cvt_f32_f16_e32 v12, v12
	s_or_b64 exec, exec, s[8:9]
	s_and_saveexec_b64 s[8:9], s[2:3]
	s_cbranch_execz .LBB182_33
.LBB182_44:                             ;   in Loop: Header=BB182_3 Depth=1
	v_add_co_u32_e32 v57, vcc, v46, v19
	v_addc_co_u32_e32 v58, vcc, v47, v20, vcc
	global_load_ushort v5, v[57:58], off
	v_add_co_u32_e32 v57, vcc, v48, v19
	v_addc_co_u32_e32 v58, vcc, v50, v20, vcc
	global_load_ushort v13, v[57:58], off
	s_waitcnt vmcnt(1)
	v_cvt_f32_f16_e32 v5, v5
	s_waitcnt vmcnt(0)
	v_cvt_f32_f16_e32 v13, v13
	s_or_b64 exec, exec, s[8:9]
	s_and_saveexec_b64 s[8:9], s[2:3]
	s_cbranch_execz .LBB182_34
.LBB182_45:                             ;   in Loop: Header=BB182_3 Depth=1
	v_add_co_u32_e32 v57, vcc, v42, v19
	v_addc_co_u32_e32 v58, vcc, v43, v20, vcc
	global_load_ushort v6, v[57:58], off
	v_add_co_u32_e32 v57, vcc, v44, v19
	v_addc_co_u32_e32 v58, vcc, v45, v20, vcc
	global_load_ushort v14, v[57:58], off
	s_waitcnt vmcnt(1)
	v_cvt_f32_f16_e32 v6, v6
	s_waitcnt vmcnt(0)
	v_cvt_f32_f16_e32 v14, v14
	s_or_b64 exec, exec, s[8:9]
	s_and_saveexec_b64 s[8:9], s[2:3]
	s_cbranch_execz .LBB182_35
.LBB182_46:                             ;   in Loop: Header=BB182_3 Depth=1
	v_add_co_u32_e32 v57, vcc, v38, v19
	v_addc_co_u32_e32 v58, vcc, v39, v20, vcc
	global_load_ushort v7, v[57:58], off
	v_add_co_u32_e32 v57, vcc, v40, v19
	v_addc_co_u32_e32 v58, vcc, v41, v20, vcc
	global_load_ushort v15, v[57:58], off
	s_waitcnt vmcnt(1)
	v_cvt_f32_f16_e32 v7, v7
	s_waitcnt vmcnt(0)
	v_cvt_f32_f16_e32 v15, v15
	s_or_b64 exec, exec, s[8:9]
	s_and_saveexec_b64 s[8:9], s[2:3]
	s_cbranch_execz .LBB182_36
.LBB182_47:                             ;   in Loop: Header=BB182_3 Depth=1
	v_add_co_u32_e32 v57, vcc, v34, v19
	v_addc_co_u32_e32 v58, vcc, v35, v20, vcc
	global_load_ushort v8, v[57:58], off
	v_add_co_u32_e32 v57, vcc, v36, v19
	v_addc_co_u32_e32 v58, vcc, v37, v20, vcc
	global_load_ushort v16, v[57:58], off
	s_waitcnt vmcnt(1)
	v_cvt_f32_f16_e32 v8, v8
	s_waitcnt vmcnt(0)
	v_cvt_f32_f16_e32 v16, v16
	s_or_b64 exec, exec, s[8:9]
	s_and_saveexec_b64 s[8:9], s[2:3]
	s_cbranch_execz .LBB182_37
.LBB182_48:                             ;   in Loop: Header=BB182_3 Depth=1
	v_add_co_u32_e32 v57, vcc, v30, v19
	v_addc_co_u32_e32 v58, vcc, v31, v20, vcc
	global_load_ushort v9, v[57:58], off
	v_add_co_u32_e32 v57, vcc, v32, v19
	v_addc_co_u32_e32 v58, vcc, v33, v20, vcc
	global_load_ushort v17, v[57:58], off
	s_waitcnt vmcnt(1)
	v_cvt_f32_f16_e32 v9, v9
	s_waitcnt vmcnt(0)
	v_cvt_f32_f16_e32 v17, v17
	s_or_b64 exec, exec, s[8:9]
	s_and_saveexec_b64 s[8:9], s[2:3]
	s_cbranch_execnz .LBB182_38
	s_branch .LBB182_39
.LBB182_49:
                                        ; implicit-def: $vgpr49
	s_branch .LBB182_51
.LBB182_50:
	s_cbranch_execnz .LBB182_83
.LBB182_51:
	s_and_b64 vcc, exec, s[0:1]
	v_mov_b32_e32 v49, 0
	s_cbranch_vccnz .LBB182_83
; %bb.52:
	v_lshlrev_b32_e32 v50, 3, v1
	v_add_co_u32_e32 v6, vcc, s20, v50
	v_addc_co_u32_e64 v7, s[0:1], 0, 0, vcc
	s_load_dword s7, s[4:5], 0x44
	v_mul_lo_u32 v2, s15, v6
	v_mul_lo_u32 v3, s14, v7
	v_mad_u64_u32 v[4:5], s[0:1], s14, v6, 0
	s_add_u32 s2, s4, 64
	s_addc_u32 s3, s5, 0
	v_add3_u32 v5, v5, v3, v2
	s_waitcnt lgkmcnt(0)
	s_lshl_b32 s7, s7, 7
	v_lshlrev_b64 v[2:3], 1, v[4:5]
	s_mul_i32 s0, s15, s7
	s_mul_hi_u32 s1, s14, s7
	v_mov_b32_e32 v8, s17
	v_add_co_u32_e32 v51, vcc, s16, v2
	s_add_i32 s1, s1, s0
	s_mul_i32 s0, s14, s7
	v_addc_co_u32_e32 v52, vcc, v8, v3, vcc
	s_lshl_b64 s[8:9], s[0:1], 1
	v_mov_b32_e32 v8, s19
	v_add_co_u32_e32 v53, vcc, s18, v2
	s_add_u32 s22, s20, 0x7f
	v_addc_co_u32_e32 v54, vcc, v8, v3, vcc
	s_addc_u32 s23, 0, 0
	v_lshlrev_b32_e32 v2, 4, v1
	s_lshl_b64 s[0:1], s[20:21], 1
	v_mov_b32_e32 v3, s1
	v_add_co_u32_e32 v8, vcc, s0, v2
	v_addc_co_u32_e32 v9, vcc, 0, v3, vcc
	v_add_co_u32_e32 v12, vcc, 2, v8
	v_addc_co_u32_e32 v10, vcc, 0, v9, vcc
	v_mov_b32_e32 v2, s16
	v_mul_lo_u32 v14, s14, v10
	v_mov_b32_e32 v10, s18
	v_mov_b32_e32 v3, s17
	;; [unrolled: 1-line block ×3, first 2 shown]
	v_mad_u64_u32 v[19:20], s[0:1], s14, v12, v[2:3]
	v_mul_lo_u32 v15, s15, v12
	v_mad_u64_u32 v[21:22], s[0:1], s14, v12, v[10:11]
	v_add_co_u32_e32 v12, vcc, 4, v8
	v_addc_co_u32_e32 v16, vcc, 0, v9, vcc
	v_mov_b32_e32 v13, s15
	v_add_co_u32_e32 v4, vcc, s14, v4
	v_addc_co_u32_e32 v5, vcc, v5, v13, vcc
	v_mul_lo_u32 v17, s15, v12
	v_mad_u64_u32 v[23:24], s[0:1], s14, v12, v[2:3]
	v_mad_u64_u32 v[25:26], s[0:1], s14, v12, v[10:11]
	v_add_co_u32_e32 v12, vcc, 6, v8
	v_addc_co_u32_e32 v13, vcc, 0, v9, vcc
	v_add3_u32 v20, v15, v20, v14
	v_add3_u32 v22, v15, v22, v14
	v_mul_lo_u32 v13, s14, v13
	v_mul_lo_u32 v14, s15, v12
	v_mad_u64_u32 v[27:28], s[0:1], s14, v12, v[2:3]
	v_mad_u64_u32 v[29:30], s[0:1], s14, v12, v[10:11]
	v_add_co_u32_e32 v12, vcc, 8, v8
	v_mul_lo_u32 v16, s14, v16
	v_addc_co_u32_e32 v15, vcc, 0, v9, vcc
	v_mul_lo_u32 v18, s15, v12
	v_mad_u64_u32 v[31:32], s[0:1], s14, v12, v[2:3]
	v_mad_u64_u32 v[33:34], s[0:1], s14, v12, v[10:11]
	v_add_co_u32_e32 v12, vcc, 10, v8
	v_add3_u32 v28, v14, v28, v13
	v_add3_u32 v30, v14, v30, v13
	v_addc_co_u32_e32 v13, vcc, 0, v9, vcc
	v_mul_lo_u32 v14, s15, v12
	v_mad_u64_u32 v[35:36], s[0:1], s14, v12, v[2:3]
	v_mad_u64_u32 v[37:38], s[0:1], s14, v12, v[10:11]
	v_add_co_u32_e32 v12, vcc, 12, v8
	v_add3_u32 v24, v17, v24, v16
	v_add3_u32 v26, v17, v26, v16
	v_addc_co_u32_e32 v16, vcc, 0, v9, vcc
	v_add_co_u32_e32 v8, vcc, 14, v8
	v_addc_co_u32_e32 v9, vcc, 0, v9, vcc
	v_mad_u64_u32 v[39:40], s[0:1], s14, v12, v[2:3]
	v_mad_u64_u32 v[43:44], s[0:1], s14, v8, v[2:3]
	v_add_co_u32_e32 v2, vcc, 7, v6
	v_addc_co_u32_e32 v3, vcc, 0, v7, vcc
	v_mad_u64_u32 v[41:42], s[0:1], s14, v12, v[10:11]
	v_mad_u64_u32 v[45:46], s[0:1], s14, v8, v[10:11]
	v_mul_lo_u32 v10, s14, v3
	v_mul_lo_u32 v11, s15, v2
	v_mad_u64_u32 v[2:3], s[0:1], s14, v2, 0
	v_mul_lo_u32 v9, s14, v9
	v_mul_lo_u32 v8, s15, v8
	v_add3_u32 v3, v3, v10, v11
	v_lshlrev_b64 v[2:3], 1, v[2:3]
	v_mul_lo_u32 v17, s15, v12
	v_add3_u32 v44, v8, v44, v9
	v_add3_u32 v46, v8, v46, v9
	v_mov_b32_e32 v8, s17
	v_add_co_u32_e32 v55, vcc, s16, v2
	v_addc_co_u32_e32 v56, vcc, v8, v3, vcc
	v_add_co_u32_e32 v8, vcc, 6, v6
	v_addc_co_u32_e32 v9, vcc, 0, v7, vcc
	v_mul_lo_u32 v11, s14, v9
	v_mul_lo_u32 v12, s15, v8
	v_mad_u64_u32 v[8:9], s[0:1], s14, v8, 0
	v_mov_b32_e32 v10, s19
	v_add_co_u32_e32 v57, vcc, s18, v2
	v_add3_u32 v9, v9, v11, v12
	v_addc_co_u32_e32 v58, vcc, v10, v3, vcc
	v_lshlrev_b64 v[2:3], 1, v[8:9]
	v_mov_b32_e32 v8, s17
	v_add_co_u32_e32 v59, vcc, s16, v2
	v_addc_co_u32_e32 v60, vcc, v8, v3, vcc
	v_add_co_u32_e32 v8, vcc, 5, v6
	v_addc_co_u32_e32 v9, vcc, 0, v7, vcc
	v_mul_lo_u32 v11, s14, v9
	v_mul_lo_u32 v12, s15, v8
	v_mad_u64_u32 v[8:9], s[0:1], s14, v8, 0
	v_add_co_u32_e32 v61, vcc, s18, v2
	v_add3_u32 v9, v9, v11, v12
	v_addc_co_u32_e32 v62, vcc, v10, v3, vcc
	v_lshlrev_b64 v[2:3], 1, v[8:9]
	v_mov_b32_e32 v8, s17
	v_add_co_u32_e32 v63, vcc, s16, v2
	v_addc_co_u32_e32 v64, vcc, v8, v3, vcc
	v_add_co_u32_e32 v8, vcc, 4, v6
	v_addc_co_u32_e32 v9, vcc, 0, v7, vcc
	v_mul_lo_u32 v11, s14, v9
	v_mul_lo_u32 v12, s15, v8
	v_mad_u64_u32 v[8:9], s[0:1], s14, v8, 0
	;; [unrolled: 12-line block ×4, first 2 shown]
	v_mov_b32_e32 v8, s19
	v_add_co_u32_e32 v73, vcc, s18, v2
	v_add3_u32 v7, v7, v9, v10
	v_addc_co_u32_e32 v74, vcc, v8, v3, vcc
	v_lshlrev_b64 v[2:3], 1, v[6:7]
	v_mov_b32_e32 v6, s17
	v_add_co_u32_e32 v75, vcc, s16, v2
	v_addc_co_u32_e32 v76, vcc, v6, v3, vcc
	v_mov_b32_e32 v6, s19
	v_add_co_u32_e32 v77, vcc, s18, v2
	v_addc_co_u32_e32 v78, vcc, v6, v3, vcc
	v_lshlrev_b64 v[2:3], 1, v[4:5]
	v_mov_b32_e32 v4, s17
	v_add_co_u32_e32 v79, vcc, s16, v2
	v_addc_co_u32_e32 v80, vcc, v4, v3, vcc
	v_mov_b32_e32 v4, s19
	v_add_co_u32_e32 v81, vcc, s18, v2
	v_mov_b32_e32 v2, 0
	v_mul_lo_u32 v15, s14, v15
	v_mul_lo_u32 v13, s14, v13
	v_mul_lo_u32 v16, s14, v16
	v_addc_co_u32_e32 v82, vcc, v4, v3, vcc
	v_add_u32_e32 v3, s33, v0
	v_mov_b32_e32 v4, v2
	v_lshlrev_b64 v[47:48], 1, v[3:4]
	v_mbcnt_lo_u32_b32 v3, -1, 0
	v_mbcnt_hi_u32_b32 v3, -1, v3
	v_lshlrev_b32_e32 v3, 2, v3
	v_add3_u32 v32, v18, v32, v15
	v_add3_u32 v34, v18, v34, v15
	;; [unrolled: 1-line block ×6, first 2 shown]
	v_and_b32_e32 v83, 0x100, v3
	v_mov_b32_e32 v84, 0
.LBB182_53:                             ; =>This Inner Loop Header: Depth=1
	v_mov_b32_e32 v3, s12
	v_mov_b32_e32 v4, s13
	v_cmp_ge_i64_e32 vcc, s[22:23], v[3:4]
	v_mov_b32_e32 v3, s23
	v_add_co_u32_e64 v85, s[0:1], s22, v50
	v_addc_co_u32_e64 v86, s[0:1], 0, v3, s[0:1]
	s_mov_b64 s[0:1], -1
                                        ; implicit-def: $vgpr49
	s_cbranch_vccz .LBB182_75
; %bb.54:                               ;   in Loop: Header=BB182_53 Depth=1
	s_load_dword s0, s[2:3], 0xc
	v_mov_b32_e32 v87, 0
	s_waitcnt lgkmcnt(0)
	s_and_b32 s0, s0, 0xffff
	v_mad_u32_u24 v3, v1, s0, v0
	v_and_b32_e32 v3, 63, v3
	v_cmp_gt_u32_e32 vcc, 8, v3
	s_and_saveexec_b64 s[0:1], vcc
	s_cbranch_execz .LBB182_58
; %bb.55:                               ;   in Loop: Header=BB182_53 Depth=1
	v_add_co_u32_e32 v3, vcc, v85, v3
	v_addc_co_u32_e32 v4, vcc, 0, v86, vcc
	v_add_co_u32_e32 v3, vcc, 0xffffff81, v3
	v_addc_co_u32_e32 v4, vcc, -1, v4, vcc
	v_cmp_gt_i64_e32 vcc, s[12:13], v[3:4]
	v_mov_b32_e32 v87, 0
	s_and_saveexec_b64 s[16:17], vcc
	s_cbranch_execz .LBB182_57
; %bb.56:                               ;   in Loop: Header=BB182_53 Depth=1
	v_lshlrev_b64 v[3:4], 2, v[3:4]
	v_mov_b32_e32 v5, s11
	v_add_co_u32_e32 v3, vcc, s10, v3
	v_addc_co_u32_e32 v4, vcc, v5, v4, vcc
	global_load_dword v87, v[3:4], off
.LBB182_57:                             ;   in Loop: Header=BB182_53 Depth=1
	s_or_b64 exec, exec, s[16:17]
.LBB182_58:                             ;   in Loop: Header=BB182_53 Depth=1
	s_or_b64 exec, exec, s[0:1]
	v_add_co_u32_e32 v3, vcc, 0xffffff81, v85
	v_addc_co_u32_e32 v4, vcc, -1, v86, vcc
	v_mov_b32_e32 v9, v2
	v_cmp_gt_i64_e32 vcc, s[12:13], v[3:4]
	v_mov_b32_e32 v3, v2
	v_mov_b32_e32 v4, v2
	;; [unrolled: 1-line block ×22, first 2 shown]
	s_and_saveexec_b64 s[0:1], vcc
	s_cbranch_execz .LBB182_60
; %bb.59:                               ;   in Loop: Header=BB182_53 Depth=1
	v_add_co_u32_e32 v3, vcc, v51, v47
	v_addc_co_u32_e32 v4, vcc, v52, v48, vcc
	global_load_ushort v11, v[3:4], off
	v_add_co_u32_e32 v3, vcc, v53, v47
	v_addc_co_u32_e32 v4, vcc, v54, v48, vcc
	global_load_ushort v15, v[3:4], off
	v_mov_b32_e32 v4, v2
	v_mov_b32_e32 v5, v2
	;; [unrolled: 1-line block ×13, first 2 shown]
	s_waitcnt vmcnt(1)
	v_cvt_f32_f16_e32 v3, v11
	s_waitcnt vmcnt(0)
	v_cvt_f32_f16_e32 v11, v15
	v_mov_b32_e32 v15, v2
.LBB182_60:                             ;   in Loop: Header=BB182_53 Depth=1
	s_or_b64 exec, exec, s[0:1]
	v_add_co_u32_e32 v88, vcc, 0xffffff82, v85
	v_addc_co_u32_e32 v89, vcc, -1, v86, vcc
	v_cmp_gt_i64_e32 vcc, s[12:13], v[88:89]
	s_and_saveexec_b64 s[0:1], vcc
	s_cbranch_execz .LBB182_62
; %bb.61:                               ;   in Loop: Header=BB182_53 Depth=1
	v_add_co_u32_e32 v88, vcc, v79, v47
	v_addc_co_u32_e32 v89, vcc, v80, v48, vcc
	global_load_ushort v4, v[88:89], off
	v_add_co_u32_e32 v88, vcc, v81, v47
	v_addc_co_u32_e32 v89, vcc, v82, v48, vcc
	global_load_ushort v12, v[88:89], off
	s_waitcnt vmcnt(1)
	v_cvt_f32_f16_e32 v4, v4
	s_waitcnt vmcnt(0)
	v_cvt_f32_f16_e32 v12, v12
.LBB182_62:                             ;   in Loop: Header=BB182_53 Depth=1
	s_or_b64 exec, exec, s[0:1]
	v_add_co_u32_e32 v88, vcc, 0xffffff83, v85
	v_addc_co_u32_e32 v89, vcc, -1, v86, vcc
	v_cmp_gt_i64_e32 vcc, s[12:13], v[88:89]
	s_and_saveexec_b64 s[0:1], vcc
	s_cbranch_execz .LBB182_64
; %bb.63:                               ;   in Loop: Header=BB182_53 Depth=1
	v_add_co_u32_e32 v88, vcc, v75, v47
	v_addc_co_u32_e32 v89, vcc, v76, v48, vcc
	global_load_ushort v5, v[88:89], off
	v_add_co_u32_e32 v88, vcc, v77, v47
	v_addc_co_u32_e32 v89, vcc, v78, v48, vcc
	global_load_ushort v13, v[88:89], off
	s_waitcnt vmcnt(1)
	v_cvt_f32_f16_e32 v5, v5
	s_waitcnt vmcnt(0)
	v_cvt_f32_f16_e32 v13, v13
.LBB182_64:                             ;   in Loop: Header=BB182_53 Depth=1
	;; [unrolled: 18-line block ×7, first 2 shown]
	s_or_b64 exec, exec, s[0:1]
	s_waitcnt vmcnt(0)
	ds_bpermute_b32 v49, v83, v87
	ds_bpermute_b32 v88, v83, v87 offset:4
	v_mul_f32_e32 v3, v11, v3
	ds_bpermute_b32 v11, v83, v87 offset:8
	v_mul_f32_e32 v4, v12, v4
	s_waitcnt lgkmcnt(2)
	v_fma_f32 v49, v3, v49, v84
	s_waitcnt lgkmcnt(1)
	v_fmac_f32_e32 v49, v4, v88
	ds_bpermute_b32 v3, v83, v87 offset:12
	v_mul_f32_e32 v4, v13, v5
	s_waitcnt lgkmcnt(1)
	v_fmac_f32_e32 v49, v4, v11
	ds_bpermute_b32 v4, v83, v87 offset:16
	v_mul_f32_e32 v5, v14, v6
	s_waitcnt lgkmcnt(1)
	v_fmac_f32_e32 v49, v5, v3
	v_mul_f32_e32 v3, v15, v7
	ds_bpermute_b32 v5, v83, v87 offset:20
	s_waitcnt lgkmcnt(1)
	v_fmac_f32_e32 v49, v3, v4
	ds_bpermute_b32 v3, v83, v87 offset:24
	ds_bpermute_b32 v6, v83, v87 offset:28
	v_mul_f32_e32 v4, v16, v8
	s_waitcnt lgkmcnt(2)
	v_fmac_f32_e32 v49, v4, v5
	v_mul_f32_e32 v4, v17, v9
	s_waitcnt lgkmcnt(1)
	v_fmac_f32_e32 v49, v4, v3
	;; [unrolled: 3-line block ×3, first 2 shown]
	s_mov_b64 s[0:1], 0
.LBB182_75:                             ;   in Loop: Header=BB182_53 Depth=1
	s_and_b64 vcc, exec, s[0:1]
	s_cbranch_vccz .LBB182_81
; %bb.76:                               ;   in Loop: Header=BB182_53 Depth=1
	s_load_dword s0, s[2:3], 0x0
	v_mov_b32_e32 v5, 0
	s_waitcnt lgkmcnt(0)
	s_cmp_lt_u32 s6, s0
	s_cselect_b32 s0, 12, 18
	s_add_u32 s0, s2, s0
	s_addc_u32 s1, s3, 0
	global_load_ushort v3, v2, s[0:1]
	s_waitcnt vmcnt(0)
	v_mad_u32_u24 v3, v1, v3, v0
	v_and_b32_e32 v3, 63, v3
	v_cmp_gt_u32_e32 vcc, 8, v3
	s_and_saveexec_b64 s[0:1], vcc
	s_cbranch_execz .LBB182_80
; %bb.77:                               ;   in Loop: Header=BB182_53 Depth=1
	v_add_co_u32_e32 v3, vcc, v85, v3
	v_addc_co_u32_e32 v4, vcc, 0, v86, vcc
	v_add_co_u32_e32 v3, vcc, 0xffffff81, v3
	v_addc_co_u32_e32 v4, vcc, -1, v4, vcc
	v_cmp_gt_i64_e32 vcc, s[12:13], v[3:4]
	v_mov_b32_e32 v5, 0
	s_and_saveexec_b64 s[16:17], vcc
	s_cbranch_execz .LBB182_79
; %bb.78:                               ;   in Loop: Header=BB182_53 Depth=1
	v_lshlrev_b64 v[3:4], 2, v[3:4]
	v_mov_b32_e32 v5, s11
	v_add_co_u32_e32 v3, vcc, s10, v3
	v_addc_co_u32_e32 v4, vcc, v5, v4, vcc
	global_load_dword v5, v[3:4], off
.LBB182_79:                             ;   in Loop: Header=BB182_53 Depth=1
	s_or_b64 exec, exec, s[16:17]
.LBB182_80:                             ;   in Loop: Header=BB182_53 Depth=1
	s_or_b64 exec, exec, s[0:1]
	v_add_co_u32_e32 v3, vcc, v51, v47
	v_addc_co_u32_e32 v4, vcc, v52, v48, vcc
	global_load_ushort v6, v[3:4], off
	v_add_co_u32_e32 v3, vcc, v53, v47
	v_addc_co_u32_e32 v4, vcc, v54, v48, vcc
	global_load_ushort v7, v[3:4], off
	;; [unrolled: 3-line block ×16, first 2 shown]
	s_waitcnt vmcnt(16)
	ds_bpermute_b32 v86, v83, v5 offset:4
	s_waitcnt vmcnt(15)
	v_cvt_f32_f16_e32 v4, v6
	s_waitcnt vmcnt(14)
	v_cvt_f32_f16_e32 v6, v7
	v_mul_f32_e32 v4, v4, v6
	s_waitcnt vmcnt(13)
	v_cvt_f32_f16_e32 v7, v8
	s_waitcnt vmcnt(12)
	v_cvt_f32_f16_e32 v8, v9
	v_mul_f32_e32 v6, v7, v8
	;; [unrolled: 5-line block ×3, first 2 shown]
	s_waitcnt vmcnt(9)
	v_cvt_f32_f16_e32 v11, v12
	s_waitcnt vmcnt(8)
	v_cvt_f32_f16_e32 v12, v13
	;; [unrolled: 2-line block ×8, first 2 shown]
	ds_bpermute_b32 v49, v83, v5
	s_waitcnt vmcnt(1)
	v_cvt_f32_f16_e32 v85, v85
	s_waitcnt lgkmcnt(0)
	v_fmac_f32_e32 v84, v4, v49
	ds_bpermute_b32 v4, v83, v5 offset:8
	v_fmac_f32_e32 v84, v6, v86
	ds_bpermute_b32 v6, v83, v5 offset:12
	s_waitcnt vmcnt(0)
	v_cvt_f32_f16_e32 v3, v3
	s_waitcnt lgkmcnt(1)
	v_fmac_f32_e32 v84, v7, v4
	ds_bpermute_b32 v4, v83, v5 offset:16
	v_mul_f32_e32 v7, v11, v12
	s_waitcnt lgkmcnt(1)
	v_fmac_f32_e32 v84, v7, v6
	v_mul_f32_e32 v6, v13, v14
	ds_bpermute_b32 v7, v83, v5 offset:20
	s_waitcnt lgkmcnt(1)
	v_fmac_f32_e32 v84, v6, v4
	ds_bpermute_b32 v4, v83, v5 offset:24
	ds_bpermute_b32 v5, v83, v5 offset:28
	v_mul_f32_e32 v6, v15, v16
	s_waitcnt lgkmcnt(2)
	v_fmac_f32_e32 v84, v6, v7
	v_mul_f32_e32 v6, v17, v18
	s_waitcnt lgkmcnt(1)
	v_fmac_f32_e32 v84, v6, v4
	;; [unrolled: 3-line block ×3, first 2 shown]
	v_mov_b32_e32 v49, v84
.LBB182_81:                             ;   in Loop: Header=BB182_53 Depth=1
	v_mov_b32_e32 v5, s9
	v_add_co_u32_e32 v51, vcc, s8, v51
	v_addc_co_u32_e32 v52, vcc, v52, v5, vcc
	v_add_co_u32_e32 v53, vcc, s8, v53
	v_addc_co_u32_e32 v54, vcc, v54, v5, vcc
	;; [unrolled: 2-line block ×28, first 2 shown]
	s_add_u32 s20, s20, s7
	v_add_co_u32_e32 v79, vcc, s8, v79
	v_mov_b32_e32 v3, s12
	s_addc_u32 s21, s21, 0
	v_addc_co_u32_e32 v80, vcc, v80, v5, vcc
	v_mov_b32_e32 v4, s13
	v_cmp_ge_i64_e32 vcc, s[20:21], v[3:4]
	s_add_u32 s22, s22, s7
	v_add_co_u32_e64 v81, s[0:1], s8, v81
	s_addc_u32 s23, s23, 0
	v_addc_co_u32_e64 v82, s[0:1], v82, v5, s[0:1]
	s_cbranch_vccnz .LBB182_83
; %bb.82:                               ;   in Loop: Header=BB182_53 Depth=1
	v_mov_b32_e32 v84, v49
	s_branch .LBB182_53
.LBB182_83:
	v_mad_u32_u24 v2, v1, 33, v0
	v_lshl_add_u32 v3, v2, 2, 0
	v_mov_b32_e32 v4, 0
	ds_write_b32 v3, v4 offset:2112
	v_sub_u32_e32 v4, v2, v1
	s_movk_i32 s0, 0x800
	v_cmp_gt_u32_e32 vcc, s0, v4
	ds_write_b32 v3, v49
	s_waitcnt lgkmcnt(0)
	s_barrier
	s_and_saveexec_b64 s[0:1], vcc
	s_cbranch_execz .LBB182_103
; %bb.84:
	s_load_dwordx2 s[4:5], s[4:5], 0x30
	v_and_b32_e32 v1, 63, v4
	v_lshrrev_b32_e32 v2, 6, v4
	v_cmp_gt_u32_e32 vcc, 16, v1
	v_mul_u32_u24_e32 v3, 33, v1
                                        ; implicit-def: $vgpr1
	s_and_saveexec_b64 s[0:1], vcc
; %bb.85:
	v_lshlrev_b32_e32 v1, 2, v2
	v_lshlrev_b32_e32 v5, 2, v3
	v_add3_u32 v1, 0, v1, v5
	ds_read_b32 v1, v1
; %bb.86:
	s_or_b64 exec, exec, s[0:1]
	v_mbcnt_lo_u32_b32 v5, -1, 0
	v_mbcnt_hi_u32_b32 v8, -1, v5
	v_and_b32_e32 v5, 64, v8
	v_add_u32_e32 v9, 64, v5
	v_xor_b32_e32 v5, 8, v8
	v_cmp_lt_i32_e64 s[0:1], v5, v9
	v_cndmask_b32_e64 v5, v8, v5, s[0:1]
	v_lshlrev_b32_e32 v5, 2, v5
	s_waitcnt lgkmcnt(0)
	ds_bpermute_b32 v6, v5, v1
	v_xor_b32_e32 v7, 4, v8
	v_cmp_lt_i32_e64 s[0:1], v7, v9
	v_xor_b32_e32 v10, 2, v8
	s_mov_b32 s7, 0
	s_waitcnt lgkmcnt(0)
	v_add_f32_e32 v1, v1, v6
	v_cndmask_b32_e64 v6, v8, v7, s[0:1]
	v_lshlrev_b32_e32 v6, 2, v6
	ds_bpermute_b32 v7, v6, v1
	v_cmp_lt_i32_e64 s[0:1], v10, v9
	s_lshl_b64 s[6:7], s[6:7], 5
	s_cmp_eq_u64 s[4:5], 0
	s_cselect_b64 s[8:9], -1, 0
	s_waitcnt lgkmcnt(0)
	v_add_f32_e32 v1, v1, v7
	v_cndmask_b32_e64 v7, v8, v10, s[0:1]
	v_lshlrev_b32_e32 v7, 2, v7
	ds_bpermute_b32 v10, v7, v1
	v_cmp_ne_u32_e64 s[0:1], 0, v0
	v_xor_b32_e32 v0, 1, v8
	v_cmp_lt_i32_e64 s[2:3], v0, v9
	v_cndmask_b32_e64 v0, v8, v0, s[2:3]
	s_waitcnt lgkmcnt(0)
	v_add_f32_e32 v10, v1, v10
	v_lshlrev_b32_e32 v8, 2, v0
	ds_bpermute_b32 v9, v8, v10
	v_or_b32_e32 v0, s6, v2
	v_mov_b32_e32 v1, s7
	v_cmp_le_i64_e64 s[2:3], s[14:15], v[0:1]
	s_or_b64 s[2:3], s[0:1], s[2:3]
	s_waitcnt lgkmcnt(0)
	v_add_f32_e32 v9, v10, v9
	s_nor_b64 s[2:3], s[8:9], s[2:3]
	s_and_saveexec_b64 s[10:11], s[2:3]
	s_cbranch_execz .LBB182_88
; %bb.87:
	v_lshlrev_b64 v[0:1], 1, v[0:1]
	v_cvt_f16_f32_e32 v11, v9
	v_mov_b32_e32 v10, s5
	v_add_co_u32_e64 v0, s[2:3], s4, v0
	v_addc_co_u32_e64 v1, s[2:3], v10, v1, s[2:3]
	global_store_short v[0:1], v11, off
.LBB182_88:
	s_or_b64 exec, exec, s[10:11]
	s_movk_i32 s2, 0x600
	v_cmp_gt_u32_e64 s[2:3], s2, v4
	s_and_b64 exec, exec, s[2:3]
	s_cbranch_execz .LBB182_103
; %bb.89:
	s_and_saveexec_b64 s[2:3], vcc
; %bb.90:
	v_lshlrev_b32_e32 v0, 2, v2
	v_lshlrev_b32_e32 v1, 2, v3
	v_add3_u32 v0, 0, v0, v1
	ds_read_b32 v9, v0 offset:32
; %bb.91:
	s_or_b64 exec, exec, s[2:3]
	s_waitcnt lgkmcnt(0)
	ds_bpermute_b32 v0, v5, v9
	v_mov_b32_e32 v10, s7
	s_waitcnt lgkmcnt(0)
	v_add_f32_e32 v0, v9, v0
	ds_bpermute_b32 v1, v6, v0
	v_add_u32_e32 v9, 8, v2
	s_waitcnt lgkmcnt(0)
	v_add_f32_e32 v0, v0, v1
	ds_bpermute_b32 v1, v7, v0
	s_waitcnt lgkmcnt(0)
	v_add_f32_e32 v11, v0, v1
	ds_bpermute_b32 v12, v8, v11
	v_add_co_u32_e64 v0, s[2:3], s6, v9
	v_addc_co_u32_e64 v1, s[2:3], 0, v10, s[2:3]
	v_cmp_le_i64_e64 s[2:3], s[14:15], v[0:1]
	s_waitcnt lgkmcnt(0)
	v_add_f32_e32 v0, v11, v12
	s_or_b64 s[2:3], s[0:1], s[2:3]
	s_nor_b64 s[2:3], s[8:9], s[2:3]
	s_and_saveexec_b64 s[10:11], s[2:3]
	s_cbranch_execz .LBB182_93
; %bb.92:
	v_mov_b32_e32 v1, s7
	v_add_co_u32_e64 v9, s[2:3], s6, v2
	v_addc_co_u32_e64 v10, s[2:3], 0, v1, s[2:3]
	v_lshlrev_b64 v[9:10], 1, v[9:10]
	v_cvt_f16_f32_e32 v11, v0
	v_mov_b32_e32 v1, s5
	v_add_co_u32_e64 v9, s[2:3], s4, v9
	v_addc_co_u32_e64 v10, s[2:3], v1, v10, s[2:3]
	global_store_short v[9:10], v11, off offset:16
.LBB182_93:
	s_or_b64 exec, exec, s[10:11]
	s_movk_i32 s2, 0x400
	v_cmp_gt_u32_e64 s[2:3], s2, v4
	s_and_b64 exec, exec, s[2:3]
	s_cbranch_execz .LBB182_103
; %bb.94:
	s_and_saveexec_b64 s[2:3], vcc
; %bb.95:
	v_lshlrev_b32_e32 v0, 2, v2
	v_lshlrev_b32_e32 v1, 2, v3
	v_add3_u32 v0, 0, v0, v1
	ds_read_b32 v0, v0 offset:64
; %bb.96:
	s_or_b64 exec, exec, s[2:3]
	s_waitcnt lgkmcnt(0)
	ds_bpermute_b32 v1, v5, v0
	v_add_u32_e32 v10, 16, v2
	s_waitcnt lgkmcnt(0)
	v_add_f32_e32 v0, v0, v1
	ds_bpermute_b32 v1, v6, v0
	s_waitcnt lgkmcnt(0)
	v_add_f32_e32 v0, v0, v1
	ds_bpermute_b32 v9, v7, v0
	v_mov_b32_e32 v1, s7
	s_waitcnt lgkmcnt(0)
	v_add_f32_e32 v9, v0, v9
	ds_bpermute_b32 v11, v8, v9
	v_or_b32_e32 v0, s6, v10
	v_cmp_le_i64_e64 s[2:3], s[14:15], v[0:1]
	s_or_b64 s[2:3], s[0:1], s[2:3]
	s_waitcnt lgkmcnt(0)
	v_add_f32_e32 v0, v9, v11
	s_nor_b64 s[2:3], s[8:9], s[2:3]
	s_and_saveexec_b64 s[10:11], s[2:3]
	s_cbranch_execz .LBB182_98
; %bb.97:
	v_mov_b32_e32 v1, s7
	v_add_co_u32_e64 v9, s[2:3], s6, v2
	v_addc_co_u32_e64 v10, s[2:3], 0, v1, s[2:3]
	v_lshlrev_b64 v[9:10], 1, v[9:10]
	v_cvt_f16_f32_e32 v11, v0
	v_mov_b32_e32 v1, s5
	v_add_co_u32_e64 v9, s[2:3], s4, v9
	v_addc_co_u32_e64 v10, s[2:3], v1, v10, s[2:3]
	global_store_short v[9:10], v11, off offset:32
.LBB182_98:
	s_or_b64 exec, exec, s[10:11]
	s_movk_i32 s2, 0x200
	v_cmp_gt_u32_e64 s[2:3], s2, v4
	s_and_b64 exec, exec, s[2:3]
	s_cbranch_execz .LBB182_103
; %bb.99:
	s_and_saveexec_b64 s[2:3], vcc
; %bb.100:
	v_lshlrev_b32_e32 v0, 2, v2
	v_lshlrev_b32_e32 v1, 2, v3
	v_add3_u32 v0, 0, v0, v1
	ds_read_b32 v0, v0 offset:96
; %bb.101:
	s_or_b64 exec, exec, s[2:3]
	s_waitcnt lgkmcnt(0)
	ds_bpermute_b32 v1, v5, v0
	v_add_u32_e32 v3, 24, v2
	v_or_b32_e32 v3, s6, v3
	v_mov_b32_e32 v4, s7
	v_cmp_le_i64_e32 vcc, s[14:15], v[3:4]
	s_waitcnt lgkmcnt(0)
	v_add_f32_e32 v0, v0, v1
	ds_bpermute_b32 v1, v6, v0
	s_or_b64 s[0:1], s[0:1], vcc
	s_nor_b64 s[0:1], s[8:9], s[0:1]
	s_waitcnt lgkmcnt(0)
	v_add_f32_e32 v0, v0, v1
	ds_bpermute_b32 v1, v7, v0
	s_waitcnt lgkmcnt(0)
	v_add_f32_e32 v0, v0, v1
	ds_bpermute_b32 v1, v8, v0
	s_and_saveexec_b64 s[2:3], s[0:1]
	s_xor_b64 s[2:3], exec, s[2:3]
	s_cbranch_execz .LBB182_103
; %bb.102:
	s_waitcnt lgkmcnt(0)
	v_add_f32_e32 v3, v0, v1
	v_mov_b32_e32 v1, s7
	v_add_co_u32_e32 v0, vcc, s6, v2
	v_addc_co_u32_e32 v1, vcc, 0, v1, vcc
	v_lshlrev_b64 v[0:1], 1, v[0:1]
	v_cvt_f16_f32_e32 v3, v3
	v_mov_b32_e32 v2, s5
	v_add_co_u32_e32 v0, vcc, s4, v0
	v_addc_co_u32_e32 v1, vcc, v2, v1, vcc
	global_store_short v[0:1], v3, off offset:48
.LBB182_103:
	s_endpgm
	.section	.rodata,"a",@progbits
	.p2align	6, 0x0
	.amdhsa_kernel _ZN2at6native12_GLOBAL__N_135GammaBetaBackwardCUDAKernelTemplateIN3c104HalfEfLj32ELj16ELj128ELb0ELb0ELb1EEEvllPKT_S7_PKT0_SA_PS5_SB_
		.amdhsa_group_segment_fixed_size 0
		.amdhsa_private_segment_fixed_size 0
		.amdhsa_kernarg_size 320
		.amdhsa_user_sgpr_count 6
		.amdhsa_user_sgpr_private_segment_buffer 1
		.amdhsa_user_sgpr_dispatch_ptr 0
		.amdhsa_user_sgpr_queue_ptr 0
		.amdhsa_user_sgpr_kernarg_segment_ptr 1
		.amdhsa_user_sgpr_dispatch_id 0
		.amdhsa_user_sgpr_flat_scratch_init 0
		.amdhsa_user_sgpr_private_segment_size 0
		.amdhsa_uses_dynamic_stack 0
		.amdhsa_system_sgpr_private_segment_wavefront_offset 0
		.amdhsa_system_sgpr_workgroup_id_x 1
		.amdhsa_system_sgpr_workgroup_id_y 1
		.amdhsa_system_sgpr_workgroup_id_z 0
		.amdhsa_system_sgpr_workgroup_info 0
		.amdhsa_system_vgpr_workitem_id 1
		.amdhsa_next_free_vgpr 90
		.amdhsa_next_free_sgpr 34
		.amdhsa_reserve_vcc 1
		.amdhsa_reserve_flat_scratch 0
		.amdhsa_float_round_mode_32 0
		.amdhsa_float_round_mode_16_64 0
		.amdhsa_float_denorm_mode_32 3
		.amdhsa_float_denorm_mode_16_64 3
		.amdhsa_dx10_clamp 1
		.amdhsa_ieee_mode 1
		.amdhsa_fp16_overflow 0
		.amdhsa_exception_fp_ieee_invalid_op 0
		.amdhsa_exception_fp_denorm_src 0
		.amdhsa_exception_fp_ieee_div_zero 0
		.amdhsa_exception_fp_ieee_overflow 0
		.amdhsa_exception_fp_ieee_underflow 0
		.amdhsa_exception_fp_ieee_inexact 0
		.amdhsa_exception_int_div_zero 0
	.end_amdhsa_kernel
	.section	.text._ZN2at6native12_GLOBAL__N_135GammaBetaBackwardCUDAKernelTemplateIN3c104HalfEfLj32ELj16ELj128ELb0ELb0ELb1EEEvllPKT_S7_PKT0_SA_PS5_SB_,"axG",@progbits,_ZN2at6native12_GLOBAL__N_135GammaBetaBackwardCUDAKernelTemplateIN3c104HalfEfLj32ELj16ELj128ELb0ELb0ELb1EEEvllPKT_S7_PKT0_SA_PS5_SB_,comdat
.Lfunc_end182:
	.size	_ZN2at6native12_GLOBAL__N_135GammaBetaBackwardCUDAKernelTemplateIN3c104HalfEfLj32ELj16ELj128ELb0ELb0ELb1EEEvllPKT_S7_PKT0_SA_PS5_SB_, .Lfunc_end182-_ZN2at6native12_GLOBAL__N_135GammaBetaBackwardCUDAKernelTemplateIN3c104HalfEfLj32ELj16ELj128ELb0ELb0ELb1EEEvllPKT_S7_PKT0_SA_PS5_SB_
                                        ; -- End function
	.set _ZN2at6native12_GLOBAL__N_135GammaBetaBackwardCUDAKernelTemplateIN3c104HalfEfLj32ELj16ELj128ELb0ELb0ELb1EEEvllPKT_S7_PKT0_SA_PS5_SB_.num_vgpr, 90
	.set _ZN2at6native12_GLOBAL__N_135GammaBetaBackwardCUDAKernelTemplateIN3c104HalfEfLj32ELj16ELj128ELb0ELb0ELb1EEEvllPKT_S7_PKT0_SA_PS5_SB_.num_agpr, 0
	.set _ZN2at6native12_GLOBAL__N_135GammaBetaBackwardCUDAKernelTemplateIN3c104HalfEfLj32ELj16ELj128ELb0ELb0ELb1EEEvllPKT_S7_PKT0_SA_PS5_SB_.numbered_sgpr, 34
	.set _ZN2at6native12_GLOBAL__N_135GammaBetaBackwardCUDAKernelTemplateIN3c104HalfEfLj32ELj16ELj128ELb0ELb0ELb1EEEvllPKT_S7_PKT0_SA_PS5_SB_.num_named_barrier, 0
	.set _ZN2at6native12_GLOBAL__N_135GammaBetaBackwardCUDAKernelTemplateIN3c104HalfEfLj32ELj16ELj128ELb0ELb0ELb1EEEvllPKT_S7_PKT0_SA_PS5_SB_.private_seg_size, 0
	.set _ZN2at6native12_GLOBAL__N_135GammaBetaBackwardCUDAKernelTemplateIN3c104HalfEfLj32ELj16ELj128ELb0ELb0ELb1EEEvllPKT_S7_PKT0_SA_PS5_SB_.uses_vcc, 1
	.set _ZN2at6native12_GLOBAL__N_135GammaBetaBackwardCUDAKernelTemplateIN3c104HalfEfLj32ELj16ELj128ELb0ELb0ELb1EEEvllPKT_S7_PKT0_SA_PS5_SB_.uses_flat_scratch, 0
	.set _ZN2at6native12_GLOBAL__N_135GammaBetaBackwardCUDAKernelTemplateIN3c104HalfEfLj32ELj16ELj128ELb0ELb0ELb1EEEvllPKT_S7_PKT0_SA_PS5_SB_.has_dyn_sized_stack, 0
	.set _ZN2at6native12_GLOBAL__N_135GammaBetaBackwardCUDAKernelTemplateIN3c104HalfEfLj32ELj16ELj128ELb0ELb0ELb1EEEvllPKT_S7_PKT0_SA_PS5_SB_.has_recursion, 0
	.set _ZN2at6native12_GLOBAL__N_135GammaBetaBackwardCUDAKernelTemplateIN3c104HalfEfLj32ELj16ELj128ELb0ELb0ELb1EEEvllPKT_S7_PKT0_SA_PS5_SB_.has_indirect_call, 0
	.section	.AMDGPU.csdata,"",@progbits
; Kernel info:
; codeLenInByte = 7304
; TotalNumSgprs: 38
; NumVgprs: 90
; ScratchSize: 0
; MemoryBound: 0
; FloatMode: 240
; IeeeMode: 1
; LDSByteSize: 0 bytes/workgroup (compile time only)
; SGPRBlocks: 4
; VGPRBlocks: 22
; NumSGPRsForWavesPerEU: 38
; NumVGPRsForWavesPerEU: 90
; Occupancy: 2
; WaveLimiterHint : 0
; COMPUTE_PGM_RSRC2:SCRATCH_EN: 0
; COMPUTE_PGM_RSRC2:USER_SGPR: 6
; COMPUTE_PGM_RSRC2:TRAP_HANDLER: 0
; COMPUTE_PGM_RSRC2:TGID_X_EN: 1
; COMPUTE_PGM_RSRC2:TGID_Y_EN: 1
; COMPUTE_PGM_RSRC2:TGID_Z_EN: 0
; COMPUTE_PGM_RSRC2:TIDIG_COMP_CNT: 1
	.section	.text._ZN2at6native12_GLOBAL__N_135GammaBetaBackwardCUDAKernelTemplateIN3c104HalfEfLj32ELj32ELj256ELb0ELb1ELb1EEEvllPKT_S7_PKT0_SA_PS5_SB_,"axG",@progbits,_ZN2at6native12_GLOBAL__N_135GammaBetaBackwardCUDAKernelTemplateIN3c104HalfEfLj32ELj32ELj256ELb0ELb1ELb1EEEvllPKT_S7_PKT0_SA_PS5_SB_,comdat
	.globl	_ZN2at6native12_GLOBAL__N_135GammaBetaBackwardCUDAKernelTemplateIN3c104HalfEfLj32ELj32ELj256ELb0ELb1ELb1EEEvllPKT_S7_PKT0_SA_PS5_SB_ ; -- Begin function _ZN2at6native12_GLOBAL__N_135GammaBetaBackwardCUDAKernelTemplateIN3c104HalfEfLj32ELj32ELj256ELb0ELb1ELb1EEEvllPKT_S7_PKT0_SA_PS5_SB_
	.p2align	8
	.type	_ZN2at6native12_GLOBAL__N_135GammaBetaBackwardCUDAKernelTemplateIN3c104HalfEfLj32ELj32ELj256ELb0ELb1ELb1EEEvllPKT_S7_PKT0_SA_PS5_SB_,@function
_ZN2at6native12_GLOBAL__N_135GammaBetaBackwardCUDAKernelTemplateIN3c104HalfEfLj32ELj32ELj256ELb0ELb1ELb1EEEvllPKT_S7_PKT0_SA_PS5_SB_: ; @_ZN2at6native12_GLOBAL__N_135GammaBetaBackwardCUDAKernelTemplateIN3c104HalfEfLj32ELj32ELj256ELb0ELb1ELb1EEEvllPKT_S7_PKT0_SA_PS5_SB_
; %bb.0:
	s_load_dwordx4 s[8:11], s[4:5], 0x0
	s_lshl_b32 s18, s7, 8
	s_mov_b32 s19, 0
	v_mov_b32_e32 v2, s18
	v_mov_b32_e32 v3, s19
	s_waitcnt lgkmcnt(0)
	v_cmp_gt_i64_e32 vcc, s[8:9], v[2:3]
	s_cbranch_vccnz .LBB183_2
; %bb.1:
	s_mov_b64 s[0:1], 0
	s_branch .LBB183_3
.LBB183_2:
	s_mov_b64 s[0:1], -1
.LBB183_3:
	s_load_dwordx2 s[16:17], s[4:5], 0x30
	v_mov_b32_e32 v3, 0
	s_andn2_b64 vcc, exec, s[0:1]
	v_mbcnt_lo_u32_b32 v8, -1, 0
	s_cbranch_vccnz .LBB183_10
; %bb.4:
	s_load_dword s0, s[4:5], 0x4c
	s_load_dword s7, s[4:5], 0x44
	s_load_dwordx4 s[12:15], s[4:5], 0x10
	s_load_dwordx2 s[2:3], s[4:5], 0x28
	v_lshlrev_b32_e32 v4, 3, v1
	s_waitcnt lgkmcnt(0)
	s_and_b32 s0, s0, 0xffff
	v_mad_u32_u24 v2, v1, s0, v0
	v_and_b32_e32 v5, 63, v2
	v_add_co_u32_e32 v10, vcc, s18, v4
	v_addc_co_u32_e64 v11, s[20:21], 0, 0, vcc
	v_add_co_u32_e32 v4, vcc, v10, v5
	v_cmp_gt_u32_e64 s[0:1], 8, v5
	v_mbcnt_hi_u32_b32 v6, -1, v8
	v_addc_co_u32_e32 v5, vcc, 0, v11, vcc
	v_mul_lo_u32 v14, s11, v10
	v_mul_lo_u32 v15, s10, v11
	v_mad_u64_u32 v[11:12], s[20:21], s10, v10, 0
	v_lshlrev_b32_e32 v6, 2, v6
	v_and_b32_e32 v9, 0x100, v6
	v_lshlrev_b64 v[6:7], 2, v[4:5]
	v_mov_b32_e32 v3, 0
	v_lshl_add_u32 v2, s6, 5, v0
	v_mov_b32_e32 v13, s3
	v_add_co_u32_e32 v6, vcc, s2, v6
	v_add3_u32 v12, v12, v15, v14
	v_addc_co_u32_e32 v7, vcc, v13, v7, vcc
	v_lshlrev_b64 v[11:12], 1, v[11:12]
	v_lshlrev_b64 v[13:14], 1, v[2:3]
	s_lshl_b32 s4, s7, 8
	s_mul_i32 s2, s11, s4
	s_mul_hi_u32 s3, s10, s4
	s_mov_b32 s5, 0
	v_add_co_u32_e32 v2, vcc, v11, v13
	s_add_i32 s3, s3, s2
	s_mul_i32 s2, s10, s4
	v_or_b32_e32 v10, 20, v9
	v_addc_co_u32_e32 v11, vcc, v12, v14, vcc
	v_or_b32_e32 v12, 24, v9
	v_or_b32_e32 v13, 28, v9
	s_lshl_b64 s[20:21], s[4:5], 2
	s_lshl_b64 s[22:23], s[2:3], 1
	;; [unrolled: 1-line block ×3, first 2 shown]
	s_branch .LBB183_7
.LBB183_5:                              ;   in Loop: Header=BB183_7 Depth=1
	s_or_b64 exec, exec, s[24:25]
.LBB183_6:                              ;   in Loop: Header=BB183_7 Depth=1
	s_or_b64 exec, exec, s[2:3]
	v_mov_b32_e32 v15, s13
	v_add_co_u32_e32 v16, vcc, s12, v2
	v_addc_co_u32_e32 v17, vcc, v15, v11, vcc
	v_mov_b32_e32 v15, s11
	v_add_co_u32_e32 v18, vcc, s10, v16
	v_addc_co_u32_e32 v19, vcc, v17, v15, vcc
	global_load_ushort v22, v[16:17], off
	v_mov_b32_e32 v17, s15
	v_add_co_u32_e32 v16, vcc, s14, v2
	v_addc_co_u32_e32 v17, vcc, v17, v11, vcc
	v_add_co_u32_e32 v20, vcc, s10, v16
	global_load_ushort v16, v[16:17], off
	v_addc_co_u32_e32 v21, vcc, v17, v15, vcc
	s_add_u32 s18, s18, s4
	s_addc_u32 s19, s19, 0
	v_add_co_u32_e64 v6, s[2:3], s20, v6
	s_waitcnt vmcnt(1)
	v_cvt_f32_f16_e32 v17, v22
	global_load_ushort v22, v[18:19], off
	s_waitcnt vmcnt(1)
	v_cvt_f32_f16_e32 v16, v16
	v_mul_f32_e32 v16, v17, v16
	ds_bpermute_b32 v17, v9, v14
	s_waitcnt lgkmcnt(0)
	v_fmac_f32_e32 v3, v16, v17
	v_add_co_u32_e32 v16, vcc, s10, v18
	v_addc_co_u32_e32 v17, vcc, v19, v15, vcc
	v_add_co_u32_e32 v18, vcc, s10, v20
	global_load_ushort v20, v[20:21], off
	v_addc_co_u32_e32 v19, vcc, v21, v15, vcc
	s_waitcnt vmcnt(1)
	v_cvt_f32_f16_e32 v21, v22
	global_load_ushort v22, v[16:17], off
	s_waitcnt vmcnt(1)
	v_cvt_f32_f16_e32 v20, v20
	v_mul_f32_e32 v20, v21, v20
	v_or_b32_e32 v21, 4, v9
	ds_bpermute_b32 v21, v21, v14
	s_waitcnt lgkmcnt(0)
	v_fmac_f32_e32 v3, v20, v21
	v_add_co_u32_e32 v20, vcc, s10, v16
	v_addc_co_u32_e32 v21, vcc, v17, v15, vcc
	v_add_co_u32_e32 v16, vcc, s10, v18
	global_load_ushort v18, v[18:19], off
	v_addc_co_u32_e32 v17, vcc, v19, v15, vcc
	s_waitcnt vmcnt(1)
	v_cvt_f32_f16_e32 v19, v22
	global_load_ushort v22, v[20:21], off
	s_waitcnt vmcnt(1)
	v_cvt_f32_f16_e32 v18, v18
	v_mul_f32_e32 v18, v19, v18
	v_or_b32_e32 v19, 8, v9
	;; [unrolled: 15-line block ×4, first 2 shown]
	ds_bpermute_b32 v21, v21, v14
	s_waitcnt lgkmcnt(0)
	v_fmac_f32_e32 v3, v20, v21
	v_add_co_u32_e32 v20, vcc, s10, v16
	v_addc_co_u32_e32 v21, vcc, v17, v15, vcc
	v_add_co_u32_e32 v16, vcc, s10, v18
	global_load_ushort v18, v[18:19], off
	v_addc_co_u32_e32 v17, vcc, v19, v15, vcc
	s_waitcnt vmcnt(1)
	v_cvt_f32_f16_e32 v19, v22
	global_load_ushort v22, v[20:21], off
	s_waitcnt vmcnt(1)
	v_cvt_f32_f16_e32 v18, v18
	v_mul_f32_e32 v18, v19, v18
	ds_bpermute_b32 v19, v10, v14
	s_waitcnt lgkmcnt(0)
	v_fmac_f32_e32 v3, v18, v19
	v_add_co_u32_e32 v18, vcc, s10, v20
	v_addc_co_u32_e32 v19, vcc, v21, v15, vcc
	v_add_co_u32_e32 v20, vcc, s10, v16
	v_addc_co_u32_e32 v21, vcc, v17, v15, vcc
	global_load_ushort v15, v[16:17], off
	s_waitcnt vmcnt(1)
	v_cvt_f32_f16_e32 v16, v22
	s_waitcnt vmcnt(0)
	v_cvt_f32_f16_e32 v15, v15
	v_mul_f32_e32 v15, v16, v15
	ds_bpermute_b32 v16, v12, v14
	ds_bpermute_b32 v14, v13, v14
	s_waitcnt lgkmcnt(1)
	v_fmac_f32_e32 v3, v15, v16
	global_load_ushort v15, v[18:19], off
	global_load_ushort v16, v[20:21], off
	s_waitcnt vmcnt(1)
	v_cvt_f32_f16_e32 v15, v15
	s_waitcnt vmcnt(0)
	v_cvt_f32_f16_e32 v16, v16
	v_mul_f32_e32 v15, v15, v16
	s_waitcnt lgkmcnt(0)
	v_fmac_f32_e32 v3, v15, v14
	v_mov_b32_e32 v15, s9
	v_mov_b32_e32 v14, s8
	v_cmp_lt_i64_e32 vcc, s[18:19], v[14:15]
	v_mov_b32_e32 v14, s21
	v_addc_co_u32_e64 v7, s[2:3], v7, v14, s[2:3]
	v_add_co_u32_e64 v2, s[2:3], s22, v2
	v_mov_b32_e32 v14, s23
	v_addc_co_u32_e64 v11, s[2:3], v11, v14, s[2:3]
	v_add_co_u32_e64 v4, s[2:3], s4, v4
	v_addc_co_u32_e64 v5, s[2:3], 0, v5, s[2:3]
	s_cbranch_vccz .LBB183_10
.LBB183_7:                              ; =>This Inner Loop Header: Depth=1
	v_mov_b32_e32 v14, 0
	s_and_saveexec_b64 s[2:3], s[0:1]
	s_cbranch_execz .LBB183_6
; %bb.8:                                ;   in Loop: Header=BB183_7 Depth=1
	v_cmp_gt_i64_e32 vcc, s[8:9], v[4:5]
	v_mov_b32_e32 v14, 0
	s_and_saveexec_b64 s[24:25], vcc
	s_cbranch_execz .LBB183_5
; %bb.9:                                ;   in Loop: Header=BB183_7 Depth=1
	global_load_dword v14, v[6:7], off
	s_branch .LBB183_5
.LBB183_10:
	v_mad_u32_u24 v2, v1, 33, v0
	v_lshl_add_u32 v4, v2, 2, 0
	ds_write_b32 v4, v3
	v_mov_b32_e32 v3, 0
	ds_write_b32 v4, v3 offset:4224
	v_sub_u32_e32 v3, v2, v1
	s_movk_i32 s0, 0x800
	v_cmp_gt_u32_e32 vcc, s0, v3
	s_waitcnt lgkmcnt(0)
	s_barrier
	s_and_saveexec_b64 s[0:1], vcc
	s_cbranch_execz .LBB183_20
; %bb.11:
	v_and_b32_e32 v2, 63, v3
	v_lshrrev_b32_e32 v1, 6, v3
	v_cmp_gt_u32_e32 vcc, 32, v2
	v_mul_u32_u24_e32 v2, 33, v2
                                        ; implicit-def: $vgpr5
	s_and_saveexec_b64 s[0:1], vcc
; %bb.12:
	v_lshlrev_b32_e32 v4, 2, v1
	v_lshlrev_b32_e32 v5, 2, v2
	v_add3_u32 v4, 0, v4, v5
	ds_read_b32 v5, v4
; %bb.13:
	s_or_b64 exec, exec, s[0:1]
	v_mbcnt_hi_u32_b32 v8, -1, v8
	v_and_b32_e32 v4, 64, v8
	v_add_u32_e32 v9, 64, v4
	v_xor_b32_e32 v4, 16, v8
	v_cmp_lt_i32_e64 s[0:1], v4, v9
	v_cndmask_b32_e64 v4, v8, v4, s[0:1]
	v_lshlrev_b32_e32 v4, 2, v4
	s_waitcnt lgkmcnt(0)
	ds_bpermute_b32 v6, v4, v5
	v_xor_b32_e32 v7, 8, v8
	v_cmp_lt_i32_e64 s[0:1], v7, v9
	v_xor_b32_e32 v10, 4, v8
	v_xor_b32_e32 v11, 2, v8
	s_waitcnt lgkmcnt(0)
	v_add_f32_e32 v6, v5, v6
	v_cndmask_b32_e64 v5, v8, v7, s[0:1]
	v_lshlrev_b32_e32 v5, 2, v5
	ds_bpermute_b32 v7, v5, v6
	v_cmp_lt_i32_e64 s[0:1], v10, v9
	s_cmp_lg_u64 s[16:17], 0
	s_mov_b32 s7, 0
	s_cselect_b64 s[4:5], -1, 0
	s_waitcnt lgkmcnt(0)
	v_add_f32_e32 v7, v6, v7
	v_cndmask_b32_e64 v6, v8, v10, s[0:1]
	v_lshlrev_b32_e32 v6, 2, v6
	ds_bpermute_b32 v10, v6, v7
	v_cmp_lt_i32_e64 s[0:1], v11, v9
	s_waitcnt lgkmcnt(0)
	v_add_f32_e32 v10, v7, v10
	v_cndmask_b32_e64 v7, v8, v11, s[0:1]
	v_lshlrev_b32_e32 v7, 2, v7
	ds_bpermute_b32 v11, v7, v10
	v_cmp_eq_u32_e64 s[0:1], 0, v0
	v_xor_b32_e32 v0, 1, v8
	v_cmp_lt_i32_e64 s[2:3], v0, v9
	v_cndmask_b32_e64 v0, v8, v0, s[2:3]
	s_waitcnt lgkmcnt(0)
	v_add_f32_e32 v10, v10, v11
	v_lshlrev_b32_e32 v0, 2, v0
	ds_bpermute_b32 v8, v0, v10
	s_and_b64 s[4:5], s[0:1], s[4:5]
	s_lshl_b64 s[0:1], s[6:7], 6
	s_add_u32 s2, s16, s0
	s_addc_u32 s3, s17, s1
	s_waitcnt lgkmcnt(0)
	v_add_f32_e32 v8, v10, v8
	s_and_saveexec_b64 s[0:1], s[4:5]
	s_cbranch_execz .LBB183_15
; %bb.14:
	v_cvt_f16_f32_e32 v9, v8
	v_lshlrev_b32_e32 v10, 1, v1
	global_store_short v10, v9, s[2:3]
.LBB183_15:
	s_or_b64 exec, exec, s[0:1]
	s_movk_i32 s0, 0x400
	v_cmp_gt_u32_e64 s[0:1], s0, v3
	s_and_b64 exec, exec, s[0:1]
	s_cbranch_execz .LBB183_20
; %bb.16:
	s_and_saveexec_b64 s[0:1], vcc
; %bb.17:
	v_lshlrev_b32_e32 v3, 2, v1
	v_lshlrev_b32_e32 v2, 2, v2
	v_add3_u32 v2, 0, v3, v2
	ds_read_b32 v8, v2 offset:64
; %bb.18:
	s_or_b64 exec, exec, s[0:1]
	s_waitcnt lgkmcnt(0)
	ds_bpermute_b32 v2, v4, v8
	s_waitcnt lgkmcnt(0)
	v_add_f32_e32 v2, v8, v2
	ds_bpermute_b32 v3, v5, v2
	s_waitcnt lgkmcnt(0)
	v_add_f32_e32 v2, v2, v3
	;; [unrolled: 3-line block ×4, first 2 shown]
	ds_bpermute_b32 v0, v0, v2
	s_and_saveexec_b64 s[0:1], s[4:5]
	s_xor_b64 s[0:1], exec, s[0:1]
	s_cbranch_execz .LBB183_20
; %bb.19:
	s_waitcnt lgkmcnt(0)
	v_add_f32_e32 v0, v2, v0
	v_cvt_f16_f32_e32 v0, v0
	v_lshlrev_b32_e32 v1, 1, v1
	global_store_short v1, v0, s[2:3] offset:32
.LBB183_20:
	s_endpgm
	.section	.rodata,"a",@progbits
	.p2align	6, 0x0
	.amdhsa_kernel _ZN2at6native12_GLOBAL__N_135GammaBetaBackwardCUDAKernelTemplateIN3c104HalfEfLj32ELj32ELj256ELb0ELb1ELb1EEEvllPKT_S7_PKT0_SA_PS5_SB_
		.amdhsa_group_segment_fixed_size 0
		.amdhsa_private_segment_fixed_size 0
		.amdhsa_kernarg_size 320
		.amdhsa_user_sgpr_count 6
		.amdhsa_user_sgpr_private_segment_buffer 1
		.amdhsa_user_sgpr_dispatch_ptr 0
		.amdhsa_user_sgpr_queue_ptr 0
		.amdhsa_user_sgpr_kernarg_segment_ptr 1
		.amdhsa_user_sgpr_dispatch_id 0
		.amdhsa_user_sgpr_flat_scratch_init 0
		.amdhsa_user_sgpr_private_segment_size 0
		.amdhsa_uses_dynamic_stack 0
		.amdhsa_system_sgpr_private_segment_wavefront_offset 0
		.amdhsa_system_sgpr_workgroup_id_x 1
		.amdhsa_system_sgpr_workgroup_id_y 1
		.amdhsa_system_sgpr_workgroup_id_z 0
		.amdhsa_system_sgpr_workgroup_info 0
		.amdhsa_system_vgpr_workitem_id 1
		.amdhsa_next_free_vgpr 23
		.amdhsa_next_free_sgpr 26
		.amdhsa_reserve_vcc 1
		.amdhsa_reserve_flat_scratch 0
		.amdhsa_float_round_mode_32 0
		.amdhsa_float_round_mode_16_64 0
		.amdhsa_float_denorm_mode_32 3
		.amdhsa_float_denorm_mode_16_64 3
		.amdhsa_dx10_clamp 1
		.amdhsa_ieee_mode 1
		.amdhsa_fp16_overflow 0
		.amdhsa_exception_fp_ieee_invalid_op 0
		.amdhsa_exception_fp_denorm_src 0
		.amdhsa_exception_fp_ieee_div_zero 0
		.amdhsa_exception_fp_ieee_overflow 0
		.amdhsa_exception_fp_ieee_underflow 0
		.amdhsa_exception_fp_ieee_inexact 0
		.amdhsa_exception_int_div_zero 0
	.end_amdhsa_kernel
	.section	.text._ZN2at6native12_GLOBAL__N_135GammaBetaBackwardCUDAKernelTemplateIN3c104HalfEfLj32ELj32ELj256ELb0ELb1ELb1EEEvllPKT_S7_PKT0_SA_PS5_SB_,"axG",@progbits,_ZN2at6native12_GLOBAL__N_135GammaBetaBackwardCUDAKernelTemplateIN3c104HalfEfLj32ELj32ELj256ELb0ELb1ELb1EEEvllPKT_S7_PKT0_SA_PS5_SB_,comdat
.Lfunc_end183:
	.size	_ZN2at6native12_GLOBAL__N_135GammaBetaBackwardCUDAKernelTemplateIN3c104HalfEfLj32ELj32ELj256ELb0ELb1ELb1EEEvllPKT_S7_PKT0_SA_PS5_SB_, .Lfunc_end183-_ZN2at6native12_GLOBAL__N_135GammaBetaBackwardCUDAKernelTemplateIN3c104HalfEfLj32ELj32ELj256ELb0ELb1ELb1EEEvllPKT_S7_PKT0_SA_PS5_SB_
                                        ; -- End function
	.set _ZN2at6native12_GLOBAL__N_135GammaBetaBackwardCUDAKernelTemplateIN3c104HalfEfLj32ELj32ELj256ELb0ELb1ELb1EEEvllPKT_S7_PKT0_SA_PS5_SB_.num_vgpr, 23
	.set _ZN2at6native12_GLOBAL__N_135GammaBetaBackwardCUDAKernelTemplateIN3c104HalfEfLj32ELj32ELj256ELb0ELb1ELb1EEEvllPKT_S7_PKT0_SA_PS5_SB_.num_agpr, 0
	.set _ZN2at6native12_GLOBAL__N_135GammaBetaBackwardCUDAKernelTemplateIN3c104HalfEfLj32ELj32ELj256ELb0ELb1ELb1EEEvllPKT_S7_PKT0_SA_PS5_SB_.numbered_sgpr, 26
	.set _ZN2at6native12_GLOBAL__N_135GammaBetaBackwardCUDAKernelTemplateIN3c104HalfEfLj32ELj32ELj256ELb0ELb1ELb1EEEvllPKT_S7_PKT0_SA_PS5_SB_.num_named_barrier, 0
	.set _ZN2at6native12_GLOBAL__N_135GammaBetaBackwardCUDAKernelTemplateIN3c104HalfEfLj32ELj32ELj256ELb0ELb1ELb1EEEvllPKT_S7_PKT0_SA_PS5_SB_.private_seg_size, 0
	.set _ZN2at6native12_GLOBAL__N_135GammaBetaBackwardCUDAKernelTemplateIN3c104HalfEfLj32ELj32ELj256ELb0ELb1ELb1EEEvllPKT_S7_PKT0_SA_PS5_SB_.uses_vcc, 1
	.set _ZN2at6native12_GLOBAL__N_135GammaBetaBackwardCUDAKernelTemplateIN3c104HalfEfLj32ELj32ELj256ELb0ELb1ELb1EEEvllPKT_S7_PKT0_SA_PS5_SB_.uses_flat_scratch, 0
	.set _ZN2at6native12_GLOBAL__N_135GammaBetaBackwardCUDAKernelTemplateIN3c104HalfEfLj32ELj32ELj256ELb0ELb1ELb1EEEvllPKT_S7_PKT0_SA_PS5_SB_.has_dyn_sized_stack, 0
	.set _ZN2at6native12_GLOBAL__N_135GammaBetaBackwardCUDAKernelTemplateIN3c104HalfEfLj32ELj32ELj256ELb0ELb1ELb1EEEvllPKT_S7_PKT0_SA_PS5_SB_.has_recursion, 0
	.set _ZN2at6native12_GLOBAL__N_135GammaBetaBackwardCUDAKernelTemplateIN3c104HalfEfLj32ELj32ELj256ELb0ELb1ELb1EEEvllPKT_S7_PKT0_SA_PS5_SB_.has_indirect_call, 0
	.section	.AMDGPU.csdata,"",@progbits
; Kernel info:
; codeLenInByte = 1588
; TotalNumSgprs: 30
; NumVgprs: 23
; ScratchSize: 0
; MemoryBound: 0
; FloatMode: 240
; IeeeMode: 1
; LDSByteSize: 0 bytes/workgroup (compile time only)
; SGPRBlocks: 3
; VGPRBlocks: 5
; NumSGPRsForWavesPerEU: 30
; NumVGPRsForWavesPerEU: 23
; Occupancy: 10
; WaveLimiterHint : 0
; COMPUTE_PGM_RSRC2:SCRATCH_EN: 0
; COMPUTE_PGM_RSRC2:USER_SGPR: 6
; COMPUTE_PGM_RSRC2:TRAP_HANDLER: 0
; COMPUTE_PGM_RSRC2:TGID_X_EN: 1
; COMPUTE_PGM_RSRC2:TGID_Y_EN: 1
; COMPUTE_PGM_RSRC2:TGID_Z_EN: 0
; COMPUTE_PGM_RSRC2:TIDIG_COMP_CNT: 1
	.section	.text._ZN2at6native12_GLOBAL__N_135GammaBetaBackwardCUDAKernelTemplateIN3c104HalfEfLj32ELj32ELj256ELb0ELb0ELb1EEEvllPKT_S7_PKT0_SA_PS5_SB_,"axG",@progbits,_ZN2at6native12_GLOBAL__N_135GammaBetaBackwardCUDAKernelTemplateIN3c104HalfEfLj32ELj32ELj256ELb0ELb0ELb1EEEvllPKT_S7_PKT0_SA_PS5_SB_,comdat
	.globl	_ZN2at6native12_GLOBAL__N_135GammaBetaBackwardCUDAKernelTemplateIN3c104HalfEfLj32ELj32ELj256ELb0ELb0ELb1EEEvllPKT_S7_PKT0_SA_PS5_SB_ ; -- Begin function _ZN2at6native12_GLOBAL__N_135GammaBetaBackwardCUDAKernelTemplateIN3c104HalfEfLj32ELj32ELj256ELb0ELb0ELb1EEEvllPKT_S7_PKT0_SA_PS5_SB_
	.p2align	8
	.type	_ZN2at6native12_GLOBAL__N_135GammaBetaBackwardCUDAKernelTemplateIN3c104HalfEfLj32ELj32ELj256ELb0ELb0ELb1EEEvllPKT_S7_PKT0_SA_PS5_SB_,@function
_ZN2at6native12_GLOBAL__N_135GammaBetaBackwardCUDAKernelTemplateIN3c104HalfEfLj32ELj32ELj256ELb0ELb0ELb1EEEvllPKT_S7_PKT0_SA_PS5_SB_: ; @_ZN2at6native12_GLOBAL__N_135GammaBetaBackwardCUDAKernelTemplateIN3c104HalfEfLj32ELj32ELj256ELb0ELb0ELb1EEEvllPKT_S7_PKT0_SA_PS5_SB_
; %bb.0:
	s_mov_b64 s[38:39], s[2:3]
	s_mov_b64 s[36:37], s[0:1]
	s_add_u32 s36, s36, s8
	s_load_dwordx8 s[12:19], s[4:5], 0x0
	s_load_dwordx2 s[10:11], s[4:5], 0x28
	s_addc_u32 s37, s37, 0
	s_lshl_b32 s20, s7, 8
	s_lshl_b32 s33, s6, 5
	s_mov_b32 s21, 0
	v_mov_b32_e32 v2, s20
	s_or_b32 s0, s33, 31
	v_mov_b32_e32 v3, s21
	v_mov_b32_e32 v48, s0
	;; [unrolled: 1-line block ×3, first 2 shown]
	s_waitcnt lgkmcnt(0)
	v_cmp_gt_i64_e64 s[0:1], s[12:13], v[2:3]
	v_cmp_le_i64_e32 vcc, s[14:15], v[48:49]
	v_mov_b32_e32 v60, v0
	v_cndmask_b32_e64 v0, 0, 1, s[0:1]
	v_cmp_ne_u32_e64 s[0:1], 1, v0
	s_cbranch_vccz .LBB184_49
; %bb.1:
	s_and_b64 vcc, exec, s[0:1]
	s_cbranch_vccnz .LBB184_50
; %bb.2:
	v_lshlrev_b32_e32 v0, 3, v1
	v_add_co_u32_e32 v5, vcc, s20, v0
	v_addc_co_u32_e64 v6, s[2:3], 0, 0, vcc
	v_mul_lo_u32 v10, s15, v5
	v_mul_lo_u32 v9, s14, v6
	v_mad_u64_u32 v[3:4], s[2:3], s14, v5, 0
	v_mov_b32_e32 v2, 0
	s_load_dword s7, s[4:5], 0x44
	v_add_u32_e32 v7, s33, v60
	v_mov_b32_e32 v8, v2
	v_add3_u32 v4, v4, v9, v10
	v_cmp_gt_i64_e64 s[2:3], s[14:15], v[7:8]
	v_lshlrev_b64 v[19:20], 1, v[7:8]
	v_lshlrev_b64 v[7:8], 1, v[3:4]
	s_add_u32 s22, s4, 64
	v_mov_b32_e32 v9, s17
	v_add_co_u32_e32 v61, vcc, s16, v7
	s_addc_u32 s23, s5, 0
	s_waitcnt lgkmcnt(0)
	s_lshl_b32 s7, s7, 8
	v_addc_co_u32_e32 v21, vcc, v9, v8, vcc
	s_mul_i32 s8, s15, s7
	s_mul_hi_u32 s9, s14, s7
	v_add_co_u32_e32 v9, vcc, 7, v5
	s_add_i32 s9, s9, s8
	s_mul_i32 s8, s14, s7
	v_addc_co_u32_e32 v10, vcc, 0, v6, vcc
	s_lshl_b64 s[24:25], s[8:9], 1
	v_mul_lo_u32 v12, s15, v9
	v_mul_lo_u32 v13, s14, v10
	v_mad_u64_u32 v[9:10], s[8:9], s14, v9, 0
	v_mov_b32_e32 v11, s19
	v_add_co_u32_e32 v22, vcc, s18, v7
	v_add3_u32 v10, v10, v13, v12
	v_addc_co_u32_e32 v23, vcc, v11, v8, vcc
	v_lshlrev_b64 v[7:8], 1, v[9:10]
	v_mov_b32_e32 v9, s17
	v_add_co_u32_e32 v24, vcc, s16, v7
	v_addc_co_u32_e32 v25, vcc, v9, v8, vcc
	v_add_co_u32_e32 v9, vcc, 6, v5
	v_addc_co_u32_e32 v10, vcc, 0, v6, vcc
	v_mul_lo_u32 v12, s15, v9
	v_mul_lo_u32 v13, s14, v10
	v_mad_u64_u32 v[9:10], s[8:9], s14, v9, 0
	v_add_co_u32_e32 v26, vcc, s18, v7
	v_add3_u32 v10, v10, v13, v12
	v_addc_co_u32_e32 v27, vcc, v11, v8, vcc
	v_lshlrev_b64 v[7:8], 1, v[9:10]
	v_mov_b32_e32 v9, s17
	v_add_co_u32_e32 v28, vcc, s16, v7
	v_addc_co_u32_e32 v29, vcc, v9, v8, vcc
	v_add_co_u32_e32 v9, vcc, 5, v5
	v_addc_co_u32_e32 v10, vcc, 0, v6, vcc
	v_mul_lo_u32 v12, s15, v9
	v_mul_lo_u32 v13, s14, v10
	v_mad_u64_u32 v[9:10], s[8:9], s14, v9, 0
	;; [unrolled: 12-line block ×5, first 2 shown]
	v_mov_b32_e32 v9, s19
	v_add_co_u32_e32 v42, vcc, s18, v7
	v_add3_u32 v6, v6, v11, v10
	v_lshlrev_b64 v[5:6], 1, v[5:6]
	v_addc_co_u32_e32 v43, vcc, v9, v8, vcc
	v_mov_b32_e32 v7, s17
	v_add_co_u32_e32 v44, vcc, s16, v5
	v_addc_co_u32_e32 v45, vcc, v7, v6, vcc
	v_mov_b32_e32 v7, s19
	v_add_co_u32_e32 v46, vcc, s18, v5
	;; [unrolled: 3-line block ×3, first 2 shown]
	v_addc_co_u32_e32 v4, vcc, v4, v5, vcc
	v_lshlrev_b64 v[3:4], 1, v[3:4]
	v_mov_b32_e32 v5, s17
	v_add_co_u32_e32 v48, vcc, s16, v3
	v_addc_co_u32_e32 v50, vcc, v5, v4, vcc
	v_add_co_u32_e32 v51, vcc, s18, v3
	v_mbcnt_lo_u32_b32 v3, -1, 0
	v_mbcnt_hi_u32_b32 v3, -1, v3
	v_mov_b32_e32 v5, s19
	s_add_u32 s26, s20, 0xff
	v_lshlrev_b32_e32 v3, 2, v3
	v_addc_co_u32_e32 v52, vcc, v5, v4, vcc
	s_addc_u32 s27, 0, 0
	v_and_b32_e32 v53, 0x100, v3
	s_mov_b64 s[28:29], s[20:21]
	v_mov_b32_e32 v54, 0
.LBB184_3:                              ; =>This Inner Loop Header: Depth=1
	v_mov_b32_e32 v3, s12
	v_mov_b32_e32 v4, s13
	v_cmp_ge_i64_e32 vcc, s[26:27], v[3:4]
	v_mov_b32_e32 v3, s27
	v_add_co_u32_e64 v55, s[8:9], s26, v0
	v_addc_co_u32_e64 v56, s[8:9], 0, v3, s[8:9]
	s_mov_b64 s[8:9], -1
	s_and_b64 vcc, exec, vcc
                                        ; implicit-def: $vgpr3_vgpr4_vgpr5_vgpr6_vgpr7_vgpr8_vgpr9_vgpr10
                                        ; implicit-def: $vgpr49
                                        ; implicit-def: $vgpr11_vgpr12_vgpr13_vgpr14_vgpr15_vgpr16_vgpr17_vgpr18
                                        ; implicit-def: $vgpr3
	s_cbranch_vccz .LBB184_25
; %bb.4:                                ;   in Loop: Header=BB184_3 Depth=1
	s_load_dword s8, s[22:23], 0xc
	v_mov_b32_e32 v57, 0
	s_waitcnt lgkmcnt(0)
	s_and_b32 s8, s8, 0xffff
	v_mad_u32_u24 v3, v1, s8, v60
	v_and_b32_e32 v3, 63, v3
	v_cmp_gt_u32_e32 vcc, 8, v3
	s_and_saveexec_b64 s[8:9], vcc
	s_cbranch_execz .LBB184_8
; %bb.5:                                ;   in Loop: Header=BB184_3 Depth=1
	v_add_co_u32_e32 v3, vcc, v55, v3
	v_addc_co_u32_e32 v4, vcc, 0, v56, vcc
	v_add_co_u32_e32 v3, vcc, 0xffffff01, v3
	v_addc_co_u32_e32 v4, vcc, -1, v4, vcc
	v_cmp_gt_i64_e32 vcc, s[12:13], v[3:4]
	v_mov_b32_e32 v57, 0
	s_and_saveexec_b64 s[30:31], vcc
	s_cbranch_execz .LBB184_7
; %bb.6:                                ;   in Loop: Header=BB184_3 Depth=1
	v_lshlrev_b64 v[3:4], 2, v[3:4]
	v_mov_b32_e32 v5, s11
	v_add_co_u32_e32 v3, vcc, s10, v3
	v_addc_co_u32_e32 v4, vcc, v5, v4, vcc
	global_load_dword v57, v[3:4], off
.LBB184_7:                              ;   in Loop: Header=BB184_3 Depth=1
	s_or_b64 exec, exec, s[30:31]
.LBB184_8:                              ;   in Loop: Header=BB184_3 Depth=1
	s_or_b64 exec, exec, s[8:9]
	v_add_co_u32_e32 v3, vcc, 0xffffff01, v55
	v_addc_co_u32_e32 v4, vcc, -1, v56, vcc
	v_mov_b32_e32 v9, v2
	v_cmp_gt_i64_e32 vcc, s[12:13], v[3:4]
	v_mov_b32_e32 v3, v2
	v_mov_b32_e32 v4, v2
	;; [unrolled: 1-line block ×15, first 2 shown]
	s_and_b64 s[30:31], s[2:3], vcc
	v_mov_b32_e32 v9, v8
	v_mov_b32_e32 v8, v7
	;; [unrolled: 1-line block ×7, first 2 shown]
	s_and_saveexec_b64 s[8:9], s[30:31]
	s_cbranch_execz .LBB184_10
; %bb.9:                                ;   in Loop: Header=BB184_3 Depth=1
	v_add_co_u32_e32 v3, vcc, v61, v19
	v_addc_co_u32_e32 v4, vcc, v21, v20, vcc
	global_load_ushort v11, v[3:4], off
	v_add_co_u32_e32 v3, vcc, v22, v19
	v_addc_co_u32_e32 v4, vcc, v23, v20, vcc
	global_load_ushort v15, v[3:4], off
	v_mov_b32_e32 v4, v2
	v_mov_b32_e32 v5, v2
	;; [unrolled: 1-line block ×13, first 2 shown]
	s_waitcnt vmcnt(1)
	v_cvt_f32_f16_e32 v3, v11
	s_waitcnt vmcnt(0)
	v_cvt_f32_f16_e32 v11, v15
	v_mov_b32_e32 v15, v2
.LBB184_10:                             ;   in Loop: Header=BB184_3 Depth=1
	s_or_b64 exec, exec, s[8:9]
	v_add_co_u32_e32 v58, vcc, 0xffffff02, v55
	v_addc_co_u32_e32 v59, vcc, -1, v56, vcc
	v_cmp_gt_i64_e32 vcc, s[12:13], v[58:59]
	s_and_b64 s[30:31], s[2:3], vcc
	s_and_saveexec_b64 s[8:9], s[30:31]
	s_cbranch_execz .LBB184_12
; %bb.11:                               ;   in Loop: Header=BB184_3 Depth=1
	v_add_co_u32_e32 v58, vcc, v48, v19
	v_addc_co_u32_e32 v59, vcc, v50, v20, vcc
	global_load_ushort v4, v[58:59], off
	v_add_co_u32_e32 v58, vcc, v51, v19
	v_addc_co_u32_e32 v59, vcc, v52, v20, vcc
	global_load_ushort v12, v[58:59], off
	s_waitcnt vmcnt(1)
	v_cvt_f32_f16_e32 v4, v4
	s_waitcnt vmcnt(0)
	v_cvt_f32_f16_e32 v12, v12
.LBB184_12:                             ;   in Loop: Header=BB184_3 Depth=1
	s_or_b64 exec, exec, s[8:9]
	v_add_co_u32_e32 v58, vcc, 0xffffff03, v55
	v_addc_co_u32_e32 v59, vcc, -1, v56, vcc
	v_cmp_gt_i64_e32 vcc, s[12:13], v[58:59]
	s_and_b64 s[30:31], s[2:3], vcc
	s_and_saveexec_b64 s[8:9], s[30:31]
	s_cbranch_execz .LBB184_14
; %bb.13:                               ;   in Loop: Header=BB184_3 Depth=1
	v_add_co_u32_e32 v58, vcc, v44, v19
	v_addc_co_u32_e32 v59, vcc, v45, v20, vcc
	global_load_ushort v5, v[58:59], off
	v_add_co_u32_e32 v58, vcc, v46, v19
	v_addc_co_u32_e32 v59, vcc, v47, v20, vcc
	global_load_ushort v13, v[58:59], off
	s_waitcnt vmcnt(1)
	v_cvt_f32_f16_e32 v5, v5
	s_waitcnt vmcnt(0)
	v_cvt_f32_f16_e32 v13, v13
.LBB184_14:                             ;   in Loop: Header=BB184_3 Depth=1
	;; [unrolled: 19-line block ×7, first 2 shown]
	s_or_b64 exec, exec, s[8:9]
	s_waitcnt vmcnt(0)
	ds_bpermute_b32 v49, v53, v57
	ds_bpermute_b32 v58, v53, v57 offset:4
	v_mul_f32_e32 v3, v11, v3
	ds_bpermute_b32 v11, v53, v57 offset:8
	v_mul_f32_e32 v4, v12, v4
	s_waitcnt lgkmcnt(2)
	v_fma_f32 v49, v3, v49, v54
	s_waitcnt lgkmcnt(1)
	v_fmac_f32_e32 v49, v4, v58
	ds_bpermute_b32 v3, v53, v57 offset:12
	v_mul_f32_e32 v4, v13, v5
	s_waitcnt lgkmcnt(1)
	v_fmac_f32_e32 v49, v4, v11
	ds_bpermute_b32 v4, v53, v57 offset:16
	v_mul_f32_e32 v5, v14, v6
	s_waitcnt lgkmcnt(1)
	v_fmac_f32_e32 v49, v5, v3
	v_mul_f32_e32 v3, v15, v7
	ds_bpermute_b32 v5, v53, v57 offset:20
	s_waitcnt lgkmcnt(1)
	v_fmac_f32_e32 v49, v3, v4
	ds_bpermute_b32 v4, v53, v57 offset:24
	ds_bpermute_b32 v3, v53, v57 offset:28
	v_mul_f32_e32 v6, v16, v8
	s_waitcnt lgkmcnt(2)
	v_fmac_f32_e32 v49, v6, v5
	v_mul_f32_e32 v5, v17, v9
	s_waitcnt lgkmcnt(1)
	v_fmac_f32_e32 v49, v5, v4
	s_mov_b64 s[8:9], 0
.LBB184_25:                             ;   in Loop: Header=BB184_3 Depth=1
	s_and_b64 vcc, exec, s[8:9]
	s_cbranch_vccz .LBB184_40
; %bb.26:                               ;   in Loop: Header=BB184_3 Depth=1
	s_load_dword s8, s[22:23], 0x0
	v_mov_b32_e32 v49, 0
	s_waitcnt lgkmcnt(0)
	s_cmp_lt_u32 s6, s8
	s_cselect_b32 s8, 12, 18
	s_add_u32 s8, s22, s8
	s_addc_u32 s9, s23, 0
	global_load_ushort v3, v2, s[8:9]
	s_waitcnt vmcnt(0)
	v_mad_u32_u24 v3, v1, v3, v60
	v_and_b32_e32 v3, 63, v3
	v_cmp_gt_u32_e32 vcc, 8, v3
	s_and_saveexec_b64 s[8:9], vcc
	s_cbranch_execz .LBB184_30
; %bb.27:                               ;   in Loop: Header=BB184_3 Depth=1
	v_add_co_u32_e32 v3, vcc, v55, v3
	v_addc_co_u32_e32 v4, vcc, 0, v56, vcc
	v_add_co_u32_e32 v3, vcc, 0xffffff01, v3
	v_addc_co_u32_e32 v4, vcc, -1, v4, vcc
	v_cmp_gt_i64_e32 vcc, s[12:13], v[3:4]
	v_mov_b32_e32 v49, 0
	s_and_saveexec_b64 s[30:31], vcc
	s_cbranch_execz .LBB184_29
; %bb.28:                               ;   in Loop: Header=BB184_3 Depth=1
	v_lshlrev_b64 v[3:4], 2, v[3:4]
	v_mov_b32_e32 v5, s11
	v_add_co_u32_e32 v3, vcc, s10, v3
	v_addc_co_u32_e32 v4, vcc, v5, v4, vcc
	global_load_dword v49, v[3:4], off
.LBB184_29:                             ;   in Loop: Header=BB184_3 Depth=1
	s_or_b64 exec, exec, s[30:31]
.LBB184_30:                             ;   in Loop: Header=BB184_3 Depth=1
	s_or_b64 exec, exec, s[8:9]
	v_mov_b32_e32 v9, v2
	v_mov_b32_e32 v3, v2
	;; [unrolled: 1-line block ×23, first 2 shown]
	s_and_saveexec_b64 s[8:9], s[2:3]
	s_cbranch_execnz .LBB184_42
; %bb.31:                               ;   in Loop: Header=BB184_3 Depth=1
	s_or_b64 exec, exec, s[8:9]
	s_and_saveexec_b64 s[8:9], s[2:3]
	s_cbranch_execnz .LBB184_43
.LBB184_32:                             ;   in Loop: Header=BB184_3 Depth=1
	s_or_b64 exec, exec, s[8:9]
	s_and_saveexec_b64 s[8:9], s[2:3]
	s_cbranch_execnz .LBB184_44
.LBB184_33:                             ;   in Loop: Header=BB184_3 Depth=1
	s_or_b64 exec, exec, s[8:9]
	s_and_saveexec_b64 s[8:9], s[2:3]
	s_cbranch_execnz .LBB184_45
.LBB184_34:                             ;   in Loop: Header=BB184_3 Depth=1
	s_or_b64 exec, exec, s[8:9]
	s_and_saveexec_b64 s[8:9], s[2:3]
	s_cbranch_execnz .LBB184_46
.LBB184_35:                             ;   in Loop: Header=BB184_3 Depth=1
	s_or_b64 exec, exec, s[8:9]
	s_and_saveexec_b64 s[8:9], s[2:3]
	s_cbranch_execnz .LBB184_47
.LBB184_36:                             ;   in Loop: Header=BB184_3 Depth=1
	s_or_b64 exec, exec, s[8:9]
	s_and_saveexec_b64 s[8:9], s[2:3]
	s_cbranch_execnz .LBB184_48
.LBB184_37:                             ;   in Loop: Header=BB184_3 Depth=1
	s_or_b64 exec, exec, s[8:9]
	s_and_saveexec_b64 s[8:9], s[2:3]
	s_cbranch_execz .LBB184_39
.LBB184_38:                             ;   in Loop: Header=BB184_3 Depth=1
	v_add_co_u32_e32 v55, vcc, v24, v19
	v_addc_co_u32_e32 v56, vcc, v25, v20, vcc
	global_load_ushort v10, v[55:56], off
	v_add_co_u32_e32 v55, vcc, v26, v19
	v_addc_co_u32_e32 v56, vcc, v27, v20, vcc
	global_load_ushort v18, v[55:56], off
	s_waitcnt vmcnt(1)
	v_cvt_f32_f16_e32 v10, v10
	s_waitcnt vmcnt(0)
	v_cvt_f32_f16_e32 v18, v18
.LBB184_39:                             ;   in Loop: Header=BB184_3 Depth=1
	s_or_b64 exec, exec, s[8:9]
	s_waitcnt vmcnt(0)
	ds_bpermute_b32 v55, v53, v49
	ds_bpermute_b32 v56, v53, v49 offset:4
	v_mul_f32_e32 v3, v11, v3
	ds_bpermute_b32 v11, v53, v49 offset:8
	v_mul_f32_e32 v4, v12, v4
	s_waitcnt lgkmcnt(2)
	v_fmac_f32_e32 v54, v3, v55
	s_waitcnt lgkmcnt(1)
	v_fmac_f32_e32 v54, v4, v56
	ds_bpermute_b32 v3, v53, v49 offset:12
	v_mul_f32_e32 v4, v13, v5
	s_waitcnt lgkmcnt(1)
	v_fmac_f32_e32 v54, v4, v11
	ds_bpermute_b32 v4, v53, v49 offset:16
	v_mul_f32_e32 v5, v14, v6
	s_waitcnt lgkmcnt(1)
	v_fmac_f32_e32 v54, v5, v3
	v_mul_f32_e32 v3, v15, v7
	ds_bpermute_b32 v5, v53, v49 offset:20
	s_waitcnt lgkmcnt(1)
	v_fmac_f32_e32 v54, v3, v4
	ds_bpermute_b32 v4, v53, v49 offset:24
	ds_bpermute_b32 v3, v53, v49 offset:28
	v_mul_f32_e32 v6, v16, v8
	s_waitcnt lgkmcnt(2)
	v_fmac_f32_e32 v54, v6, v5
	v_mul_f32_e32 v5, v17, v9
	s_waitcnt lgkmcnt(1)
	v_fmac_f32_e32 v54, v5, v4
	v_mov_b32_e32 v49, v54
.LBB184_40:                             ;   in Loop: Header=BB184_3 Depth=1
	v_mul_f32_e32 v4, v10, v18
	s_waitcnt lgkmcnt(0)
	v_fmac_f32_e32 v49, v4, v3
	v_mov_b32_e32 v3, s25
	v_add_co_u32_e32 v61, vcc, s24, v61
	v_addc_co_u32_e32 v21, vcc, v21, v3, vcc
	v_add_co_u32_e32 v22, vcc, s24, v22
	v_addc_co_u32_e32 v23, vcc, v23, v3, vcc
	;; [unrolled: 2-line block ×15, first 2 shown]
	v_add_co_u32_e32 v51, vcc, s24, v51
	s_add_u32 s28, s28, s7
	v_addc_co_u32_e32 v52, vcc, v52, v3, vcc
	v_mov_b32_e32 v3, s12
	s_addc_u32 s29, s29, 0
	v_mov_b32_e32 v4, s13
	v_cmp_lt_i64_e32 vcc, s[28:29], v[3:4]
	s_add_u32 s26, s26, s7
	s_addc_u32 s27, s27, 0
	s_cbranch_vccz .LBB184_50
; %bb.41:                               ;   in Loop: Header=BB184_3 Depth=1
	v_mov_b32_e32 v54, v49
	s_branch .LBB184_3
.LBB184_42:                             ;   in Loop: Header=BB184_3 Depth=1
	v_add_co_u32_e32 v3, vcc, v61, v19
	v_addc_co_u32_e32 v4, vcc, v21, v20, vcc
	global_load_ushort v11, v[3:4], off
	v_add_co_u32_e32 v3, vcc, v22, v19
	v_addc_co_u32_e32 v4, vcc, v23, v20, vcc
	global_load_ushort v15, v[3:4], off
	v_mov_b32_e32 v4, v2
	v_mov_b32_e32 v5, v2
	v_mov_b32_e32 v6, v2
	v_mov_b32_e32 v7, v2
	v_mov_b32_e32 v8, v2
	v_mov_b32_e32 v9, v2
	v_mov_b32_e32 v10, v2
	v_mov_b32_e32 v12, v2
	v_mov_b32_e32 v13, v2
	v_mov_b32_e32 v14, v2
	v_mov_b32_e32 v16, v2
	v_mov_b32_e32 v17, v2
	v_mov_b32_e32 v18, v2
	s_waitcnt vmcnt(1)
	v_cvt_f32_f16_e32 v3, v11
	s_waitcnt vmcnt(0)
	v_cvt_f32_f16_e32 v11, v15
	v_mov_b32_e32 v15, v2
	s_or_b64 exec, exec, s[8:9]
	s_and_saveexec_b64 s[8:9], s[2:3]
	s_cbranch_execz .LBB184_32
.LBB184_43:                             ;   in Loop: Header=BB184_3 Depth=1
	v_add_co_u32_e32 v55, vcc, v48, v19
	v_addc_co_u32_e32 v56, vcc, v50, v20, vcc
	global_load_ushort v4, v[55:56], off
	v_add_co_u32_e32 v55, vcc, v51, v19
	v_addc_co_u32_e32 v56, vcc, v52, v20, vcc
	global_load_ushort v12, v[55:56], off
	s_waitcnt vmcnt(1)
	v_cvt_f32_f16_e32 v4, v4
	s_waitcnt vmcnt(0)
	v_cvt_f32_f16_e32 v12, v12
	s_or_b64 exec, exec, s[8:9]
	s_and_saveexec_b64 s[8:9], s[2:3]
	s_cbranch_execz .LBB184_33
.LBB184_44:                             ;   in Loop: Header=BB184_3 Depth=1
	v_add_co_u32_e32 v55, vcc, v44, v19
	v_addc_co_u32_e32 v56, vcc, v45, v20, vcc
	global_load_ushort v5, v[55:56], off
	v_add_co_u32_e32 v55, vcc, v46, v19
	v_addc_co_u32_e32 v56, vcc, v47, v20, vcc
	global_load_ushort v13, v[55:56], off
	s_waitcnt vmcnt(1)
	v_cvt_f32_f16_e32 v5, v5
	s_waitcnt vmcnt(0)
	v_cvt_f32_f16_e32 v13, v13
	s_or_b64 exec, exec, s[8:9]
	s_and_saveexec_b64 s[8:9], s[2:3]
	s_cbranch_execz .LBB184_34
.LBB184_45:                             ;   in Loop: Header=BB184_3 Depth=1
	v_add_co_u32_e32 v55, vcc, v40, v19
	v_addc_co_u32_e32 v56, vcc, v41, v20, vcc
	global_load_ushort v6, v[55:56], off
	v_add_co_u32_e32 v55, vcc, v42, v19
	v_addc_co_u32_e32 v56, vcc, v43, v20, vcc
	global_load_ushort v14, v[55:56], off
	s_waitcnt vmcnt(1)
	v_cvt_f32_f16_e32 v6, v6
	s_waitcnt vmcnt(0)
	v_cvt_f32_f16_e32 v14, v14
	s_or_b64 exec, exec, s[8:9]
	s_and_saveexec_b64 s[8:9], s[2:3]
	s_cbranch_execz .LBB184_35
.LBB184_46:                             ;   in Loop: Header=BB184_3 Depth=1
	v_add_co_u32_e32 v55, vcc, v36, v19
	v_addc_co_u32_e32 v56, vcc, v37, v20, vcc
	global_load_ushort v7, v[55:56], off
	v_add_co_u32_e32 v55, vcc, v38, v19
	v_addc_co_u32_e32 v56, vcc, v39, v20, vcc
	global_load_ushort v15, v[55:56], off
	s_waitcnt vmcnt(1)
	v_cvt_f32_f16_e32 v7, v7
	s_waitcnt vmcnt(0)
	v_cvt_f32_f16_e32 v15, v15
	s_or_b64 exec, exec, s[8:9]
	s_and_saveexec_b64 s[8:9], s[2:3]
	s_cbranch_execz .LBB184_36
.LBB184_47:                             ;   in Loop: Header=BB184_3 Depth=1
	v_add_co_u32_e32 v55, vcc, v32, v19
	v_addc_co_u32_e32 v56, vcc, v33, v20, vcc
	global_load_ushort v8, v[55:56], off
	v_add_co_u32_e32 v55, vcc, v34, v19
	v_addc_co_u32_e32 v56, vcc, v35, v20, vcc
	global_load_ushort v16, v[55:56], off
	s_waitcnt vmcnt(1)
	v_cvt_f32_f16_e32 v8, v8
	s_waitcnt vmcnt(0)
	v_cvt_f32_f16_e32 v16, v16
	s_or_b64 exec, exec, s[8:9]
	s_and_saveexec_b64 s[8:9], s[2:3]
	s_cbranch_execz .LBB184_37
.LBB184_48:                             ;   in Loop: Header=BB184_3 Depth=1
	v_add_co_u32_e32 v55, vcc, v28, v19
	v_addc_co_u32_e32 v56, vcc, v29, v20, vcc
	global_load_ushort v9, v[55:56], off
	v_add_co_u32_e32 v55, vcc, v30, v19
	v_addc_co_u32_e32 v56, vcc, v31, v20, vcc
	global_load_ushort v17, v[55:56], off
	s_waitcnt vmcnt(1)
	v_cvt_f32_f16_e32 v9, v9
	s_waitcnt vmcnt(0)
	v_cvt_f32_f16_e32 v17, v17
	s_or_b64 exec, exec, s[8:9]
	s_and_saveexec_b64 s[8:9], s[2:3]
	s_cbranch_execnz .LBB184_38
	s_branch .LBB184_39
.LBB184_49:
                                        ; implicit-def: $vgpr49
	s_branch .LBB184_51
.LBB184_50:
	s_cbranch_execnz .LBB184_84
.LBB184_51:
	s_and_b64 vcc, exec, s[0:1]
	v_mov_b32_e32 v49, 0
	s_cbranch_vccnz .LBB184_84
; %bb.52:
	v_lshlrev_b32_e32 v0, 3, v1
	buffer_store_dword v0, off, s[36:39], 0 offset:100 ; 4-byte Folded Spill
	v_add_co_u32_e32 v0, vcc, s20, v0
	v_addc_co_u32_e64 v17, s[0:1], 0, 0, vcc
	v_mul_lo_u32 v2, s15, v0
	v_mul_lo_u32 v3, s14, v17
	v_mad_u64_u32 v[4:5], s[0:1], s14, v0, 0
	s_load_dword s7, s[4:5], 0x44
	s_add_u32 s2, s4, 64
	v_add3_u32 v5, v5, v3, v2
	v_lshlrev_b64 v[2:3], 1, v[4:5]
	s_addc_u32 s3, s5, 0
	s_waitcnt lgkmcnt(0)
	s_lshl_b32 s7, s7, 8
	v_mov_b32_e32 v6, s17
	v_add_co_u32_e32 v7, vcc, s16, v2
	s_mul_i32 s0, s15, s7
	s_mul_hi_u32 s1, s14, s7
	v_addc_co_u32_e32 v6, vcc, v6, v3, vcc
	s_add_i32 s1, s1, s0
	s_mul_i32 s0, s14, s7
	buffer_store_dword v6, off, s[36:39], 0 offset:4 ; 4-byte Folded Spill
	s_lshl_b64 s[8:9], s[0:1], 1
	v_mov_b32_e32 v6, s19
	v_add_co_u32_e32 v2, vcc, s18, v2
	buffer_store_dword v2, off, s[36:39], 0 offset:8 ; 4-byte Folded Spill
	v_addc_co_u32_e32 v2, vcc, v6, v3, vcc
	s_add_u32 s22, s20, 0xff
	buffer_store_dword v2, off, s[36:39], 0 offset:12 ; 4-byte Folded Spill
	s_addc_u32 s23, 0, 0
	v_lshlrev_b32_e32 v2, 4, v1
	s_lshl_b64 s[0:1], s[20:21], 1
	v_mov_b32_e32 v3, s1
	v_add_co_u32_e32 v6, vcc, s0, v2
	buffer_store_dword v7, off, s[36:39], 0 ; 4-byte Folded Spill
	v_addc_co_u32_e32 v7, vcc, 0, v3, vcc
	v_add_co_u32_e32 v8, vcc, 2, v6
	v_addc_co_u32_e32 v9, vcc, 0, v7, vcc
	v_mov_b32_e32 v2, s16
	v_mul_lo_u32 v12, s14, v9
	v_mov_b32_e32 v9, s18
	v_mov_b32_e32 v3, s17
	;; [unrolled: 1-line block ×3, first 2 shown]
	v_mad_u64_u32 v[19:20], s[0:1], s14, v8, v[2:3]
	v_mul_lo_u32 v13, s15, v8
	v_mad_u64_u32 v[21:22], s[0:1], s14, v8, v[9:10]
	v_add_co_u32_e32 v8, vcc, 4, v6
	v_addc_co_u32_e32 v14, vcc, 0, v7, vcc
	v_mov_b32_e32 v11, s15
	v_add_co_u32_e32 v4, vcc, s14, v4
	v_addc_co_u32_e32 v5, vcc, v5, v11, vcc
	v_mul_lo_u32 v15, s15, v8
	v_mad_u64_u32 v[23:24], s[0:1], s14, v8, v[2:3]
	v_mad_u64_u32 v[25:26], s[0:1], s14, v8, v[9:10]
	v_add_co_u32_e32 v8, vcc, 6, v6
	v_addc_co_u32_e32 v11, vcc, 0, v7, vcc
	v_add3_u32 v20, v13, v20, v12
	v_add3_u32 v22, v13, v22, v12
	v_mul_lo_u32 v11, s14, v11
	v_mul_lo_u32 v12, s15, v8
	v_mad_u64_u32 v[27:28], s[0:1], s14, v8, v[2:3]
	v_mad_u64_u32 v[29:30], s[0:1], s14, v8, v[9:10]
	v_add_co_u32_e32 v8, vcc, 8, v6
	v_mul_lo_u32 v14, s14, v14
	v_addc_co_u32_e32 v13, vcc, 0, v7, vcc
	v_mul_lo_u32 v16, s15, v8
	v_mad_u64_u32 v[31:32], s[0:1], s14, v8, v[2:3]
	v_mad_u64_u32 v[33:34], s[0:1], s14, v8, v[9:10]
	v_add_co_u32_e32 v8, vcc, 10, v6
	v_add3_u32 v28, v12, v28, v11
	v_add3_u32 v30, v12, v30, v11
	v_addc_co_u32_e32 v11, vcc, 0, v7, vcc
	v_mul_lo_u32 v12, s15, v8
	v_mad_u64_u32 v[35:36], s[0:1], s14, v8, v[2:3]
	v_mad_u64_u32 v[37:38], s[0:1], s14, v8, v[9:10]
	v_add_co_u32_e32 v8, vcc, 12, v6
	v_add3_u32 v24, v15, v24, v14
	v_add3_u32 v26, v15, v26, v14
	v_addc_co_u32_e32 v14, vcc, 0, v7, vcc
	v_add_co_u32_e32 v6, vcc, 14, v6
	v_addc_co_u32_e32 v7, vcc, 0, v7, vcc
	v_mad_u64_u32 v[39:40], s[0:1], s14, v8, v[2:3]
	v_mad_u64_u32 v[43:44], s[0:1], s14, v6, v[2:3]
	v_add_co_u32_e32 v2, vcc, 7, v0
	v_addc_co_u32_e32 v3, vcc, 0, v17, vcc
	v_mul_lo_u32 v15, s15, v8
	v_mad_u64_u32 v[41:42], s[0:1], s14, v8, v[9:10]
	v_mad_u64_u32 v[45:46], s[0:1], s14, v6, v[9:10]
	v_mul_lo_u32 v8, s14, v3
	v_mul_lo_u32 v9, s15, v2
	v_mad_u64_u32 v[2:3], s[0:1], s14, v2, 0
	v_mul_lo_u32 v7, s14, v7
	v_mul_lo_u32 v6, s15, v6
	v_add3_u32 v3, v3, v8, v9
	v_lshlrev_b64 v[2:3], 1, v[2:3]
	buffer_store_dword v1, off, s[36:39], 0 offset:96 ; 4-byte Folded Spill
	v_add3_u32 v44, v6, v44, v7
	v_add3_u32 v46, v6, v46, v7
	v_mov_b32_e32 v6, s17
	v_add_co_u32_e32 v1, vcc, s16, v2
	buffer_store_dword v1, off, s[36:39], 0 offset:16 ; 4-byte Folded Spill
	v_addc_co_u32_e32 v1, vcc, v6, v3, vcc
	v_add_co_u32_e32 v6, vcc, 6, v0
	v_addc_co_u32_e32 v7, vcc, 0, v17, vcc
	v_mul_lo_u32 v9, s14, v7
	v_mul_lo_u32 v10, s15, v6
	v_mad_u64_u32 v[6:7], s[0:1], s14, v6, 0
	buffer_store_dword v1, off, s[36:39], 0 offset:20 ; 4-byte Folded Spill
	v_mov_b32_e32 v8, s19
	v_add_co_u32_e32 v1, vcc, s18, v2
	v_add3_u32 v7, v7, v9, v10
	buffer_store_dword v1, off, s[36:39], 0 offset:24 ; 4-byte Folded Spill
	v_addc_co_u32_e32 v1, vcc, v8, v3, vcc
	v_lshlrev_b64 v[2:3], 1, v[6:7]
	buffer_store_dword v1, off, s[36:39], 0 offset:28 ; 4-byte Folded Spill
	v_mov_b32_e32 v6, s17
	v_add_co_u32_e32 v1, vcc, s16, v2
	buffer_store_dword v1, off, s[36:39], 0 offset:32 ; 4-byte Folded Spill
	v_addc_co_u32_e32 v1, vcc, v6, v3, vcc
	v_add_co_u32_e32 v6, vcc, 5, v0
	v_addc_co_u32_e32 v7, vcc, 0, v17, vcc
	v_mul_lo_u32 v9, s14, v7
	v_mul_lo_u32 v10, s15, v6
	v_mad_u64_u32 v[6:7], s[0:1], s14, v6, 0
	buffer_store_dword v1, off, s[36:39], 0 offset:36 ; 4-byte Folded Spill
	v_add_co_u32_e32 v1, vcc, s18, v2
	v_add3_u32 v7, v7, v9, v10
	buffer_store_dword v1, off, s[36:39], 0 offset:40 ; 4-byte Folded Spill
	v_addc_co_u32_e32 v1, vcc, v8, v3, vcc
	v_lshlrev_b64 v[2:3], 1, v[6:7]
	buffer_store_dword v1, off, s[36:39], 0 offset:44 ; 4-byte Folded Spill
	v_mov_b32_e32 v6, s17
	v_add_co_u32_e32 v1, vcc, s16, v2
	buffer_store_dword v1, off, s[36:39], 0 offset:48 ; 4-byte Folded Spill
	v_addc_co_u32_e32 v1, vcc, v6, v3, vcc
	v_add_co_u32_e32 v6, vcc, 4, v0
	v_addc_co_u32_e32 v7, vcc, 0, v17, vcc
	v_mul_lo_u32 v9, s14, v7
	v_mul_lo_u32 v10, s15, v6
	v_mad_u64_u32 v[6:7], s[0:1], s14, v6, 0
	buffer_store_dword v1, off, s[36:39], 0 offset:52 ; 4-byte Folded Spill
	v_add_co_u32_e32 v1, vcc, s18, v2
	v_add3_u32 v7, v7, v9, v10
	buffer_store_dword v1, off, s[36:39], 0 offset:56 ; 4-byte Folded Spill
	v_addc_co_u32_e32 v1, vcc, v8, v3, vcc
	v_lshlrev_b64 v[2:3], 1, v[6:7]
	buffer_store_dword v1, off, s[36:39], 0 offset:60 ; 4-byte Folded Spill
	v_mov_b32_e32 v6, s17
	v_add_co_u32_e32 v1, vcc, s16, v2
	buffer_store_dword v1, off, s[36:39], 0 offset:64 ; 4-byte Folded Spill
	v_addc_co_u32_e32 v1, vcc, v6, v3, vcc
	buffer_store_dword v1, off, s[36:39], 0 offset:68 ; 4-byte Folded Spill
	v_mov_b32_e32 v6, s19
	v_add_co_u32_e32 v1, vcc, s18, v2
	buffer_store_dword v1, off, s[36:39], 0 offset:72 ; 4-byte Folded Spill
	v_addc_co_u32_e32 v1, vcc, v6, v3, vcc
	v_add_co_u32_e32 v2, vcc, 3, v0
	v_addc_co_u32_e32 v3, vcc, 0, v17, vcc
	v_mul_lo_u32 v6, s14, v3
	v_mul_lo_u32 v7, s15, v2
	v_mad_u64_u32 v[2:3], s[0:1], s14, v2, 0
	buffer_store_dword v1, off, s[36:39], 0 offset:76 ; 4-byte Folded Spill
	v_mul_lo_u32 v13, s14, v13
	v_add3_u32 v3, v3, v6, v7
	v_lshlrev_b64 v[2:3], 1, v[2:3]
	v_mov_b32_e32 v6, s17
	v_add_co_u32_e32 v1, vcc, s16, v2
	buffer_store_dword v1, off, s[36:39], 0 offset:80 ; 4-byte Folded Spill
	v_addc_co_u32_e32 v1, vcc, v6, v3, vcc
	buffer_store_dword v1, off, s[36:39], 0 offset:84 ; 4-byte Folded Spill
	v_mov_b32_e32 v6, s19
	v_add_co_u32_e32 v1, vcc, s18, v2
	v_addc_co_u32_e32 v58, vcc, v6, v3, vcc
	v_add_co_u32_e32 v0, vcc, 2, v0
	buffer_store_dword v1, off, s[36:39], 0 offset:88 ; 4-byte Folded Spill
	v_addc_co_u32_e32 v1, vcc, 0, v17, vcc
	v_mul_lo_u32 v2, s14, v1
	v_mul_lo_u32 v3, s15, v0
	v_mad_u64_u32 v[0:1], s[0:1], s14, v0, 0
	v_mul_lo_u32 v11, s14, v11
	v_mul_lo_u32 v14, s14, v14
	v_add3_u32 v1, v1, v2, v3
	v_lshlrev_b64 v[0:1], 1, v[0:1]
	v_mov_b32_e32 v2, s17
	v_add_co_u32_e32 v59, vcc, s16, v0
	v_mov_b32_e32 v3, v60
	v_addc_co_u32_e32 v60, vcc, v2, v1, vcc
	v_mov_b32_e32 v2, s19
	v_add_co_u32_e32 v61, vcc, s18, v0
	v_addc_co_u32_e32 v62, vcc, v2, v1, vcc
	v_lshlrev_b64 v[0:1], 1, v[4:5]
	v_mov_b32_e32 v2, s17
	v_add_co_u32_e32 v63, vcc, s16, v0
	v_addc_co_u32_e32 v50, vcc, v2, v1, vcc
	v_mov_b32_e32 v2, s19
	v_add_co_u32_e32 v51, vcc, s18, v0
	v_addc_co_u32_e32 v0, vcc, v2, v1, vcc
	v_mov_b32_e32 v2, 0
	v_mbcnt_lo_u32_b32 v1, -1, 0
	buffer_store_dword v3, off, s[36:39], 0 offset:92 ; 4-byte Folded Spill
	v_add_u32_e32 v3, s33, v3
	v_mov_b32_e32 v4, v2
	v_mbcnt_hi_u32_b32 v1, -1, v1
	v_lshlrev_b64 v[47:48], 1, v[3:4]
	v_lshlrev_b32_e32 v1, 2, v1
	v_add3_u32 v32, v16, v32, v13
	v_add3_u32 v34, v16, v34, v13
	;; [unrolled: 1-line block ×6, first 2 shown]
	v_and_b32_e32 v1, 0x100, v1
	v_mov_b32_e32 v52, 0
.LBB184_53:                             ; =>This Inner Loop Header: Depth=1
	v_mov_b32_e32 v3, s12
	v_mov_b32_e32 v4, s13
	v_cmp_ge_i64_e32 vcc, s[22:23], v[3:4]
	buffer_load_dword v4, off, s[36:39], 0 offset:100 ; 4-byte Folded Reload
	v_mov_b32_e32 v3, s23
	s_and_b64 vcc, exec, vcc
                                        ; implicit-def: $vgpr49
	s_waitcnt vmcnt(0)
	v_add_co_u32_e64 v53, s[0:1], s22, v4
	v_addc_co_u32_e64 v54, s[0:1], 0, v3, s[0:1]
	s_mov_b64 s[0:1], -1
	s_cbranch_vccz .LBB184_75
; %bb.54:                               ;   in Loop: Header=BB184_53 Depth=1
	s_load_dword s0, s[2:3], 0xc
	buffer_load_dword v3, off, s[36:39], 0 offset:92 ; 4-byte Folded Reload
	buffer_load_dword v4, off, s[36:39], 0 offset:96 ; 4-byte Folded Reload
	v_mov_b32_e32 v55, 0
	s_waitcnt lgkmcnt(0)
	s_and_b32 s0, s0, 0xffff
	s_waitcnt vmcnt(0)
	v_mad_u32_u24 v3, v4, s0, v3
	v_and_b32_e32 v3, 63, v3
	v_cmp_gt_u32_e32 vcc, 8, v3
	s_and_saveexec_b64 s[0:1], vcc
	s_cbranch_execz .LBB184_58
; %bb.55:                               ;   in Loop: Header=BB184_53 Depth=1
	v_add_co_u32_e32 v3, vcc, v53, v3
	v_addc_co_u32_e32 v4, vcc, 0, v54, vcc
	v_add_co_u32_e32 v3, vcc, 0xffffff01, v3
	v_addc_co_u32_e32 v4, vcc, -1, v4, vcc
	v_cmp_gt_i64_e32 vcc, s[12:13], v[3:4]
	v_mov_b32_e32 v55, 0
	s_and_saveexec_b64 s[16:17], vcc
	s_cbranch_execz .LBB184_57
; %bb.56:                               ;   in Loop: Header=BB184_53 Depth=1
	v_lshlrev_b64 v[3:4], 2, v[3:4]
	v_mov_b32_e32 v5, s11
	v_add_co_u32_e32 v3, vcc, s10, v3
	v_addc_co_u32_e32 v4, vcc, v5, v4, vcc
	global_load_dword v55, v[3:4], off
.LBB184_57:                             ;   in Loop: Header=BB184_53 Depth=1
	s_or_b64 exec, exec, s[16:17]
.LBB184_58:                             ;   in Loop: Header=BB184_53 Depth=1
	s_or_b64 exec, exec, s[0:1]
	v_add_co_u32_e32 v3, vcc, 0xffffff01, v53
	v_addc_co_u32_e32 v4, vcc, -1, v54, vcc
	v_mov_b32_e32 v9, v2
	v_cmp_gt_i64_e32 vcc, s[12:13], v[3:4]
	v_mov_b32_e32 v3, v2
	v_mov_b32_e32 v4, v2
	;; [unrolled: 1-line block ×22, first 2 shown]
	s_and_saveexec_b64 s[0:1], vcc
	s_cbranch_execz .LBB184_60
; %bb.59:                               ;   in Loop: Header=BB184_53 Depth=1
	buffer_load_dword v3, off, s[36:39], 0  ; 4-byte Folded Reload
	buffer_load_dword v4, off, s[36:39], 0 offset:4 ; 4-byte Folded Reload
	v_mov_b32_e32 v5, v2
	v_mov_b32_e32 v6, v2
	;; [unrolled: 1-line block ×12, first 2 shown]
	s_waitcnt vmcnt(1)
	v_add_co_u32_e32 v3, vcc, v3, v47
	s_waitcnt vmcnt(0)
	v_addc_co_u32_e32 v4, vcc, v4, v48, vcc
	global_load_ushort v11, v[3:4], off
	s_nop 0
	buffer_load_dword v3, off, s[36:39], 0 offset:8 ; 4-byte Folded Reload
	buffer_load_dword v4, off, s[36:39], 0 offset:12 ; 4-byte Folded Reload
	s_waitcnt vmcnt(1)
	v_add_co_u32_e32 v3, vcc, v3, v47
	s_waitcnt vmcnt(0)
	v_addc_co_u32_e32 v4, vcc, v4, v48, vcc
	global_load_ushort v15, v[3:4], off
	v_cvt_f32_f16_e32 v3, v11
	v_mov_b32_e32 v4, v2
	s_waitcnt vmcnt(0)
	v_cvt_f32_f16_e32 v11, v15
	v_mov_b32_e32 v15, v2
.LBB184_60:                             ;   in Loop: Header=BB184_53 Depth=1
	s_or_b64 exec, exec, s[0:1]
	v_add_co_u32_e32 v56, vcc, 0xffffff02, v53
	v_addc_co_u32_e32 v57, vcc, -1, v54, vcc
	v_cmp_gt_i64_e32 vcc, s[12:13], v[56:57]
	s_and_saveexec_b64 s[0:1], vcc
	s_cbranch_execz .LBB184_62
; %bb.61:                               ;   in Loop: Header=BB184_53 Depth=1
	v_add_co_u32_e32 v56, vcc, v63, v47
	v_addc_co_u32_e32 v57, vcc, v50, v48, vcc
	global_load_ushort v4, v[56:57], off
	v_add_co_u32_e32 v56, vcc, v51, v47
	v_addc_co_u32_e32 v57, vcc, v0, v48, vcc
	global_load_ushort v12, v[56:57], off
	s_waitcnt vmcnt(1)
	v_cvt_f32_f16_e32 v4, v4
	s_waitcnt vmcnt(0)
	v_cvt_f32_f16_e32 v12, v12
.LBB184_62:                             ;   in Loop: Header=BB184_53 Depth=1
	s_or_b64 exec, exec, s[0:1]
	v_add_co_u32_e32 v56, vcc, 0xffffff03, v53
	v_addc_co_u32_e32 v57, vcc, -1, v54, vcc
	v_cmp_gt_i64_e32 vcc, s[12:13], v[56:57]
	s_and_saveexec_b64 s[0:1], vcc
	s_cbranch_execz .LBB184_64
; %bb.63:                               ;   in Loop: Header=BB184_53 Depth=1
	v_add_co_u32_e32 v56, vcc, v59, v47
	v_addc_co_u32_e32 v57, vcc, v60, v48, vcc
	global_load_ushort v5, v[56:57], off
	v_add_co_u32_e32 v56, vcc, v61, v47
	v_addc_co_u32_e32 v57, vcc, v62, v48, vcc
	global_load_ushort v13, v[56:57], off
	s_waitcnt vmcnt(1)
	v_cvt_f32_f16_e32 v5, v5
	s_waitcnt vmcnt(0)
	v_cvt_f32_f16_e32 v13, v13
.LBB184_64:                             ;   in Loop: Header=BB184_53 Depth=1
	s_or_b64 exec, exec, s[0:1]
	v_add_co_u32_e32 v56, vcc, 0xffffff04, v53
	v_addc_co_u32_e32 v57, vcc, -1, v54, vcc
	v_cmp_gt_i64_e32 vcc, s[12:13], v[56:57]
	s_and_saveexec_b64 s[0:1], vcc
	s_cbranch_execz .LBB184_66
; %bb.65:                               ;   in Loop: Header=BB184_53 Depth=1
	buffer_load_dword v6, off, s[36:39], 0 offset:80 ; 4-byte Folded Reload
	buffer_load_dword v14, off, s[36:39], 0 offset:88 ; 4-byte Folded Reload
	s_waitcnt vmcnt(1)
	v_add_co_u32_e32 v56, vcc, v6, v47
	buffer_load_dword v6, off, s[36:39], 0 offset:84 ; 4-byte Folded Reload
	s_waitcnt vmcnt(0)
	v_addc_co_u32_e32 v57, vcc, v6, v48, vcc
	global_load_ushort v6, v[56:57], off
	v_add_co_u32_e32 v56, vcc, v14, v47
	v_addc_co_u32_e32 v57, vcc, v58, v48, vcc
	global_load_ushort v14, v[56:57], off
	s_waitcnt vmcnt(1)
	v_cvt_f32_f16_e32 v6, v6
	s_waitcnt vmcnt(0)
	v_cvt_f32_f16_e32 v14, v14
.LBB184_66:                             ;   in Loop: Header=BB184_53 Depth=1
	s_or_b64 exec, exec, s[0:1]
	v_add_co_u32_e32 v56, vcc, 0xffffff05, v53
	v_addc_co_u32_e32 v57, vcc, -1, v54, vcc
	v_cmp_gt_i64_e32 vcc, s[12:13], v[56:57]
	s_and_saveexec_b64 s[0:1], vcc
	s_cbranch_execz .LBB184_68
; %bb.67:                               ;   in Loop: Header=BB184_53 Depth=1
	buffer_load_dword v7, off, s[36:39], 0 offset:64 ; 4-byte Folded Reload
	buffer_load_dword v15, off, s[36:39], 0 offset:72 ; 4-byte Folded Reload
	s_waitcnt vmcnt(1)
	v_add_co_u32_e32 v56, vcc, v7, v47
	buffer_load_dword v7, off, s[36:39], 0 offset:68 ; 4-byte Folded Reload
	s_waitcnt vmcnt(0)
	v_addc_co_u32_e32 v57, vcc, v7, v48, vcc
	global_load_ushort v7, v[56:57], off
	v_add_co_u32_e32 v56, vcc, v15, v47
	buffer_load_dword v15, off, s[36:39], 0 offset:76 ; 4-byte Folded Reload
	s_waitcnt vmcnt(1)
	v_cvt_f32_f16_e32 v7, v7
	s_waitcnt vmcnt(0)
	v_addc_co_u32_e32 v57, vcc, v15, v48, vcc
	global_load_ushort v15, v[56:57], off
	s_waitcnt vmcnt(0)
	v_cvt_f32_f16_e32 v15, v15
.LBB184_68:                             ;   in Loop: Header=BB184_53 Depth=1
	s_or_b64 exec, exec, s[0:1]
	v_add_co_u32_e32 v56, vcc, 0xffffff06, v53
	v_addc_co_u32_e32 v57, vcc, -1, v54, vcc
	v_cmp_gt_i64_e32 vcc, s[12:13], v[56:57]
	s_and_saveexec_b64 s[0:1], vcc
	s_cbranch_execz .LBB184_70
; %bb.69:                               ;   in Loop: Header=BB184_53 Depth=1
	buffer_load_dword v8, off, s[36:39], 0 offset:48 ; 4-byte Folded Reload
	buffer_load_dword v16, off, s[36:39], 0 offset:56 ; 4-byte Folded Reload
	s_waitcnt vmcnt(1)
	v_add_co_u32_e32 v56, vcc, v8, v47
	buffer_load_dword v8, off, s[36:39], 0 offset:52 ; 4-byte Folded Reload
	s_waitcnt vmcnt(0)
	v_addc_co_u32_e32 v57, vcc, v8, v48, vcc
	global_load_ushort v8, v[56:57], off
	v_add_co_u32_e32 v56, vcc, v16, v47
	buffer_load_dword v16, off, s[36:39], 0 offset:60 ; 4-byte Folded Reload
	s_waitcnt vmcnt(1)
	v_cvt_f32_f16_e32 v8, v8
	s_waitcnt vmcnt(0)
	v_addc_co_u32_e32 v57, vcc, v16, v48, vcc
	global_load_ushort v16, v[56:57], off
	s_waitcnt vmcnt(0)
	v_cvt_f32_f16_e32 v16, v16
.LBB184_70:                             ;   in Loop: Header=BB184_53 Depth=1
	;; [unrolled: 25-line block ×4, first 2 shown]
	s_or_b64 exec, exec, s[0:1]
	s_waitcnt vmcnt(0)
	ds_bpermute_b32 v49, v1, v55
	v_mul_f32_e32 v3, v11, v3
	v_mul_f32_e32 v4, v12, v4
	s_mov_b64 s[0:1], 0
	s_waitcnt lgkmcnt(0)
	v_fma_f32 v49, v3, v49, v52
	ds_bpermute_b32 v3, v1, v55 offset:4
	s_waitcnt lgkmcnt(0)
	v_fmac_f32_e32 v49, v4, v3
	ds_bpermute_b32 v3, v1, v55 offset:8
	v_mul_f32_e32 v4, v13, v5
	s_waitcnt lgkmcnt(0)
	v_fmac_f32_e32 v49, v4, v3
	ds_bpermute_b32 v3, v1, v55 offset:12
	v_mul_f32_e32 v4, v14, v6
	;; [unrolled: 4-line block ×6, first 2 shown]
	s_waitcnt lgkmcnt(0)
	v_fmac_f32_e32 v49, v4, v3
.LBB184_75:                             ;   in Loop: Header=BB184_53 Depth=1
	s_and_b64 vcc, exec, s[0:1]
	s_cbranch_vccz .LBB184_81
; %bb.76:                               ;   in Loop: Header=BB184_53 Depth=1
	s_load_dword s0, s[2:3], 0x0
	s_waitcnt lgkmcnt(0)
	s_cmp_lt_u32 s6, s0
	s_cselect_b32 s0, 12, 18
	s_add_u32 s0, s2, s0
	s_addc_u32 s1, s3, 0
	global_load_ushort v3, v2, s[0:1]
	buffer_load_dword v4, off, s[36:39], 0 offset:92 ; 4-byte Folded Reload
	buffer_load_dword v5, off, s[36:39], 0 offset:96 ; 4-byte Folded Reload
	s_waitcnt vmcnt(0)
	v_mad_u32_u24 v3, v5, v3, v4
	v_and_b32_e32 v3, 63, v3
	v_cmp_gt_u32_e32 vcc, 8, v3
	v_mov_b32_e32 v5, 0
	s_and_saveexec_b64 s[0:1], vcc
	s_cbranch_execz .LBB184_80
; %bb.77:                               ;   in Loop: Header=BB184_53 Depth=1
	v_add_co_u32_e32 v3, vcc, v53, v3
	v_addc_co_u32_e32 v4, vcc, 0, v54, vcc
	v_add_co_u32_e32 v3, vcc, 0xffffff01, v3
	v_addc_co_u32_e32 v4, vcc, -1, v4, vcc
	v_cmp_gt_i64_e32 vcc, s[12:13], v[3:4]
	v_mov_b32_e32 v5, 0
	s_and_saveexec_b64 s[16:17], vcc
	s_cbranch_execz .LBB184_79
; %bb.78:                               ;   in Loop: Header=BB184_53 Depth=1
	v_lshlrev_b64 v[3:4], 2, v[3:4]
	v_mov_b32_e32 v5, s11
	v_add_co_u32_e32 v3, vcc, s10, v3
	v_addc_co_u32_e32 v4, vcc, v5, v4, vcc
	global_load_dword v5, v[3:4], off
.LBB184_79:                             ;   in Loop: Header=BB184_53 Depth=1
	s_or_b64 exec, exec, s[16:17]
.LBB184_80:                             ;   in Loop: Header=BB184_53 Depth=1
	s_or_b64 exec, exec, s[0:1]
	buffer_load_dword v3, off, s[36:39], 0  ; 4-byte Folded Reload
	buffer_load_dword v4, off, s[36:39], 0 offset:4 ; 4-byte Folded Reload
	s_waitcnt vmcnt(1)
	v_add_co_u32_e32 v3, vcc, v3, v47
	s_waitcnt vmcnt(0)
	v_addc_co_u32_e32 v4, vcc, v4, v48, vcc
	global_load_ushort v3, v[3:4], off
	s_waitcnt vmcnt(0)
	v_cvt_f32_f16_e32 v18, v3
	buffer_load_dword v3, off, s[36:39], 0 offset:8 ; 4-byte Folded Reload
	buffer_load_dword v4, off, s[36:39], 0 offset:12 ; 4-byte Folded Reload
	s_waitcnt vmcnt(1)
	v_add_co_u32_e32 v3, vcc, v3, v47
	s_waitcnt vmcnt(0)
	v_addc_co_u32_e32 v4, vcc, v4, v48, vcc
	global_load_ushort v3, v[3:4], off
	s_waitcnt vmcnt(0)
	v_cvt_f32_f16_e32 v49, v3
	v_add_co_u32_e32 v3, vcc, v19, v47
	v_addc_co_u32_e32 v4, vcc, v20, v48, vcc
	v_add_co_u32_e32 v6, vcc, v21, v47
	v_addc_co_u32_e32 v7, vcc, v22, v48, vcc
	global_load_ushort v3, v[3:4], off
	v_mul_f32_e32 v18, v18, v49
	global_load_ushort v4, v[6:7], off
	v_add_co_u32_e32 v6, vcc, v23, v47
	v_addc_co_u32_e32 v7, vcc, v24, v48, vcc
	v_add_co_u32_e32 v9, vcc, v25, v47
	v_addc_co_u32_e32 v10, vcc, v26, v48, vcc
	;; [unrolled: 2-line block ×3, first 2 shown]
	s_waitcnt vmcnt(1)
	v_cvt_f32_f16_e32 v3, v3
	s_waitcnt vmcnt(0)
	v_cvt_f32_f16_e32 v8, v4
	global_load_ushort v4, v[6:7], off
	v_mul_f32_e32 v3, v3, v8
	s_waitcnt vmcnt(0)
	v_cvt_f32_f16_e32 v6, v4
	global_load_ushort v4, v[9:10], off
	s_waitcnt vmcnt(0)
	v_cvt_f32_f16_e32 v10, v4
	global_load_ushort v4, v[11:12], off
	v_add_co_u32_e32 v11, vcc, v29, v47
	v_addc_co_u32_e32 v12, vcc, v30, v48, vcc
	v_mul_f32_e32 v6, v6, v10
	s_waitcnt vmcnt(0)
	v_cvt_f32_f16_e32 v7, v4
	global_load_ushort v4, v[11:12], off
	v_add_co_u32_e32 v11, vcc, v31, v47
	v_addc_co_u32_e32 v12, vcc, v32, v48, vcc
	s_waitcnt vmcnt(0)
	v_cvt_f32_f16_e32 v13, v4
	global_load_ushort v4, v[11:12], off
	v_add_co_u32_e32 v11, vcc, v33, v47
	v_addc_co_u32_e32 v12, vcc, v34, v48, vcc
	global_load_ushort v9, v[11:12], off
	v_add_co_u32_e32 v11, vcc, v35, v47
	v_addc_co_u32_e32 v12, vcc, v36, v48, vcc
	v_add_co_u32_e32 v14, vcc, v37, v47
	v_addc_co_u32_e32 v15, vcc, v38, v48, vcc
	global_load_ushort v11, v[11:12], off
	v_add_co_u32_e32 v16, vcc, v39, v47
	global_load_ushort v12, v[14:15], off
	v_addc_co_u32_e32 v17, vcc, v40, v48, vcc
	s_waitcnt vmcnt(3)
	v_cvt_f32_f16_e32 v4, v4
	s_waitcnt vmcnt(2)
	v_cvt_f32_f16_e32 v9, v9
	v_mul_f32_e32 v4, v4, v9
	s_waitcnt vmcnt(1)
	v_cvt_f32_f16_e32 v11, v11
	s_waitcnt vmcnt(0)
	v_cvt_f32_f16_e32 v15, v12
	global_load_ushort v12, v[16:17], off
	v_add_co_u32_e32 v16, vcc, v41, v47
	v_addc_co_u32_e32 v17, vcc, v42, v48, vcc
	v_add_co_u32_e32 v53, vcc, v43, v47
	v_addc_co_u32_e32 v54, vcc, v44, v48, vcc
	s_waitcnt vmcnt(0)
	v_cvt_f32_f16_e32 v14, v12
	global_load_ushort v12, v[16:17], off
	s_waitcnt vmcnt(0)
	v_cvt_f32_f16_e32 v17, v12
	global_load_ushort v12, v[53:54], off
	v_add_co_u32_e32 v53, vcc, v45, v47
	v_addc_co_u32_e32 v54, vcc, v46, v48, vcc
	global_load_ushort v16, v[53:54], off
	ds_bpermute_b32 v53, v1, v5
	s_waitcnt lgkmcnt(0)
	v_fmac_f32_e32 v52, v18, v53
	ds_bpermute_b32 v18, v1, v5 offset:4
	s_waitcnt lgkmcnt(0)
	v_fmac_f32_e32 v52, v3, v18
	ds_bpermute_b32 v3, v1, v5 offset:8
	;; [unrolled: 3-line block ×3, first 2 shown]
	v_mul_f32_e32 v6, v7, v13
	s_waitcnt lgkmcnt(0)
	v_fmac_f32_e32 v52, v6, v3
	ds_bpermute_b32 v3, v1, v5 offset:16
	s_waitcnt lgkmcnt(0)
	v_fmac_f32_e32 v52, v4, v3
	ds_bpermute_b32 v3, v1, v5 offset:20
	v_mul_f32_e32 v4, v11, v15
	s_waitcnt lgkmcnt(0)
	v_fmac_f32_e32 v52, v4, v3
	ds_bpermute_b32 v3, v1, v5 offset:24
	v_mul_f32_e32 v4, v14, v17
	s_waitcnt lgkmcnt(0)
	v_fmac_f32_e32 v52, v4, v3
	ds_bpermute_b32 v3, v1, v5 offset:28
	s_waitcnt vmcnt(1)
	v_cvt_f32_f16_e32 v12, v12
	s_waitcnt vmcnt(0)
	v_cvt_f32_f16_e32 v16, v16
	v_mul_f32_e32 v4, v12, v16
	s_waitcnt lgkmcnt(0)
	v_fmac_f32_e32 v52, v4, v3
	v_mov_b32_e32 v49, v52
.LBB184_81:                             ;   in Loop: Header=BB184_53 Depth=1
	buffer_load_dword v3, off, s[36:39], 0  ; 4-byte Folded Reload
	buffer_load_dword v4, off, s[36:39], 0 offset:4 ; 4-byte Folded Reload
	s_add_u32 s20, s20, s7
	s_addc_u32 s21, s21, 0
	s_add_u32 s22, s22, s7
	s_addc_u32 s23, s23, 0
	s_waitcnt vmcnt(1)
	v_add_co_u32_e32 v3, vcc, s8, v3
	buffer_store_dword v3, off, s[36:39], 0 ; 4-byte Folded Spill
	v_mov_b32_e32 v3, s9
	s_waitcnt vmcnt(1)
	v_addc_co_u32_e32 v4, vcc, v4, v3, vcc
	buffer_store_dword v4, off, s[36:39], 0 offset:4 ; 4-byte Folded Spill
	buffer_load_dword v4, off, s[36:39], 0 offset:8 ; 4-byte Folded Reload
	s_waitcnt vmcnt(0)
	v_add_co_u32_e32 v4, vcc, s8, v4
	buffer_store_dword v4, off, s[36:39], 0 offset:8 ; 4-byte Folded Spill
	buffer_load_dword v4, off, s[36:39], 0 offset:12 ; 4-byte Folded Reload
	s_waitcnt vmcnt(0)
	v_addc_co_u32_e32 v4, vcc, v4, v3, vcc
	buffer_store_dword v4, off, s[36:39], 0 offset:12 ; 4-byte Folded Spill
	buffer_load_dword v4, off, s[36:39], 0 offset:16 ; 4-byte Folded Reload
	v_add_co_u32_e32 v19, vcc, s8, v19
	v_addc_co_u32_e32 v20, vcc, v20, v3, vcc
	v_add_co_u32_e32 v23, vcc, s8, v23
	v_addc_co_u32_e32 v24, vcc, v24, v3, vcc
	;; [unrolled: 2-line block ×14, first 2 shown]
	s_waitcnt vmcnt(0)
	v_add_co_u32_e32 v4, vcc, s8, v4
	buffer_store_dword v4, off, s[36:39], 0 offset:16 ; 4-byte Folded Spill
	buffer_load_dword v4, off, s[36:39], 0 offset:20 ; 4-byte Folded Reload
	s_waitcnt vmcnt(0)
	v_addc_co_u32_e32 v4, vcc, v4, v3, vcc
	buffer_store_dword v4, off, s[36:39], 0 offset:20 ; 4-byte Folded Spill
	buffer_load_dword v4, off, s[36:39], 0 offset:24 ; 4-byte Folded Reload
	s_waitcnt vmcnt(0)
	v_add_co_u32_e32 v4, vcc, s8, v4
	buffer_store_dword v4, off, s[36:39], 0 offset:24 ; 4-byte Folded Spill
	buffer_load_dword v4, off, s[36:39], 0 offset:28 ; 4-byte Folded Reload
	s_waitcnt vmcnt(0)
	v_addc_co_u32_e32 v4, vcc, v4, v3, vcc
	buffer_store_dword v4, off, s[36:39], 0 offset:28 ; 4-byte Folded Spill
	buffer_load_dword v4, off, s[36:39], 0 offset:32 ; 4-byte Folded Reload
	;; [unrolled: 8-line block ×9, first 2 shown]
	s_waitcnt vmcnt(0)
	v_add_co_u32_e32 v4, vcc, s8, v4
	v_addc_co_u32_e32 v58, vcc, v58, v3, vcc
	v_add_co_u32_e32 v59, vcc, s8, v59
	v_addc_co_u32_e32 v60, vcc, v60, v3, vcc
	;; [unrolled: 2-line block ×4, first 2 shown]
	v_add_co_u32_e32 v51, vcc, s8, v51
	buffer_store_dword v4, off, s[36:39], 0 offset:88 ; 4-byte Folded Spill
	v_addc_co_u32_e32 v0, vcc, v0, v3, vcc
	v_mov_b32_e32 v3, s12
	v_mov_b32_e32 v4, s13
	v_cmp_ge_i64_e32 vcc, s[20:21], v[3:4]
	s_cbranch_vccnz .LBB184_83
; %bb.82:                               ;   in Loop: Header=BB184_53 Depth=1
	v_mov_b32_e32 v52, v49
	s_branch .LBB184_53
.LBB184_83:
	buffer_load_dword v60, off, s[36:39], 0 offset:92 ; 4-byte Folded Reload
	buffer_load_dword v1, off, s[36:39], 0 offset:96 ; 4-byte Folded Reload
.LBB184_84:
	s_waitcnt vmcnt(0)
	v_mad_u32_u24 v0, v1, 33, v60
	v_sub_u32_e32 v4, v0, v1
	s_movk_i32 s0, 0x800
	v_lshl_add_u32 v3, v0, 2, 0
	v_mov_b32_e32 v2, 0
	v_cmp_gt_u32_e32 vcc, s0, v4
	ds_write_b32 v3, v49
	ds_write_b32 v3, v2 offset:4224
	s_waitcnt lgkmcnt(0)
	s_barrier
	s_and_saveexec_b64 s[0:1], vcc
	s_cbranch_execz .LBB184_94
; %bb.85:
	s_load_dwordx2 s[4:5], s[4:5], 0x30
	v_and_b32_e32 v0, 63, v4
	v_lshrrev_b32_e32 v2, 6, v4
	v_cmp_gt_u32_e32 vcc, 32, v0
	v_mul_u32_u24_e32 v3, 33, v0
                                        ; implicit-def: $vgpr0
	s_and_saveexec_b64 s[0:1], vcc
; %bb.86:
	v_lshlrev_b32_e32 v0, 2, v2
	v_lshlrev_b32_e32 v1, 2, v3
	v_add3_u32 v0, 0, v0, v1
	ds_read_b32 v0, v0
; %bb.87:
	s_or_b64 exec, exec, s[0:1]
	v_mbcnt_lo_u32_b32 v1, -1, 0
	v_mbcnt_hi_u32_b32 v1, -1, v1
	v_and_b32_e32 v5, 64, v1
	v_add_u32_e32 v9, 64, v5
	v_xor_b32_e32 v5, 16, v1
	v_cmp_lt_i32_e64 s[0:1], v5, v9
	v_cndmask_b32_e64 v5, v1, v5, s[0:1]
	v_lshlrev_b32_e32 v5, 2, v5
	s_waitcnt lgkmcnt(0)
	ds_bpermute_b32 v6, v5, v0
	v_xor_b32_e32 v7, 8, v1
	v_cmp_lt_i32_e64 s[0:1], v7, v9
	v_xor_b32_e32 v8, 4, v1
	v_xor_b32_e32 v10, 2, v1
	s_waitcnt lgkmcnt(0)
	v_add_f32_e32 v0, v0, v6
	v_cndmask_b32_e64 v6, v1, v7, s[0:1]
	v_lshlrev_b32_e32 v6, 2, v6
	ds_bpermute_b32 v7, v6, v0
	v_cmp_lt_i32_e64 s[0:1], v8, v9
	s_mov_b32 s7, 0
	s_lshl_b64 s[6:7], s[6:7], 5
	s_cmp_eq_u64 s[4:5], 0
	s_waitcnt lgkmcnt(0)
	v_add_f32_e32 v0, v0, v7
	v_cndmask_b32_e64 v7, v1, v8, s[0:1]
	v_lshlrev_b32_e32 v7, 2, v7
	ds_bpermute_b32 v8, v7, v0
	v_cmp_lt_i32_e64 s[0:1], v10, v9
	s_cselect_b64 s[8:9], -1, 0
	s_waitcnt lgkmcnt(0)
	v_add_f32_e32 v0, v0, v8
	v_cndmask_b32_e64 v8, v1, v10, s[0:1]
	v_lshlrev_b32_e32 v8, 2, v8
	ds_bpermute_b32 v10, v8, v0
	v_cmp_ne_u32_e64 s[0:1], 0, v60
	s_waitcnt lgkmcnt(0)
	v_add_f32_e32 v10, v0, v10
	v_xor_b32_e32 v0, 1, v1
	v_cmp_lt_i32_e64 s[2:3], v0, v9
	v_cndmask_b32_e64 v0, v1, v0, s[2:3]
	v_lshlrev_b32_e32 v9, 2, v0
	ds_bpermute_b32 v11, v9, v10
	v_or_b32_e32 v0, s6, v2
	v_mov_b32_e32 v1, s7
	v_cmp_le_i64_e64 s[2:3], s[14:15], v[0:1]
	s_or_b64 s[2:3], s[0:1], s[2:3]
	s_waitcnt lgkmcnt(0)
	v_add_f32_e32 v10, v10, v11
	s_nor_b64 s[2:3], s[8:9], s[2:3]
	s_and_saveexec_b64 s[10:11], s[2:3]
	s_cbranch_execz .LBB184_89
; %bb.88:
	v_lshlrev_b64 v[0:1], 1, v[0:1]
	v_cvt_f16_f32_e32 v12, v10
	v_mov_b32_e32 v11, s5
	v_add_co_u32_e64 v0, s[2:3], s4, v0
	v_addc_co_u32_e64 v1, s[2:3], v11, v1, s[2:3]
	global_store_short v[0:1], v12, off
.LBB184_89:
	s_or_b64 exec, exec, s[10:11]
	s_movk_i32 s2, 0x400
	v_cmp_gt_u32_e64 s[2:3], s2, v4
	s_and_b64 exec, exec, s[2:3]
	s_cbranch_execz .LBB184_94
; %bb.90:
	s_and_saveexec_b64 s[2:3], vcc
; %bb.91:
	v_lshlrev_b32_e32 v0, 2, v2
	v_lshlrev_b32_e32 v1, 2, v3
	v_add3_u32 v0, 0, v0, v1
	ds_read_b32 v10, v0 offset:64
; %bb.92:
	s_or_b64 exec, exec, s[2:3]
	s_waitcnt lgkmcnt(0)
	ds_bpermute_b32 v0, v5, v10
	v_add_u32_e32 v3, 16, v2
	v_or_b32_e32 v3, s6, v3
	v_mov_b32_e32 v4, s7
	v_cmp_le_i64_e32 vcc, s[14:15], v[3:4]
	s_waitcnt lgkmcnt(0)
	v_add_f32_e32 v0, v10, v0
	ds_bpermute_b32 v1, v6, v0
	s_or_b64 s[0:1], s[0:1], vcc
	s_nor_b64 s[0:1], s[8:9], s[0:1]
	s_waitcnt lgkmcnt(0)
	v_add_f32_e32 v0, v0, v1
	ds_bpermute_b32 v1, v7, v0
	s_waitcnt lgkmcnt(0)
	v_add_f32_e32 v0, v0, v1
	ds_bpermute_b32 v1, v8, v0
	;; [unrolled: 3-line block ×3, first 2 shown]
	s_and_saveexec_b64 s[2:3], s[0:1]
	s_xor_b64 s[2:3], exec, s[2:3]
	s_cbranch_execz .LBB184_94
; %bb.93:
	s_waitcnt lgkmcnt(0)
	v_add_f32_e32 v3, v0, v1
	v_mov_b32_e32 v1, s7
	v_add_co_u32_e32 v0, vcc, s6, v2
	v_addc_co_u32_e32 v1, vcc, 0, v1, vcc
	v_lshlrev_b64 v[0:1], 1, v[0:1]
	v_cvt_f16_f32_e32 v3, v3
	v_mov_b32_e32 v2, s5
	v_add_co_u32_e32 v0, vcc, s4, v0
	v_addc_co_u32_e32 v1, vcc, v2, v1, vcc
	global_store_short v[0:1], v3, off offset:32
.LBB184_94:
	s_endpgm
	.section	.rodata,"a",@progbits
	.p2align	6, 0x0
	.amdhsa_kernel _ZN2at6native12_GLOBAL__N_135GammaBetaBackwardCUDAKernelTemplateIN3c104HalfEfLj32ELj32ELj256ELb0ELb0ELb1EEEvllPKT_S7_PKT0_SA_PS5_SB_
		.amdhsa_group_segment_fixed_size 0
		.amdhsa_private_segment_fixed_size 108
		.amdhsa_kernarg_size 320
		.amdhsa_user_sgpr_count 6
		.amdhsa_user_sgpr_private_segment_buffer 1
		.amdhsa_user_sgpr_dispatch_ptr 0
		.amdhsa_user_sgpr_queue_ptr 0
		.amdhsa_user_sgpr_kernarg_segment_ptr 1
		.amdhsa_user_sgpr_dispatch_id 0
		.amdhsa_user_sgpr_flat_scratch_init 0
		.amdhsa_user_sgpr_private_segment_size 0
		.amdhsa_uses_dynamic_stack 0
		.amdhsa_system_sgpr_private_segment_wavefront_offset 1
		.amdhsa_system_sgpr_workgroup_id_x 1
		.amdhsa_system_sgpr_workgroup_id_y 1
		.amdhsa_system_sgpr_workgroup_id_z 0
		.amdhsa_system_sgpr_workgroup_info 0
		.amdhsa_system_vgpr_workitem_id 1
		.amdhsa_next_free_vgpr 64
		.amdhsa_next_free_sgpr 40
		.amdhsa_reserve_vcc 1
		.amdhsa_reserve_flat_scratch 0
		.amdhsa_float_round_mode_32 0
		.amdhsa_float_round_mode_16_64 0
		.amdhsa_float_denorm_mode_32 3
		.amdhsa_float_denorm_mode_16_64 3
		.amdhsa_dx10_clamp 1
		.amdhsa_ieee_mode 1
		.amdhsa_fp16_overflow 0
		.amdhsa_exception_fp_ieee_invalid_op 0
		.amdhsa_exception_fp_denorm_src 0
		.amdhsa_exception_fp_ieee_div_zero 0
		.amdhsa_exception_fp_ieee_overflow 0
		.amdhsa_exception_fp_ieee_underflow 0
		.amdhsa_exception_fp_ieee_inexact 0
		.amdhsa_exception_int_div_zero 0
	.end_amdhsa_kernel
	.section	.text._ZN2at6native12_GLOBAL__N_135GammaBetaBackwardCUDAKernelTemplateIN3c104HalfEfLj32ELj32ELj256ELb0ELb0ELb1EEEvllPKT_S7_PKT0_SA_PS5_SB_,"axG",@progbits,_ZN2at6native12_GLOBAL__N_135GammaBetaBackwardCUDAKernelTemplateIN3c104HalfEfLj32ELj32ELj256ELb0ELb0ELb1EEEvllPKT_S7_PKT0_SA_PS5_SB_,comdat
.Lfunc_end184:
	.size	_ZN2at6native12_GLOBAL__N_135GammaBetaBackwardCUDAKernelTemplateIN3c104HalfEfLj32ELj32ELj256ELb0ELb0ELb1EEEvllPKT_S7_PKT0_SA_PS5_SB_, .Lfunc_end184-_ZN2at6native12_GLOBAL__N_135GammaBetaBackwardCUDAKernelTemplateIN3c104HalfEfLj32ELj32ELj256ELb0ELb0ELb1EEEvllPKT_S7_PKT0_SA_PS5_SB_
                                        ; -- End function
	.set _ZN2at6native12_GLOBAL__N_135GammaBetaBackwardCUDAKernelTemplateIN3c104HalfEfLj32ELj32ELj256ELb0ELb0ELb1EEEvllPKT_S7_PKT0_SA_PS5_SB_.num_vgpr, 64
	.set _ZN2at6native12_GLOBAL__N_135GammaBetaBackwardCUDAKernelTemplateIN3c104HalfEfLj32ELj32ELj256ELb0ELb0ELb1EEEvllPKT_S7_PKT0_SA_PS5_SB_.num_agpr, 0
	.set _ZN2at6native12_GLOBAL__N_135GammaBetaBackwardCUDAKernelTemplateIN3c104HalfEfLj32ELj32ELj256ELb0ELb0ELb1EEEvllPKT_S7_PKT0_SA_PS5_SB_.numbered_sgpr, 40
	.set _ZN2at6native12_GLOBAL__N_135GammaBetaBackwardCUDAKernelTemplateIN3c104HalfEfLj32ELj32ELj256ELb0ELb0ELb1EEEvllPKT_S7_PKT0_SA_PS5_SB_.num_named_barrier, 0
	.set _ZN2at6native12_GLOBAL__N_135GammaBetaBackwardCUDAKernelTemplateIN3c104HalfEfLj32ELj32ELj256ELb0ELb0ELb1EEEvllPKT_S7_PKT0_SA_PS5_SB_.private_seg_size, 108
	.set _ZN2at6native12_GLOBAL__N_135GammaBetaBackwardCUDAKernelTemplateIN3c104HalfEfLj32ELj32ELj256ELb0ELb0ELb1EEEvllPKT_S7_PKT0_SA_PS5_SB_.uses_vcc, 1
	.set _ZN2at6native12_GLOBAL__N_135GammaBetaBackwardCUDAKernelTemplateIN3c104HalfEfLj32ELj32ELj256ELb0ELb0ELb1EEEvllPKT_S7_PKT0_SA_PS5_SB_.uses_flat_scratch, 0
	.set _ZN2at6native12_GLOBAL__N_135GammaBetaBackwardCUDAKernelTemplateIN3c104HalfEfLj32ELj32ELj256ELb0ELb0ELb1EEEvllPKT_S7_PKT0_SA_PS5_SB_.has_dyn_sized_stack, 0
	.set _ZN2at6native12_GLOBAL__N_135GammaBetaBackwardCUDAKernelTemplateIN3c104HalfEfLj32ELj32ELj256ELb0ELb0ELb1EEEvllPKT_S7_PKT0_SA_PS5_SB_.has_recursion, 0
	.set _ZN2at6native12_GLOBAL__N_135GammaBetaBackwardCUDAKernelTemplateIN3c104HalfEfLj32ELj32ELj256ELb0ELb0ELb1EEEvllPKT_S7_PKT0_SA_PS5_SB_.has_indirect_call, 0
	.section	.AMDGPU.csdata,"",@progbits
; Kernel info:
; codeLenInByte = 7976
; TotalNumSgprs: 44
; NumVgprs: 64
; ScratchSize: 108
; MemoryBound: 0
; FloatMode: 240
; IeeeMode: 1
; LDSByteSize: 0 bytes/workgroup (compile time only)
; SGPRBlocks: 5
; VGPRBlocks: 15
; NumSGPRsForWavesPerEU: 44
; NumVGPRsForWavesPerEU: 64
; Occupancy: 4
; WaveLimiterHint : 0
; COMPUTE_PGM_RSRC2:SCRATCH_EN: 1
; COMPUTE_PGM_RSRC2:USER_SGPR: 6
; COMPUTE_PGM_RSRC2:TRAP_HANDLER: 0
; COMPUTE_PGM_RSRC2:TGID_X_EN: 1
; COMPUTE_PGM_RSRC2:TGID_Y_EN: 1
; COMPUTE_PGM_RSRC2:TGID_Z_EN: 0
; COMPUTE_PGM_RSRC2:TIDIG_COMP_CNT: 1
	.section	.text._ZN2at6native12_GLOBAL__N_118cuComputeGradInputIN3c108BFloat16EfLb1EEEvPKT_S7_llPKT0_SA_S7_PS5_,"axG",@progbits,_ZN2at6native12_GLOBAL__N_118cuComputeGradInputIN3c108BFloat16EfLb1EEEvPKT_S7_llPKT0_SA_S7_PS5_,comdat
	.globl	_ZN2at6native12_GLOBAL__N_118cuComputeGradInputIN3c108BFloat16EfLb1EEEvPKT_S7_llPKT0_SA_S7_PS5_ ; -- Begin function _ZN2at6native12_GLOBAL__N_118cuComputeGradInputIN3c108BFloat16EfLb1EEEvPKT_S7_llPKT0_SA_S7_PS5_
	.p2align	8
	.type	_ZN2at6native12_GLOBAL__N_118cuComputeGradInputIN3c108BFloat16EfLb1EEEvPKT_S7_llPKT0_SA_S7_PS5_,@function
_ZN2at6native12_GLOBAL__N_118cuComputeGradInputIN3c108BFloat16EfLb1EEEvPKT_S7_llPKT0_SA_S7_PS5_: ; @_ZN2at6native12_GLOBAL__N_118cuComputeGradInputIN3c108BFloat16EfLb1EEEvPKT_S7_llPKT0_SA_S7_PS5_
; %bb.0:
	s_load_dwordx4 s[16:19], s[4:5], 0x10
	s_mov_b32 s14, s7
	s_ashr_i32 s15, s7, 31
	v_mov_b32_e32 v2, s14
	v_mov_b32_e32 v3, s15
	s_waitcnt lgkmcnt(0)
	v_cmp_le_i64_e32 vcc, s[16:17], v[2:3]
	s_cbranch_vccnz .LBB185_49
; %bb.1:
	s_load_dword s0, s[4:5], 0x4c
	s_load_dwordx4 s[20:23], s[4:5], 0x30
	s_load_dword s33, s[4:5], 0x44
	s_load_dwordx4 s[24:27], s[4:5], 0x0
	s_load_dwordx2 s[34:35], s[4:5], 0x28
	v_cmp_gt_i64_e64 s[4:5], s[18:19], 0
	s_waitcnt lgkmcnt(0)
	s_lshr_b32 s38, s0, 16
	s_and_b32 s39, s0, 0xffff
	s_cmp_lg_u64 s[20:21], 0
	s_cselect_b64 s[8:9], -1, 0
	s_cmp_gt_u32 s39, 1
	s_cselect_b64 s[28:29], -1, 0
	s_cmp_gt_u32 s38, 1
	s_cselect_b64 s[30:31], -1, 0
	s_xor_b32 s1, s18, s19
	s_flbit_i32 s0, s19
	s_ashr_i32 s1, s1, 31
	s_add_i32 s0, s0, -1
	s_add_i32 s1, s1, 32
	s_min_u32 s2, s0, s1
	s_lshl_b64 s[0:1], s[18:19], s2
	s_min_u32 s0, s0, 1
	s_or_b32 s0, s1, s0
	v_cvt_f32_i32_e32 v2, s0
	s_sub_i32 s0, 32, s2
	v_cndmask_b32_e64 v5, 0, 1, s[4:5]
	v_cmp_ne_u32_e64 s[4:5], 1, v5
	v_ldexp_f32 v10, v2, s0
	v_div_scale_f32 v2, s[0:1], v10, v10, 1.0
	v_div_scale_f32 v4, vcc, 1.0, v10, 1.0
	v_mbcnt_lo_u32_b32 v8, -1, 0
	v_mbcnt_hi_u32_b32 v11, -1, v8
	s_mul_i32 s41, s38, s39
	v_mov_b32_e32 v3, 0
	s_ashr_i32 s42, s41, 31
	v_lshlrev_b32_e32 v6, 3, v0
	v_cmp_eq_u32_e64 s[0:1], 0, v1
	v_cmp_ne_u32_e64 s[2:3], 0, v1
	s_movk_i32 s40, 0x7fff
	v_add_u32_e32 v15, 0, v6
	v_mov_b32_e32 v16, 0x7fc0
	v_rcp_f32_e32 v7, v2
	v_fma_f32 v5, -v2, v7, 1.0
	v_fmac_f32_e32 v7, v5, v7
	v_mul_f32_e32 v5, v4, v7
	v_fma_f32 v8, -v2, v5, v4
	v_fmac_f32_e32 v5, v8, v7
	v_fma_f32 v2, -v2, v5, v4
	v_div_fmas_f32 v7, v2, v7, v5
	v_mad_u32_u24 v2, v1, s39, v0
	v_lshlrev_b32_e32 v4, 3, v2
	v_add_u32_e32 v12, s41, v2
	v_cndmask_b32_e64 v5, 0, 1, s[8:9]
	v_cmp_gt_i64_e64 s[6:7], s[18:19], v[2:3]
	v_ashrrev_i32_e32 v8, 31, v12
	v_cmp_ne_u32_e64 s[8:9], 1, v5
	v_add_u32_e32 v13, 0, v4
	v_mov_b32_e32 v5, s42
	v_subrev_co_u32_e32 v4, vcc, s41, v12
	v_subb_co_u32_e32 v5, vcc, v8, v5, vcc
	v_div_fixup_f32 v14, v7, v10, 1.0
	s_branch .LBB185_4
.LBB185_2:                              ;   in Loop: Header=BB185_4 Depth=1
	s_or_b64 exec, exec, s[12:13]
.LBB185_3:                              ;   in Loop: Header=BB185_4 Depth=1
	s_add_i32 s14, s33, s14
	s_ashr_i32 s15, s14, 31
	v_mov_b32_e32 v6, s14
	v_mov_b32_e32 v7, s15
	v_cmp_le_i64_e32 vcc, s[16:17], v[6:7]
	s_waitcnt vmcnt(0)
	s_barrier
	s_cbranch_vccnz .LBB185_49
.LBB185_4:                              ; =>This Loop Header: Depth=1
                                        ;     Child Loop BB185_8 Depth 2
                                        ;     Child Loop BB185_20 Depth 2
                                        ;     Child Loop BB185_27 Depth 2
                                        ;     Child Loop BB185_29 Depth 2
                                        ;     Child Loop BB185_43 Depth 2
                                        ;     Child Loop BB185_48 Depth 2
	s_mul_i32 s10, s14, s19
	s_mul_hi_u32 s11, s14, s18
	s_add_i32 s10, s11, s10
	s_mul_i32 s11, s15, s18
	s_add_i32 s11, s10, s11
	s_lshl_b64 s[12:13], s[14:15], 2
	s_add_u32 s12, s34, s12
	s_mul_i32 s10, s14, s18
	s_addc_u32 s13, s35, s13
	s_load_dword s46, s[12:13], 0x0
	s_lshl_b64 s[36:37], s[10:11], 1
	s_add_u32 s15, s26, s36
	s_addc_u32 s43, s27, s37
	s_add_u32 s44, s24, s36
	s_addc_u32 s45, s25, s37
	s_and_b64 vcc, exec, s[8:9]
	s_cbranch_vccnz .LBB185_14
; %bb.5:                                ;   in Loop: Header=BB185_4 Depth=1
	s_and_b64 vcc, exec, s[4:5]
	s_cbranch_vccnz .LBB185_15
; %bb.6:                                ;   in Loop: Header=BB185_4 Depth=1
	s_mov_b32 s47, 0
	v_mov_b32_e32 v17, 0
	s_branch .LBB185_8
.LBB185_7:                              ;   in Loop: Header=BB185_8 Depth=2
	s_or_b64 exec, exec, s[10:11]
	s_add_i32 s47, s47, s41
	v_mul_f32_e32 v6, v8, v18
	s_ashr_i32 s10, s47, 31
	v_mul_f32_e32 v8, v9, v6
	v_mov_b32_e32 v6, s47
	v_mov_b32_e32 v7, s10
	v_cmp_le_i64_e32 vcc, s[18:19], v[6:7]
	s_waitcnt lgkmcnt(0)
	v_fmac_f32_e32 v17, s46, v8
	s_cbranch_vccnz .LBB185_16
.LBB185_8:                              ;   Parent Loop BB185_4 Depth=1
                                        ; =>  This Inner Loop Header: Depth=2
	v_add_u32_e32 v6, s47, v2
	v_ashrrev_i32_e32 v7, 31, v6
	v_cmp_gt_i64_e32 vcc, s[18:19], v[6:7]
	v_lshlrev_b64 v[6:7], 1, v[6:7]
	v_mov_b32_e32 v8, 0
	s_and_saveexec_b64 s[12:13], vcc
	s_cbranch_execz .LBB185_10
; %bb.9:                                ;   in Loop: Header=BB185_8 Depth=2
	v_mov_b32_e32 v9, s21
	v_add_co_u32_e64 v8, s[10:11], s20, v6
	v_addc_co_u32_e64 v9, s[10:11], v9, v7, s[10:11]
	global_load_ushort v8, v[8:9], off
	s_waitcnt vmcnt(0)
	v_lshlrev_b32_e32 v8, 16, v8
.LBB185_10:                             ;   in Loop: Header=BB185_8 Depth=2
	s_or_b64 exec, exec, s[12:13]
	v_mov_b32_e32 v18, 0
	v_mov_b32_e32 v9, 0
	s_and_saveexec_b64 s[12:13], vcc
	s_cbranch_execz .LBB185_12
; %bb.11:                               ;   in Loop: Header=BB185_8 Depth=2
	v_mov_b32_e32 v9, s43
	v_add_co_u32_e64 v19, s[10:11], s15, v6
	v_addc_co_u32_e64 v20, s[10:11], v9, v7, s[10:11]
	global_load_ushort v9, v[19:20], off
	s_waitcnt vmcnt(0)
	v_lshlrev_b32_e32 v9, 16, v9
.LBB185_12:                             ;   in Loop: Header=BB185_8 Depth=2
	s_or_b64 exec, exec, s[12:13]
	s_and_saveexec_b64 s[10:11], vcc
	s_cbranch_execz .LBB185_7
; %bb.13:                               ;   in Loop: Header=BB185_8 Depth=2
	v_mov_b32_e32 v18, s45
	v_add_co_u32_e32 v6, vcc, s44, v6
	v_addc_co_u32_e32 v7, vcc, v18, v7, vcc
	global_load_ushort v6, v[6:7], off
	s_waitcnt vmcnt(0)
	v_lshlrev_b32_e32 v18, 16, v6
	s_branch .LBB185_7
.LBB185_14:                             ;   in Loop: Header=BB185_4 Depth=1
                                        ; implicit-def: $vgpr17
	s_branch .LBB185_17
.LBB185_15:                             ;   in Loop: Header=BB185_4 Depth=1
	v_mov_b32_e32 v17, 0
.LBB185_16:                             ;   in Loop: Header=BB185_4 Depth=1
	s_cbranch_execnz .LBB185_25
.LBB185_17:                             ;   in Loop: Header=BB185_4 Depth=1
	s_and_b64 vcc, exec, s[4:5]
	s_cbranch_vccnz .LBB185_24
; %bb.18:                               ;   in Loop: Header=BB185_4 Depth=1
	s_mov_b32 s47, 0
	v_mov_b32_e32 v17, 0
	s_branch .LBB185_20
.LBB185_19:                             ;   in Loop: Header=BB185_20 Depth=2
	s_or_b64 exec, exec, s[10:11]
	s_add_i32 s47, s47, s41
	s_ashr_i32 s10, s47, 31
	v_mov_b32_e32 v6, s47
	v_mov_b32_e32 v7, s10
	v_cmp_le_i64_e32 vcc, s[18:19], v[6:7]
	v_mul_f32_e32 v8, v8, v9
	s_waitcnt lgkmcnt(0)
	v_fmac_f32_e32 v17, s46, v8
	s_cbranch_vccnz .LBB185_25
.LBB185_20:                             ;   Parent Loop BB185_4 Depth=1
                                        ; =>  This Inner Loop Header: Depth=2
	v_add_u32_e32 v6, s47, v2
	v_ashrrev_i32_e32 v7, 31, v6
	v_cmp_gt_i64_e32 vcc, s[18:19], v[6:7]
	v_lshlrev_b64 v[6:7], 1, v[6:7]
	v_mov_b32_e32 v8, 0
	s_and_saveexec_b64 s[12:13], vcc
	s_cbranch_execz .LBB185_22
; %bb.21:                               ;   in Loop: Header=BB185_20 Depth=2
	v_mov_b32_e32 v9, s43
	v_add_co_u32_e64 v8, s[10:11], s15, v6
	v_addc_co_u32_e64 v9, s[10:11], v9, v7, s[10:11]
	global_load_ushort v8, v[8:9], off
	s_waitcnt vmcnt(0)
	v_lshlrev_b32_e32 v8, 16, v8
.LBB185_22:                             ;   in Loop: Header=BB185_20 Depth=2
	s_or_b64 exec, exec, s[12:13]
	v_mov_b32_e32 v9, 0
	s_and_saveexec_b64 s[10:11], vcc
	s_cbranch_execz .LBB185_19
; %bb.23:                               ;   in Loop: Header=BB185_20 Depth=2
	v_mov_b32_e32 v9, s45
	v_add_co_u32_e32 v6, vcc, s44, v6
	v_addc_co_u32_e32 v7, vcc, v9, v7, vcc
	global_load_ushort v6, v[6:7], off
	s_waitcnt vmcnt(0)
	v_lshlrev_b32_e32 v9, 16, v6
	s_branch .LBB185_19
.LBB185_24:                             ;   in Loop: Header=BB185_4 Depth=1
	v_mov_b32_e32 v17, 0
.LBB185_25:                             ;   in Loop: Header=BB185_4 Depth=1
	s_andn2_b64 vcc, exec, s[28:29]
	s_cbranch_vccnz .LBB185_28
; %bb.26:                               ;   in Loop: Header=BB185_4 Depth=1
	v_and_b32_e32 v6, 64, v11
	v_add_u32_e32 v6, 64, v6
	s_mov_b32 s10, s39
.LBB185_27:                             ;   Parent Loop BB185_4 Depth=1
                                        ; =>  This Inner Loop Header: Depth=2
	s_lshr_b32 s11, s10, 1
	v_xor_b32_e32 v7, s11, v11
	v_cmp_lt_i32_e32 vcc, v7, v6
	v_cndmask_b32_e32 v7, v11, v7, vcc
	v_lshlrev_b32_e32 v7, 2, v7
	ds_bpermute_b32 v7, v7, v17
	s_cmp_lt_u32 s10, 4
	s_mov_b32 s10, s11
	s_waitcnt lgkmcnt(0)
	v_add_f32_e32 v17, v17, v7
	s_cbranch_scc0 .LBB185_27
.LBB185_28:                             ;   in Loop: Header=BB185_4 Depth=1
	s_andn2_b64 vcc, exec, s[30:31]
	s_mov_b32 s47, s38
	s_cbranch_vccnz .LBB185_40
.LBB185_29:                             ;   Parent Loop BB185_4 Depth=1
                                        ; =>  This Inner Loop Header: Depth=2
	s_lshr_b32 s48, s47, 1
	s_and_b32 s12, s47, 0xfffe
	v_cmp_le_u32_e64 s[10:11], s48, v1
	v_cmp_gt_u32_e64 s[12:13], s12, v1
	v_cmp_gt_u32_e32 vcc, s48, v1
	s_and_b64 s[12:13], s[10:11], s[12:13]
	s_and_saveexec_b64 s[10:11], s[12:13]
; %bb.30:                               ;   in Loop: Header=BB185_29 Depth=2
	v_subrev_u32_e32 v6, s48, v1
	v_mad_u32_u24 v6, v6, s39, v0
	v_lshl_add_u32 v6, v6, 3, 0
	ds_write_b32 v6, v17 offset:4
; %bb.31:                               ;   in Loop: Header=BB185_29 Depth=2
	s_or_b64 exec, exec, s[10:11]
	s_waitcnt lgkmcnt(0)
	s_barrier
	s_and_saveexec_b64 s[10:11], vcc
	s_cbranch_execz .LBB185_33
; %bb.32:                               ;   in Loop: Header=BB185_29 Depth=2
	ds_read_b32 v6, v13 offset:4
	s_waitcnt lgkmcnt(0)
	v_add_f32_e32 v17, v17, v6
.LBB185_33:                             ;   in Loop: Header=BB185_29 Depth=2
	s_or_b64 exec, exec, s[10:11]
	s_cmp_lt_u32 s47, 4
	s_barrier
	s_cbranch_scc1 .LBB185_35
; %bb.34:                               ;   in Loop: Header=BB185_29 Depth=2
	s_mov_b32 s47, s48
	s_branch .LBB185_29
.LBB185_35:                             ;   in Loop: Header=BB185_4 Depth=1
	s_and_saveexec_b64 s[10:11], s[0:1]
; %bb.36:                               ;   in Loop: Header=BB185_4 Depth=1
	ds_write_b32 v15, v17 offset:4
; %bb.37:                               ;   in Loop: Header=BB185_4 Depth=1
	s_or_b64 exec, exec, s[10:11]
	s_waitcnt lgkmcnt(0)
	s_barrier
	s_and_saveexec_b64 s[10:11], s[2:3]
; %bb.38:                               ;   in Loop: Header=BB185_4 Depth=1
	ds_read_b32 v17, v15 offset:4
; %bb.39:                               ;   in Loop: Header=BB185_4 Depth=1
	s_or_b64 exec, exec, s[10:11]
.LBB185_40:                             ;   in Loop: Header=BB185_4 Depth=1
	s_add_u32 s47, s22, s36
	s_addc_u32 s48, s23, s37
	s_and_b64 vcc, exec, s[8:9]
	s_waitcnt lgkmcnt(0)
	v_mul_f32_e32 v18, s46, v14
	s_cbranch_vccnz .LBB185_45
; %bb.41:                               ;   in Loop: Header=BB185_4 Depth=1
	s_and_saveexec_b64 s[12:13], s[6:7]
	s_cbranch_execz .LBB185_44
; %bb.42:                               ;   in Loop: Header=BB185_4 Depth=1
	v_mov_b32_e32 v9, v3
	v_mov_b32_e32 v19, s46
	s_mov_b64 s[36:37], 0
	v_mov_b32_e32 v6, v12
	v_mov_b32_e32 v8, v2
.LBB185_43:                             ;   Parent Loop BB185_4 Depth=1
                                        ; =>  This Inner Loop Header: Depth=2
	v_lshlrev_b64 v[20:21], 1, v[8:9]
	v_mov_b32_e32 v8, s43
	v_add_co_u32_e32 v7, vcc, s15, v20
	v_addc_co_u32_e32 v8, vcc, v8, v21, vcc
	v_mov_b32_e32 v9, s45
	v_add_co_u32_e32 v22, vcc, s44, v20
	v_addc_co_u32_e32 v23, vcc, v9, v21, vcc
	v_mov_b32_e32 v25, s21
	v_add_co_u32_e32 v24, vcc, s20, v20
	v_addc_co_u32_e32 v25, vcc, v25, v21, vcc
	global_load_ushort v26, v[22:23], off
	global_load_ushort v27, v[7:8], off
	global_load_ushort v28, v[24:25], off
	v_mov_b32_e32 v22, s48
	v_add_co_u32_e64 v20, s[10:11], s47, v20
	v_ashrrev_i32_e32 v7, 31, v6
	v_addc_co_u32_e64 v21, s[10:11], v22, v21, s[10:11]
	v_mov_b32_e32 v9, v7
	v_mov_b32_e32 v8, v6
	v_cmp_le_i64_e32 vcc, s[18:19], v[6:7]
	v_add_u32_e32 v6, s41, v6
	s_or_b64 s[36:37], vcc, s[36:37]
	s_waitcnt vmcnt(2)
	v_lshlrev_b32_e32 v23, 16, v26
	s_waitcnt vmcnt(1)
	v_lshlrev_b32_e32 v22, 16, v27
	v_mul_f32_e32 v22, v19, v22
	s_waitcnt vmcnt(0)
	v_lshlrev_b32_e32 v7, 16, v28
	v_mul_f32_e32 v23, v10, v23
	v_mul_f32_e32 v22, v22, v17
	v_fma_f32 v7, v23, v7, -v22
	v_mul_f32_e32 v7, v18, v7
	v_bfe_u32 v22, v7, 16, 1
	v_add3_u32 v22, v7, v22, s40
	v_lshrrev_b32_e32 v22, 16, v22
	v_cmp_o_f32_e32 vcc, v7, v7
	v_cndmask_b32_e32 v7, v16, v22, vcc
	global_store_short v[20:21], v7, off
	s_andn2_b64 exec, exec, s[36:37]
	s_cbranch_execnz .LBB185_43
.LBB185_44:                             ;   in Loop: Header=BB185_4 Depth=1
	s_or_b64 exec, exec, s[12:13]
	s_cbranch_execnz .LBB185_3
	s_branch .LBB185_46
.LBB185_45:                             ;   in Loop: Header=BB185_4 Depth=1
.LBB185_46:                             ;   in Loop: Header=BB185_4 Depth=1
	s_and_saveexec_b64 s[12:13], s[6:7]
	s_cbranch_execz .LBB185_2
; %bb.47:                               ;   in Loop: Header=BB185_4 Depth=1
	v_mov_b32_e32 v7, v5
	v_mov_b32_e32 v9, v3
	;; [unrolled: 1-line block ×3, first 2 shown]
	s_mov_b64 s[36:37], 0
	v_mov_b32_e32 v6, v4
	v_mov_b32_e32 v8, v2
.LBB185_48:                             ;   Parent Loop BB185_4 Depth=1
                                        ; =>  This Inner Loop Header: Depth=2
	v_lshlrev_b64 v[20:21], 1, v[8:9]
	v_mov_b32_e32 v9, s43
	v_add_co_u32_e32 v8, vcc, s15, v20
	v_addc_co_u32_e32 v9, vcc, v9, v21, vcc
	v_mov_b32_e32 v23, s45
	v_add_co_u32_e32 v22, vcc, s44, v20
	v_addc_co_u32_e32 v23, vcc, v23, v21, vcc
	global_load_ushort v24, v[8:9], off
	global_load_ushort v25, v[22:23], off
	v_mov_b32_e32 v22, s48
	v_add_co_u32_e64 v20, s[10:11], s47, v20
	v_addc_co_u32_e64 v21, s[10:11], v22, v21, s[10:11]
	v_mov_b32_e32 v8, s42
	v_add_co_u32_e32 v6, vcc, s41, v6
	v_addc_co_u32_e32 v7, vcc, v7, v8, vcc
	v_cmp_le_i64_e32 vcc, s[18:19], v[6:7]
	v_ashrrev_i32_e32 v9, 31, v6
	s_or_b64 s[36:37], vcc, s[36:37]
	v_mov_b32_e32 v8, v6
	s_waitcnt vmcnt(1)
	v_lshlrev_b32_e32 v22, 16, v24
	s_waitcnt vmcnt(0)
	v_lshlrev_b32_e32 v23, 16, v25
	v_mul_f32_e32 v23, v10, v23
	v_mul_f32_e32 v22, v19, v22
	v_fma_f32 v22, -v17, v22, v23
	v_mul_f32_e32 v22, v18, v22
	v_bfe_u32 v23, v22, 16, 1
	v_add3_u32 v23, v22, v23, s40
	v_lshrrev_b32_e32 v23, 16, v23
	v_cmp_o_f32_e32 vcc, v22, v22
	v_cndmask_b32_e32 v22, v16, v23, vcc
	global_store_short v[20:21], v22, off
	s_andn2_b64 exec, exec, s[36:37]
	s_cbranch_execnz .LBB185_48
	s_branch .LBB185_2
.LBB185_49:
	s_endpgm
	.section	.rodata,"a",@progbits
	.p2align	6, 0x0
	.amdhsa_kernel _ZN2at6native12_GLOBAL__N_118cuComputeGradInputIN3c108BFloat16EfLb1EEEvPKT_S7_llPKT0_SA_S7_PS5_
		.amdhsa_group_segment_fixed_size 0
		.amdhsa_private_segment_fixed_size 0
		.amdhsa_kernarg_size 320
		.amdhsa_user_sgpr_count 6
		.amdhsa_user_sgpr_private_segment_buffer 1
		.amdhsa_user_sgpr_dispatch_ptr 0
		.amdhsa_user_sgpr_queue_ptr 0
		.amdhsa_user_sgpr_kernarg_segment_ptr 1
		.amdhsa_user_sgpr_dispatch_id 0
		.amdhsa_user_sgpr_flat_scratch_init 0
		.amdhsa_user_sgpr_private_segment_size 0
		.amdhsa_uses_dynamic_stack 0
		.amdhsa_system_sgpr_private_segment_wavefront_offset 0
		.amdhsa_system_sgpr_workgroup_id_x 1
		.amdhsa_system_sgpr_workgroup_id_y 1
		.amdhsa_system_sgpr_workgroup_id_z 0
		.amdhsa_system_sgpr_workgroup_info 0
		.amdhsa_system_vgpr_workitem_id 1
		.amdhsa_next_free_vgpr 29
		.amdhsa_next_free_sgpr 49
		.amdhsa_reserve_vcc 1
		.amdhsa_reserve_flat_scratch 0
		.amdhsa_float_round_mode_32 0
		.amdhsa_float_round_mode_16_64 0
		.amdhsa_float_denorm_mode_32 3
		.amdhsa_float_denorm_mode_16_64 3
		.amdhsa_dx10_clamp 1
		.amdhsa_ieee_mode 1
		.amdhsa_fp16_overflow 0
		.amdhsa_exception_fp_ieee_invalid_op 0
		.amdhsa_exception_fp_denorm_src 0
		.amdhsa_exception_fp_ieee_div_zero 0
		.amdhsa_exception_fp_ieee_overflow 0
		.amdhsa_exception_fp_ieee_underflow 0
		.amdhsa_exception_fp_ieee_inexact 0
		.amdhsa_exception_int_div_zero 0
	.end_amdhsa_kernel
	.section	.text._ZN2at6native12_GLOBAL__N_118cuComputeGradInputIN3c108BFloat16EfLb1EEEvPKT_S7_llPKT0_SA_S7_PS5_,"axG",@progbits,_ZN2at6native12_GLOBAL__N_118cuComputeGradInputIN3c108BFloat16EfLb1EEEvPKT_S7_llPKT0_SA_S7_PS5_,comdat
.Lfunc_end185:
	.size	_ZN2at6native12_GLOBAL__N_118cuComputeGradInputIN3c108BFloat16EfLb1EEEvPKT_S7_llPKT0_SA_S7_PS5_, .Lfunc_end185-_ZN2at6native12_GLOBAL__N_118cuComputeGradInputIN3c108BFloat16EfLb1EEEvPKT_S7_llPKT0_SA_S7_PS5_
                                        ; -- End function
	.set _ZN2at6native12_GLOBAL__N_118cuComputeGradInputIN3c108BFloat16EfLb1EEEvPKT_S7_llPKT0_SA_S7_PS5_.num_vgpr, 29
	.set _ZN2at6native12_GLOBAL__N_118cuComputeGradInputIN3c108BFloat16EfLb1EEEvPKT_S7_llPKT0_SA_S7_PS5_.num_agpr, 0
	.set _ZN2at6native12_GLOBAL__N_118cuComputeGradInputIN3c108BFloat16EfLb1EEEvPKT_S7_llPKT0_SA_S7_PS5_.numbered_sgpr, 49
	.set _ZN2at6native12_GLOBAL__N_118cuComputeGradInputIN3c108BFloat16EfLb1EEEvPKT_S7_llPKT0_SA_S7_PS5_.num_named_barrier, 0
	.set _ZN2at6native12_GLOBAL__N_118cuComputeGradInputIN3c108BFloat16EfLb1EEEvPKT_S7_llPKT0_SA_S7_PS5_.private_seg_size, 0
	.set _ZN2at6native12_GLOBAL__N_118cuComputeGradInputIN3c108BFloat16EfLb1EEEvPKT_S7_llPKT0_SA_S7_PS5_.uses_vcc, 1
	.set _ZN2at6native12_GLOBAL__N_118cuComputeGradInputIN3c108BFloat16EfLb1EEEvPKT_S7_llPKT0_SA_S7_PS5_.uses_flat_scratch, 0
	.set _ZN2at6native12_GLOBAL__N_118cuComputeGradInputIN3c108BFloat16EfLb1EEEvPKT_S7_llPKT0_SA_S7_PS5_.has_dyn_sized_stack, 0
	.set _ZN2at6native12_GLOBAL__N_118cuComputeGradInputIN3c108BFloat16EfLb1EEEvPKT_S7_llPKT0_SA_S7_PS5_.has_recursion, 0
	.set _ZN2at6native12_GLOBAL__N_118cuComputeGradInputIN3c108BFloat16EfLb1EEEvPKT_S7_llPKT0_SA_S7_PS5_.has_indirect_call, 0
	.section	.AMDGPU.csdata,"",@progbits
; Kernel info:
; codeLenInByte = 1656
; TotalNumSgprs: 53
; NumVgprs: 29
; ScratchSize: 0
; MemoryBound: 0
; FloatMode: 240
; IeeeMode: 1
; LDSByteSize: 0 bytes/workgroup (compile time only)
; SGPRBlocks: 6
; VGPRBlocks: 7
; NumSGPRsForWavesPerEU: 53
; NumVGPRsForWavesPerEU: 29
; Occupancy: 8
; WaveLimiterHint : 0
; COMPUTE_PGM_RSRC2:SCRATCH_EN: 0
; COMPUTE_PGM_RSRC2:USER_SGPR: 6
; COMPUTE_PGM_RSRC2:TRAP_HANDLER: 0
; COMPUTE_PGM_RSRC2:TGID_X_EN: 1
; COMPUTE_PGM_RSRC2:TGID_Y_EN: 1
; COMPUTE_PGM_RSRC2:TGID_Z_EN: 0
; COMPUTE_PGM_RSRC2:TIDIG_COMP_CNT: 1
	.section	.text._ZN2at6native12_GLOBAL__N_128layer_norm_grad_input_kernelIN3c108BFloat16EfLb1EEEvPKT_S7_PKT0_SA_S7_PS5_i,"axG",@progbits,_ZN2at6native12_GLOBAL__N_128layer_norm_grad_input_kernelIN3c108BFloat16EfLb1EEEvPKT_S7_PKT0_SA_S7_PS5_i,comdat
	.globl	_ZN2at6native12_GLOBAL__N_128layer_norm_grad_input_kernelIN3c108BFloat16EfLb1EEEvPKT_S7_PKT0_SA_S7_PS5_i ; -- Begin function _ZN2at6native12_GLOBAL__N_128layer_norm_grad_input_kernelIN3c108BFloat16EfLb1EEEvPKT_S7_PKT0_SA_S7_PS5_i
	.p2align	8
	.type	_ZN2at6native12_GLOBAL__N_128layer_norm_grad_input_kernelIN3c108BFloat16EfLb1EEEvPKT_S7_PKT0_SA_S7_PS5_i,@function
_ZN2at6native12_GLOBAL__N_128layer_norm_grad_input_kernelIN3c108BFloat16EfLb1EEEvPKT_S7_PKT0_SA_S7_PS5_i: ; @_ZN2at6native12_GLOBAL__N_128layer_norm_grad_input_kernelIN3c108BFloat16EfLb1EEEvPKT_S7_PKT0_SA_S7_PS5_i
; %bb.0:
	s_load_dword s18, s[4:5], 0x30
	s_load_dwordx4 s[8:11], s[4:5], 0x0
	s_load_dwordx4 s[0:3], s[4:5], 0x18
	s_mov_b32 s7, 0
	v_lshlrev_b32_e32 v1, 2, v0
	s_waitcnt lgkmcnt(0)
	s_ashr_i32 s12, s18, 31
	s_mul_hi_u32 s13, s18, s6
	s_mul_i32 s12, s12, s6
	s_add_i32 s13, s13, s12
	s_mul_i32 s12, s18, s6
	s_lshl_b64 s[6:7], s[6:7], 2
	s_add_u32 s0, s0, s6
	s_addc_u32 s1, s1, s7
	s_load_dword s19, s[0:1], 0x0
	s_lshl_b64 s[6:7], s[12:13], 1
	s_add_u32 s20, s10, s6
	s_addc_u32 s22, s11, s7
	s_add_u32 s21, s8, s6
	v_or_b32_e32 v2, 3, v1
	s_addc_u32 s23, s9, s7
	v_cmp_gt_u32_e32 vcc, s18, v2
	v_mov_b32_e32 v9, 0
	s_and_saveexec_b64 s[12:13], vcc
	s_cbranch_execz .LBB186_12
; %bb.1:
	s_load_dword s0, s[4:5], 0x44
	s_cmp_lg_u64 s[2:3], 0
	s_cselect_b64 s[16:17], -1, 0
	v_cndmask_b32_e64 v3, 0, 1, s[16:17]
	s_mov_b64 s[14:15], 0
	s_waitcnt lgkmcnt(0)
	s_and_b32 s0, s0, 0xffff
	v_mov_b32_e32 v2, 0
	s_lshl_b32 s24, s0, 2
	v_mov_b32_e32 v10, s22
	v_mov_b32_e32 v11, s23
	v_cmp_ne_u32_e64 s[0:1], 1, v3
	v_mov_b32_e32 v9, 0
	s_branch .LBB186_3
.LBB186_2:                              ;   in Loop: Header=BB186_3 Depth=1
	global_load_ushort v7, v[3:4], off offset:6
	global_load_ushort v8, v[5:6], off offset:6
	s_waitcnt vmcnt(6)
	v_lshlrev_b32_e32 v4, 16, v15
	v_lshlrev_b32_e32 v3, 16, v14
	s_waitcnt vmcnt(4)
	v_lshlrev_b32_e32 v6, 16, v19
	v_mul_f32_e32 v4, v13, v4
	v_lshlrev_b32_e32 v5, 16, v18
	v_mul_f32_e32 v6, v12, v6
	v_mul_f32_e32 v3, v4, v3
	s_waitcnt vmcnt(2)
	v_lshlrev_b32_e32 v15, 16, v21
	v_mul_f32_e32 v4, v6, v5
	v_fmac_f32_e32 v9, s19, v3
	v_lshlrev_b32_e32 v14, 16, v20
	v_add_u32_e32 v1, s24, v1
	v_mul_f32_e32 v12, v17, v15
	v_fmac_f32_e32 v9, s19, v4
	v_add_u32_e32 v13, 3, v1
	v_mul_f32_e32 v5, v12, v14
	v_cmp_le_u32_e32 vcc, s18, v13
	v_fmac_f32_e32 v9, s19, v5
	s_or_b64 s[14:15], vcc, s[14:15]
	s_waitcnt vmcnt(1)
	v_lshlrev_b32_e32 v3, 16, v7
	s_waitcnt vmcnt(0)
	v_lshlrev_b32_e32 v4, 16, v8
	v_mul_f32_e32 v4, v16, v4
	v_mul_f32_e32 v3, v4, v3
	v_fmac_f32_e32 v9, s19, v3
	s_andn2_b64 exec, exec, s[14:15]
	s_cbranch_execz .LBB186_11
.LBB186_3:                              ; =>This Inner Loop Header: Depth=1
	v_lshlrev_b64 v[7:8], 1, v[1:2]
	v_mov_b32_e32 v12, 1.0
	s_and_b64 vcc, exec, s[16:17]
	v_mov_b32_e32 v13, 1.0
	s_cbranch_vccz .LBB186_5
; %bb.4:                                ;   in Loop: Header=BB186_3 Depth=1
	v_mov_b32_e32 v4, s3
	v_add_co_u32_e32 v3, vcc, s2, v7
	v_addc_co_u32_e32 v4, vcc, v4, v8, vcc
	global_load_ushort v3, v[3:4], off
	s_waitcnt vmcnt(0)
	v_lshlrev_b32_e32 v13, 16, v3
.LBB186_5:                              ;   in Loop: Header=BB186_3 Depth=1
	v_add_co_u32_e32 v3, vcc, s20, v7
	v_addc_co_u32_e32 v4, vcc, v10, v8, vcc
	v_add_co_u32_e32 v5, vcc, s21, v7
	v_addc_co_u32_e32 v6, vcc, v11, v8, vcc
	global_load_ushort v14, v[3:4], off
	global_load_ushort v15, v[5:6], off
	s_and_b64 vcc, exec, s[0:1]
	s_cbranch_vccnz .LBB186_7
; %bb.6:                                ;   in Loop: Header=BB186_3 Depth=1
	v_mov_b32_e32 v12, s3
	v_add_co_u32_e32 v16, vcc, s2, v7
	v_addc_co_u32_e32 v17, vcc, v12, v8, vcc
	global_load_ushort v12, v[16:17], off offset:2
	s_waitcnt vmcnt(0)
	v_lshlrev_b32_e32 v12, 16, v12
.LBB186_7:                              ;   in Loop: Header=BB186_3 Depth=1
	global_load_ushort v18, v[3:4], off offset:2
	global_load_ushort v19, v[5:6], off offset:2
	v_mov_b32_e32 v16, 1.0
	s_and_b64 vcc, exec, s[0:1]
	v_mov_b32_e32 v17, 1.0
	s_cbranch_vccnz .LBB186_9
; %bb.8:                                ;   in Loop: Header=BB186_3 Depth=1
	v_mov_b32_e32 v17, s3
	v_add_co_u32_e32 v20, vcc, s2, v7
	v_addc_co_u32_e32 v21, vcc, v17, v8, vcc
	global_load_ushort v17, v[20:21], off offset:4
	s_waitcnt vmcnt(0)
	v_lshlrev_b32_e32 v17, 16, v17
.LBB186_9:                              ;   in Loop: Header=BB186_3 Depth=1
	global_load_ushort v20, v[3:4], off offset:4
	global_load_ushort v21, v[5:6], off offset:4
	s_and_b64 vcc, exec, s[0:1]
	s_cbranch_vccnz .LBB186_2
; %bb.10:                               ;   in Loop: Header=BB186_3 Depth=1
	v_mov_b32_e32 v16, s3
	v_add_co_u32_e32 v7, vcc, s2, v7
	v_addc_co_u32_e32 v8, vcc, v16, v8, vcc
	global_load_ushort v7, v[7:8], off offset:6
	s_waitcnt vmcnt(0)
	v_lshlrev_b32_e32 v16, 16, v7
	s_branch .LBB186_2
.LBB186_11:
	s_or_b64 exec, exec, s[14:15]
.LBB186_12:
	s_or_b64 exec, exec, s[12:13]
	v_cmp_gt_u32_e32 vcc, s18, v1
	s_and_saveexec_b64 s[12:13], vcc
	s_cbranch_execz .LBB186_19
; %bb.13:
	v_mov_b32_e32 v2, 0
	v_lshlrev_b64 v[4:5], 1, v[1:2]
	v_mov_b32_e32 v3, s3
	v_add_co_u32_e32 v2, vcc, s2, v4
	v_addc_co_u32_e32 v3, vcc, v3, v5, vcc
	v_mov_b32_e32 v6, s7
	v_add_co_u32_e32 v7, vcc, s6, v4
	v_addc_co_u32_e32 v8, vcc, v6, v5, vcc
	v_mov_b32_e32 v5, s11
	v_add_co_u32_e32 v4, vcc, s10, v7
	s_cmp_lg_u64 s[2:3], 0
	v_addc_co_u32_e32 v5, vcc, v5, v8, vcc
	v_mov_b32_e32 v10, s9
	v_add_co_u32_e32 v6, vcc, s8, v7
	s_cselect_b64 s[0:1], -1, 0
	v_addc_co_u32_e32 v7, vcc, v10, v8, vcc
	v_cndmask_b32_e64 v8, 0, 1, s[0:1]
	s_mov_b64 s[14:15], 0
	v_cmp_ne_u32_e64 s[0:1], 1, v8
	s_branch .LBB186_16
.LBB186_14:                             ;   in Loop: Header=BB186_16 Depth=1
	global_load_ushort v8, v[2:3], off
	s_waitcnt vmcnt(0)
	v_lshlrev_b32_e32 v8, 16, v8
.LBB186_15:                             ;   in Loop: Header=BB186_16 Depth=1
	global_load_ushort v10, v[4:5], off
	global_load_ushort v11, v[6:7], off
	v_add_co_u32_e32 v2, vcc, 2, v2
	v_addc_co_u32_e32 v3, vcc, 0, v3, vcc
	v_add_co_u32_e32 v4, vcc, 2, v4
	v_add_u32_e32 v1, 1, v1
	v_addc_co_u32_e32 v5, vcc, 0, v5, vcc
	v_cmp_le_u32_e32 vcc, s18, v1
	s_or_b64 s[14:15], vcc, s[14:15]
	v_add_co_u32_e32 v6, vcc, 2, v6
	v_addc_co_u32_e32 v7, vcc, 0, v7, vcc
	s_waitcnt vmcnt(1)
	v_lshlrev_b32_e32 v10, 16, v10
	s_waitcnt vmcnt(0)
	v_lshlrev_b32_e32 v11, 16, v11
	v_mul_f32_e32 v8, v8, v11
	v_mul_f32_e32 v8, v8, v10
	s_waitcnt lgkmcnt(0)
	v_fmac_f32_e32 v9, s19, v8
	s_andn2_b64 exec, exec, s[14:15]
	s_cbranch_execz .LBB186_18
.LBB186_16:                             ; =>This Inner Loop Header: Depth=1
	s_and_b64 vcc, exec, s[0:1]
	s_cbranch_vccz .LBB186_14
; %bb.17:                               ;   in Loop: Header=BB186_16 Depth=1
	v_mov_b32_e32 v8, 1.0
	s_branch .LBB186_15
.LBB186_18:
	s_or_b64 exec, exec, s[14:15]
.LBB186_19:
	s_or_b64 exec, exec, s[12:13]
	v_mbcnt_lo_u32_b32 v1, -1, 0
	v_mbcnt_hi_u32_b32 v6, -1, v1
	v_mov_b32_e32 v1, 0x80
	v_lshl_or_b32 v1, v6, 2, v1
	ds_bpermute_b32 v2, v1, v9
	v_and_b32_e32 v8, 63, v6
	v_cmp_gt_u32_e32 vcc, 48, v8
	v_cndmask_b32_e64 v3, 0, 16, vcc
	v_cmp_gt_u32_e32 vcc, 56, v8
	s_waitcnt lgkmcnt(0)
	v_add_f32_e32 v4, v9, v2
	v_add_lshl_u32 v2, v3, v6, 2
	ds_bpermute_b32 v5, v2, v4
	v_cndmask_b32_e64 v3, 0, 8, vcc
	v_add_lshl_u32 v3, v3, v6, 2
	v_cmp_gt_u32_e32 vcc, 60, v8
	s_waitcnt lgkmcnt(0)
	v_add_f32_e32 v5, v4, v5
	ds_bpermute_b32 v7, v3, v5
	v_cndmask_b32_e64 v4, 0, 4, vcc
	v_add_lshl_u32 v4, v4, v6, 2
	v_cmp_gt_u32_e32 vcc, 62, v8
	s_waitcnt lgkmcnt(0)
	s_barrier
	v_add_f32_e32 v7, v5, v7
	ds_bpermute_b32 v9, v4, v7
	v_cndmask_b32_e64 v5, 0, 2, vcc
	v_add_lshl_u32 v5, v5, v6, 2
	v_cmp_ne_u32_e32 vcc, 63, v8
	v_addc_co_u32_e32 v6, vcc, 0, v6, vcc
	s_waitcnt lgkmcnt(0)
	v_add_f32_e32 v9, v7, v9
	ds_bpermute_b32 v10, v5, v9
	v_lshlrev_b32_e32 v6, 2, v6
	v_and_b32_e32 v7, 63, v0
	v_cmp_eq_u32_e32 vcc, 0, v7
	s_waitcnt lgkmcnt(0)
	v_add_f32_e32 v8, v9, v10
	ds_bpermute_b32 v9, v6, v8
	s_and_saveexec_b64 s[0:1], vcc
	s_cbranch_execz .LBB186_21
; %bb.20:
	v_lshrrev_b32_e32 v10, 4, v0
	v_add_u32_e32 v10, 0, v10
	s_waitcnt lgkmcnt(0)
	v_add_f32_e32 v8, v8, v9
	ds_write_b32 v10, v8
.LBB186_21:
	s_or_b64 exec, exec, s[0:1]
	s_waitcnt lgkmcnt(0)
	s_barrier
	s_load_dword s8, s[4:5], 0x44
	v_mov_b32_e32 v8, 0
	s_waitcnt lgkmcnt(0)
	s_bfe_u32 s0, s8, 0xa0006
	v_cmp_gt_u32_e32 vcc, s0, v0
	s_and_saveexec_b64 s[0:1], vcc
	s_cbranch_execnz .LBB186_32
; %bb.22:
	s_or_b64 exec, exec, s[0:1]
	v_cmp_gt_u32_e32 vcc, 64, v0
	s_and_saveexec_b64 s[0:1], vcc
	s_cbranch_execnz .LBB186_33
.LBB186_23:
	s_or_b64 exec, exec, s[0:1]
	v_cmp_eq_u32_e32 vcc, 0, v0
	s_and_saveexec_b64 s[0:1], vcc
	s_cbranch_execz .LBB186_25
.LBB186_24:
	v_mov_b32_e32 v1, 0
	s_waitcnt lgkmcnt(0)
	ds_write_b32 v1, v8 offset:4
.LBB186_25:
	s_or_b64 exec, exec, s[0:1]
	v_cmp_gt_i32_e32 vcc, s18, v0
	s_waitcnt lgkmcnt(0)
	s_barrier
	s_and_saveexec_b64 s[0:1], vcc
	s_cbranch_execz .LBB186_31
; %bb.26:
	v_cvt_f32_i32_e32 v3, s18
	s_and_b32 s8, 0xffff, s8
	s_movk_i32 s9, 0x7fff
	v_div_scale_f32 v1, s[0:1], v3, v3, 1.0
	v_div_scale_f32 v2, vcc, 1.0, v3, 1.0
	s_load_dwordx2 s[0:1], s[4:5], 0x28
	s_mov_b64 s[4:5], 0
	s_waitcnt lgkmcnt(0)
	s_add_u32 s6, s0, s6
	s_addc_u32 s7, s1, s7
	s_cmp_lg_u64 s[2:3], 0
	s_cselect_b64 s[0:1], -1, 0
	v_mov_b32_e32 v9, s7
	v_rcp_f32_e32 v4, v1
	v_fma_f32 v5, -v1, v4, 1.0
	v_fmac_f32_e32 v4, v5, v4
	v_mul_f32_e32 v5, v2, v4
	v_fma_f32 v6, -v1, v5, v2
	v_fmac_f32_e32 v5, v6, v4
	v_fma_f32 v1, -v1, v5, v2
	v_div_fmas_f32 v1, v1, v4, v5
	v_mov_b32_e32 v2, 0
	ds_read_b32 v7, v2 offset:4
	v_cndmask_b32_e64 v2, 0, 1, s[0:1]
	v_mov_b32_e32 v4, s22
	v_mov_b32_e32 v5, s23
	;; [unrolled: 1-line block ×3, first 2 shown]
	v_cmp_ne_u32_e64 s[0:1], 1, v2
	v_div_fixup_f32 v1, v1, v3, 1.0
	v_mul_f32_e32 v8, s19, v1
	s_branch .LBB186_29
.LBB186_27:                             ;   in Loop: Header=BB186_29 Depth=1
	v_mov_b32_e32 v13, s3
	v_add_co_u32_e32 v12, vcc, s2, v1
	v_addc_co_u32_e32 v13, vcc, v13, v2, vcc
	global_load_ushort v12, v[12:13], off
	s_waitcnt vmcnt(0)
	v_lshlrev_b32_e32 v12, 16, v12
.LBB186_28:                             ;   in Loop: Header=BB186_29 Depth=1
	s_waitcnt vmcnt(1)
	v_lshlrev_b32_e32 v10, 16, v10
	v_mul_f32_e32 v10, s19, v10
	v_mul_f32_e32 v12, v12, v3
	s_waitcnt vmcnt(0)
	v_lshlrev_b32_e32 v11, 16, v11
	s_waitcnt lgkmcnt(0)
	v_mul_f32_e32 v10, v7, v10
	v_fma_f32 v10, v12, v11, -v10
	v_mul_f32_e32 v10, v8, v10
	v_bfe_u32 v11, v10, 16, 1
	v_add3_u32 v11, v10, v11, s9
	v_cmp_o_f32_e32 vcc, v10, v10
	v_cndmask_b32_sdwa v10, v6, v11, vcc dst_sel:DWORD dst_unused:UNUSED_PAD src0_sel:DWORD src1_sel:WORD_1
	v_add_co_u32_e32 v1, vcc, s6, v1
	v_addc_co_u32_e32 v2, vcc, v9, v2, vcc
	v_add_u32_e32 v0, s8, v0
	v_cmp_le_i32_e32 vcc, s18, v0
	s_or_b64 s[4:5], vcc, s[4:5]
	global_store_short v[1:2], v10, off
	s_andn2_b64 exec, exec, s[4:5]
	s_cbranch_execz .LBB186_31
.LBB186_29:                             ; =>This Inner Loop Header: Depth=1
	v_ashrrev_i32_e32 v1, 31, v0
	v_lshlrev_b64 v[1:2], 1, v[0:1]
	v_add_co_u32_e32 v10, vcc, s20, v1
	v_addc_co_u32_e32 v11, vcc, v4, v2, vcc
	global_load_ushort v10, v[10:11], off
	v_add_co_u32_e32 v11, vcc, s21, v1
	v_addc_co_u32_e32 v12, vcc, v5, v2, vcc
	global_load_ushort v11, v[11:12], off
	s_and_b64 vcc, exec, s[0:1]
	s_cbranch_vccz .LBB186_27
; %bb.30:                               ;   in Loop: Header=BB186_29 Depth=1
	v_mov_b32_e32 v12, 1.0
	s_branch .LBB186_28
.LBB186_31:
	s_endpgm
.LBB186_32:
	v_lshl_add_u32 v7, v7, 2, 0
	ds_read_b32 v8, v7
	s_or_b64 exec, exec, s[0:1]
	v_cmp_gt_u32_e32 vcc, 64, v0
	s_and_saveexec_b64 s[0:1], vcc
	s_cbranch_execz .LBB186_23
.LBB186_33:
	s_waitcnt lgkmcnt(0)
	ds_bpermute_b32 v1, v1, v8
	s_waitcnt lgkmcnt(0)
	v_add_f32_e32 v1, v8, v1
	ds_bpermute_b32 v2, v2, v1
	s_waitcnt lgkmcnt(0)
	v_add_f32_e32 v1, v1, v2
	;; [unrolled: 3-line block ×6, first 2 shown]
	s_or_b64 exec, exec, s[0:1]
	v_cmp_eq_u32_e32 vcc, 0, v0
	s_and_saveexec_b64 s[0:1], vcc
	s_cbranch_execnz .LBB186_24
	s_branch .LBB186_25
	.section	.rodata,"a",@progbits
	.p2align	6, 0x0
	.amdhsa_kernel _ZN2at6native12_GLOBAL__N_128layer_norm_grad_input_kernelIN3c108BFloat16EfLb1EEEvPKT_S7_PKT0_SA_S7_PS5_i
		.amdhsa_group_segment_fixed_size 0
		.amdhsa_private_segment_fixed_size 0
		.amdhsa_kernarg_size 312
		.amdhsa_user_sgpr_count 6
		.amdhsa_user_sgpr_private_segment_buffer 1
		.amdhsa_user_sgpr_dispatch_ptr 0
		.amdhsa_user_sgpr_queue_ptr 0
		.amdhsa_user_sgpr_kernarg_segment_ptr 1
		.amdhsa_user_sgpr_dispatch_id 0
		.amdhsa_user_sgpr_flat_scratch_init 0
		.amdhsa_user_sgpr_private_segment_size 0
		.amdhsa_uses_dynamic_stack 0
		.amdhsa_system_sgpr_private_segment_wavefront_offset 0
		.amdhsa_system_sgpr_workgroup_id_x 1
		.amdhsa_system_sgpr_workgroup_id_y 0
		.amdhsa_system_sgpr_workgroup_id_z 0
		.amdhsa_system_sgpr_workgroup_info 0
		.amdhsa_system_vgpr_workitem_id 0
		.amdhsa_next_free_vgpr 22
		.amdhsa_next_free_sgpr 25
		.amdhsa_reserve_vcc 1
		.amdhsa_reserve_flat_scratch 0
		.amdhsa_float_round_mode_32 0
		.amdhsa_float_round_mode_16_64 0
		.amdhsa_float_denorm_mode_32 3
		.amdhsa_float_denorm_mode_16_64 3
		.amdhsa_dx10_clamp 1
		.amdhsa_ieee_mode 1
		.amdhsa_fp16_overflow 0
		.amdhsa_exception_fp_ieee_invalid_op 0
		.amdhsa_exception_fp_denorm_src 0
		.amdhsa_exception_fp_ieee_div_zero 0
		.amdhsa_exception_fp_ieee_overflow 0
		.amdhsa_exception_fp_ieee_underflow 0
		.amdhsa_exception_fp_ieee_inexact 0
		.amdhsa_exception_int_div_zero 0
	.end_amdhsa_kernel
	.section	.text._ZN2at6native12_GLOBAL__N_128layer_norm_grad_input_kernelIN3c108BFloat16EfLb1EEEvPKT_S7_PKT0_SA_S7_PS5_i,"axG",@progbits,_ZN2at6native12_GLOBAL__N_128layer_norm_grad_input_kernelIN3c108BFloat16EfLb1EEEvPKT_S7_PKT0_SA_S7_PS5_i,comdat
.Lfunc_end186:
	.size	_ZN2at6native12_GLOBAL__N_128layer_norm_grad_input_kernelIN3c108BFloat16EfLb1EEEvPKT_S7_PKT0_SA_S7_PS5_i, .Lfunc_end186-_ZN2at6native12_GLOBAL__N_128layer_norm_grad_input_kernelIN3c108BFloat16EfLb1EEEvPKT_S7_PKT0_SA_S7_PS5_i
                                        ; -- End function
	.set _ZN2at6native12_GLOBAL__N_128layer_norm_grad_input_kernelIN3c108BFloat16EfLb1EEEvPKT_S7_PKT0_SA_S7_PS5_i.num_vgpr, 22
	.set _ZN2at6native12_GLOBAL__N_128layer_norm_grad_input_kernelIN3c108BFloat16EfLb1EEEvPKT_S7_PKT0_SA_S7_PS5_i.num_agpr, 0
	.set _ZN2at6native12_GLOBAL__N_128layer_norm_grad_input_kernelIN3c108BFloat16EfLb1EEEvPKT_S7_PKT0_SA_S7_PS5_i.numbered_sgpr, 25
	.set _ZN2at6native12_GLOBAL__N_128layer_norm_grad_input_kernelIN3c108BFloat16EfLb1EEEvPKT_S7_PKT0_SA_S7_PS5_i.num_named_barrier, 0
	.set _ZN2at6native12_GLOBAL__N_128layer_norm_grad_input_kernelIN3c108BFloat16EfLb1EEEvPKT_S7_PKT0_SA_S7_PS5_i.private_seg_size, 0
	.set _ZN2at6native12_GLOBAL__N_128layer_norm_grad_input_kernelIN3c108BFloat16EfLb1EEEvPKT_S7_PKT0_SA_S7_PS5_i.uses_vcc, 1
	.set _ZN2at6native12_GLOBAL__N_128layer_norm_grad_input_kernelIN3c108BFloat16EfLb1EEEvPKT_S7_PKT0_SA_S7_PS5_i.uses_flat_scratch, 0
	.set _ZN2at6native12_GLOBAL__N_128layer_norm_grad_input_kernelIN3c108BFloat16EfLb1EEEvPKT_S7_PKT0_SA_S7_PS5_i.has_dyn_sized_stack, 0
	.set _ZN2at6native12_GLOBAL__N_128layer_norm_grad_input_kernelIN3c108BFloat16EfLb1EEEvPKT_S7_PKT0_SA_S7_PS5_i.has_recursion, 0
	.set _ZN2at6native12_GLOBAL__N_128layer_norm_grad_input_kernelIN3c108BFloat16EfLb1EEEvPKT_S7_PKT0_SA_S7_PS5_i.has_indirect_call, 0
	.section	.AMDGPU.csdata,"",@progbits
; Kernel info:
; codeLenInByte = 1716
; TotalNumSgprs: 29
; NumVgprs: 22
; ScratchSize: 0
; MemoryBound: 0
; FloatMode: 240
; IeeeMode: 1
; LDSByteSize: 0 bytes/workgroup (compile time only)
; SGPRBlocks: 3
; VGPRBlocks: 5
; NumSGPRsForWavesPerEU: 29
; NumVGPRsForWavesPerEU: 22
; Occupancy: 10
; WaveLimiterHint : 0
; COMPUTE_PGM_RSRC2:SCRATCH_EN: 0
; COMPUTE_PGM_RSRC2:USER_SGPR: 6
; COMPUTE_PGM_RSRC2:TRAP_HANDLER: 0
; COMPUTE_PGM_RSRC2:TGID_X_EN: 1
; COMPUTE_PGM_RSRC2:TGID_Y_EN: 0
; COMPUTE_PGM_RSRC2:TGID_Z_EN: 0
; COMPUTE_PGM_RSRC2:TIDIG_COMP_CNT: 0
	.section	.text._ZN2at6native12_GLOBAL__N_133GammaBetaBackwardSimpleCUDAKernelIN3c108BFloat16EfLb1EEEvllPKT_S7_PKT0_SA_PS5_SB_,"axG",@progbits,_ZN2at6native12_GLOBAL__N_133GammaBetaBackwardSimpleCUDAKernelIN3c108BFloat16EfLb1EEEvllPKT_S7_PKT0_SA_PS5_SB_,comdat
	.globl	_ZN2at6native12_GLOBAL__N_133GammaBetaBackwardSimpleCUDAKernelIN3c108BFloat16EfLb1EEEvllPKT_S7_PKT0_SA_PS5_SB_ ; -- Begin function _ZN2at6native12_GLOBAL__N_133GammaBetaBackwardSimpleCUDAKernelIN3c108BFloat16EfLb1EEEvllPKT_S7_PKT0_SA_PS5_SB_
	.p2align	8
	.type	_ZN2at6native12_GLOBAL__N_133GammaBetaBackwardSimpleCUDAKernelIN3c108BFloat16EfLb1EEEvllPKT_S7_PKT0_SA_PS5_SB_,@function
_ZN2at6native12_GLOBAL__N_133GammaBetaBackwardSimpleCUDAKernelIN3c108BFloat16EfLb1EEEvllPKT_S7_PKT0_SA_PS5_SB_: ; @_ZN2at6native12_GLOBAL__N_133GammaBetaBackwardSimpleCUDAKernelIN3c108BFloat16EfLb1EEEvllPKT_S7_PKT0_SA_PS5_SB_
; %bb.0:
	s_load_dword s0, s[4:5], 0x4c
	v_mov_b32_e32 v1, 0
	s_load_dwordx8 s[8:15], s[4:5], 0x0
	v_mov_b32_e32 v2, s6
	s_waitcnt lgkmcnt(0)
	s_and_b32 s0, s0, 0xffff
	v_mad_u64_u32 v[2:3], s[0:1], s0, v2, v[0:1]
	v_cmp_gt_i64_e32 vcc, s[10:11], v[2:3]
	s_and_saveexec_b64 s[0:1], vcc
	s_cbranch_execz .LBB187_8
; %bb.1:
	s_load_dwordx4 s[16:19], s[4:5], 0x28
	v_cmp_lt_i64_e64 s[0:1], s[8:9], 1
	v_lshlrev_b64 v[2:3], 1, v[2:3]
	s_and_b64 vcc, exec, s[0:1]
	s_cbranch_vccnz .LBB187_6
; %bb.2:
	s_waitcnt lgkmcnt(0)
	s_cmp_lg_u64 s[18:19], 0
	s_cselect_b64 s[0:1], -1, 0
	s_lshl_b64 s[2:3], s[10:11], 1
	v_cndmask_b32_e64 v0, 0, 1, s[0:1]
	v_mov_b32_e32 v5, v3
	v_mov_b32_e32 v1, 0
	v_cmp_ne_u32_e64 s[0:1], 1, v0
	v_mov_b32_e32 v0, s3
	v_mov_b32_e32 v4, v2
	s_branch .LBB187_4
.LBB187_3:                              ;   in Loop: Header=BB187_4 Depth=1
	s_add_u32 s8, s8, -1
	s_addc_u32 s9, s9, -1
	s_add_u32 s16, s16, 4
	s_addc_u32 s17, s17, 0
	v_add_co_u32_e32 v4, vcc, s2, v4
	v_add_f32_e32 v1, v1, v6
	s_cmp_eq_u64 s[8:9], 0
	v_addc_co_u32_e32 v5, vcc, v5, v0, vcc
	s_cbranch_scc1 .LBB187_6
.LBB187_4:                              ; =>This Inner Loop Header: Depth=1
	s_and_b64 vcc, exec, s[0:1]
	v_mov_b32_e32 v6, 0
	s_cbranch_vccnz .LBB187_3
; %bb.5:                                ;   in Loop: Header=BB187_4 Depth=1
	v_mov_b32_e32 v7, s13
	v_add_co_u32_e32 v6, vcc, s12, v4
	v_addc_co_u32_e32 v7, vcc, v7, v5, vcc
	v_mov_b32_e32 v9, s15
	v_add_co_u32_e32 v8, vcc, s14, v4
	v_addc_co_u32_e32 v9, vcc, v9, v5, vcc
	global_load_ushort v10, v[8:9], off
	global_load_ushort v11, v[6:7], off
	s_load_dword s3, s[16:17], 0x0
	s_waitcnt vmcnt(1)
	v_lshlrev_b32_e32 v6, 16, v10
	s_waitcnt vmcnt(0)
	v_lshlrev_b32_e32 v7, 16, v11
	v_mul_f32_e32 v6, v7, v6
	s_waitcnt lgkmcnt(0)
	v_mul_f32_e32 v6, s3, v6
	s_branch .LBB187_3
.LBB187_6:
	s_waitcnt lgkmcnt(0)
	s_cmp_lg_u64 s[18:19], 0
	s_cbranch_scc0 .LBB187_8
; %bb.7:
	v_bfe_u32 v0, v1, 16, 1
	s_movk_i32 s0, 0x7fff
	v_add3_u32 v0, v1, v0, s0
	v_cmp_o_f32_e32 vcc, v1, v1
	v_mov_b32_e32 v1, 0x7fc0
	v_cndmask_b32_sdwa v4, v1, v0, vcc dst_sel:DWORD dst_unused:UNUSED_PAD src0_sel:DWORD src1_sel:WORD_1
	v_mov_b32_e32 v1, s19
	v_add_co_u32_e32 v0, vcc, s18, v2
	v_addc_co_u32_e32 v1, vcc, v1, v3, vcc
	global_store_short v[0:1], v4, off
.LBB187_8:
	s_endpgm
	.section	.rodata,"a",@progbits
	.p2align	6, 0x0
	.amdhsa_kernel _ZN2at6native12_GLOBAL__N_133GammaBetaBackwardSimpleCUDAKernelIN3c108BFloat16EfLb1EEEvllPKT_S7_PKT0_SA_PS5_SB_
		.amdhsa_group_segment_fixed_size 0
		.amdhsa_private_segment_fixed_size 0
		.amdhsa_kernarg_size 320
		.amdhsa_user_sgpr_count 6
		.amdhsa_user_sgpr_private_segment_buffer 1
		.amdhsa_user_sgpr_dispatch_ptr 0
		.amdhsa_user_sgpr_queue_ptr 0
		.amdhsa_user_sgpr_kernarg_segment_ptr 1
		.amdhsa_user_sgpr_dispatch_id 0
		.amdhsa_user_sgpr_flat_scratch_init 0
		.amdhsa_user_sgpr_private_segment_size 0
		.amdhsa_uses_dynamic_stack 0
		.amdhsa_system_sgpr_private_segment_wavefront_offset 0
		.amdhsa_system_sgpr_workgroup_id_x 1
		.amdhsa_system_sgpr_workgroup_id_y 0
		.amdhsa_system_sgpr_workgroup_id_z 0
		.amdhsa_system_sgpr_workgroup_info 0
		.amdhsa_system_vgpr_workitem_id 0
		.amdhsa_next_free_vgpr 12
		.amdhsa_next_free_sgpr 20
		.amdhsa_reserve_vcc 1
		.amdhsa_reserve_flat_scratch 0
		.amdhsa_float_round_mode_32 0
		.amdhsa_float_round_mode_16_64 0
		.amdhsa_float_denorm_mode_32 3
		.amdhsa_float_denorm_mode_16_64 3
		.amdhsa_dx10_clamp 1
		.amdhsa_ieee_mode 1
		.amdhsa_fp16_overflow 0
		.amdhsa_exception_fp_ieee_invalid_op 0
		.amdhsa_exception_fp_denorm_src 0
		.amdhsa_exception_fp_ieee_div_zero 0
		.amdhsa_exception_fp_ieee_overflow 0
		.amdhsa_exception_fp_ieee_underflow 0
		.amdhsa_exception_fp_ieee_inexact 0
		.amdhsa_exception_int_div_zero 0
	.end_amdhsa_kernel
	.section	.text._ZN2at6native12_GLOBAL__N_133GammaBetaBackwardSimpleCUDAKernelIN3c108BFloat16EfLb1EEEvllPKT_S7_PKT0_SA_PS5_SB_,"axG",@progbits,_ZN2at6native12_GLOBAL__N_133GammaBetaBackwardSimpleCUDAKernelIN3c108BFloat16EfLb1EEEvllPKT_S7_PKT0_SA_PS5_SB_,comdat
.Lfunc_end187:
	.size	_ZN2at6native12_GLOBAL__N_133GammaBetaBackwardSimpleCUDAKernelIN3c108BFloat16EfLb1EEEvllPKT_S7_PKT0_SA_PS5_SB_, .Lfunc_end187-_ZN2at6native12_GLOBAL__N_133GammaBetaBackwardSimpleCUDAKernelIN3c108BFloat16EfLb1EEEvllPKT_S7_PKT0_SA_PS5_SB_
                                        ; -- End function
	.set _ZN2at6native12_GLOBAL__N_133GammaBetaBackwardSimpleCUDAKernelIN3c108BFloat16EfLb1EEEvllPKT_S7_PKT0_SA_PS5_SB_.num_vgpr, 12
	.set _ZN2at6native12_GLOBAL__N_133GammaBetaBackwardSimpleCUDAKernelIN3c108BFloat16EfLb1EEEvllPKT_S7_PKT0_SA_PS5_SB_.num_agpr, 0
	.set _ZN2at6native12_GLOBAL__N_133GammaBetaBackwardSimpleCUDAKernelIN3c108BFloat16EfLb1EEEvllPKT_S7_PKT0_SA_PS5_SB_.numbered_sgpr, 20
	.set _ZN2at6native12_GLOBAL__N_133GammaBetaBackwardSimpleCUDAKernelIN3c108BFloat16EfLb1EEEvllPKT_S7_PKT0_SA_PS5_SB_.num_named_barrier, 0
	.set _ZN2at6native12_GLOBAL__N_133GammaBetaBackwardSimpleCUDAKernelIN3c108BFloat16EfLb1EEEvllPKT_S7_PKT0_SA_PS5_SB_.private_seg_size, 0
	.set _ZN2at6native12_GLOBAL__N_133GammaBetaBackwardSimpleCUDAKernelIN3c108BFloat16EfLb1EEEvllPKT_S7_PKT0_SA_PS5_SB_.uses_vcc, 1
	.set _ZN2at6native12_GLOBAL__N_133GammaBetaBackwardSimpleCUDAKernelIN3c108BFloat16EfLb1EEEvllPKT_S7_PKT0_SA_PS5_SB_.uses_flat_scratch, 0
	.set _ZN2at6native12_GLOBAL__N_133GammaBetaBackwardSimpleCUDAKernelIN3c108BFloat16EfLb1EEEvllPKT_S7_PKT0_SA_PS5_SB_.has_dyn_sized_stack, 0
	.set _ZN2at6native12_GLOBAL__N_133GammaBetaBackwardSimpleCUDAKernelIN3c108BFloat16EfLb1EEEvllPKT_S7_PKT0_SA_PS5_SB_.has_recursion, 0
	.set _ZN2at6native12_GLOBAL__N_133GammaBetaBackwardSimpleCUDAKernelIN3c108BFloat16EfLb1EEEvllPKT_S7_PKT0_SA_PS5_SB_.has_indirect_call, 0
	.section	.AMDGPU.csdata,"",@progbits
; Kernel info:
; codeLenInByte = 344
; TotalNumSgprs: 24
; NumVgprs: 12
; ScratchSize: 0
; MemoryBound: 0
; FloatMode: 240
; IeeeMode: 1
; LDSByteSize: 0 bytes/workgroup (compile time only)
; SGPRBlocks: 2
; VGPRBlocks: 2
; NumSGPRsForWavesPerEU: 24
; NumVGPRsForWavesPerEU: 12
; Occupancy: 10
; WaveLimiterHint : 0
; COMPUTE_PGM_RSRC2:SCRATCH_EN: 0
; COMPUTE_PGM_RSRC2:USER_SGPR: 6
; COMPUTE_PGM_RSRC2:TRAP_HANDLER: 0
; COMPUTE_PGM_RSRC2:TGID_X_EN: 1
; COMPUTE_PGM_RSRC2:TGID_Y_EN: 0
; COMPUTE_PGM_RSRC2:TGID_Z_EN: 0
; COMPUTE_PGM_RSRC2:TIDIG_COMP_CNT: 0
	.section	.text._ZN2at6native12_GLOBAL__N_135GammaBetaBackwardCUDAKernelTemplateIN3c108BFloat16EfLj64ELj1ELj32ELb1ELb1ELb1EEEvllPKT_S7_PKT0_SA_PS5_SB_,"axG",@progbits,_ZN2at6native12_GLOBAL__N_135GammaBetaBackwardCUDAKernelTemplateIN3c108BFloat16EfLj64ELj1ELj32ELb1ELb1ELb1EEEvllPKT_S7_PKT0_SA_PS5_SB_,comdat
	.globl	_ZN2at6native12_GLOBAL__N_135GammaBetaBackwardCUDAKernelTemplateIN3c108BFloat16EfLj64ELj1ELj32ELb1ELb1ELb1EEEvllPKT_S7_PKT0_SA_PS5_SB_ ; -- Begin function _ZN2at6native12_GLOBAL__N_135GammaBetaBackwardCUDAKernelTemplateIN3c108BFloat16EfLj64ELj1ELj32ELb1ELb1ELb1EEEvllPKT_S7_PKT0_SA_PS5_SB_
	.p2align	8
	.type	_ZN2at6native12_GLOBAL__N_135GammaBetaBackwardCUDAKernelTemplateIN3c108BFloat16EfLj64ELj1ELj32ELb1ELb1ELb1EEEvllPKT_S7_PKT0_SA_PS5_SB_,@function
_ZN2at6native12_GLOBAL__N_135GammaBetaBackwardCUDAKernelTemplateIN3c108BFloat16EfLj64ELj1ELj32ELb1ELb1ELb1EEEvllPKT_S7_PKT0_SA_PS5_SB_: ; @_ZN2at6native12_GLOBAL__N_135GammaBetaBackwardCUDAKernelTemplateIN3c108BFloat16EfLj64ELj1ELj32ELb1ELb1ELb1EEEvllPKT_S7_PKT0_SA_PS5_SB_
; %bb.0:
	s_load_dwordx4 s[12:15], s[4:5], 0x0
	s_load_dwordx2 s[10:11], s[4:5], 0x30
	s_lshl_b32 s20, s7, 5
	s_mov_b32 s21, 0
	v_mov_b32_e32 v2, s20
	v_mov_b32_e32 v3, s21
	s_waitcnt lgkmcnt(0)
	v_cmp_le_i64_e32 vcc, s[12:13], v[2:3]
	s_mov_b32 s2, s7
	v_mov_b32_e32 v3, 0
	s_cbranch_vccnz .LBB188_7
; %bb.1:
	s_load_dword s0, s[4:5], 0x4c
	s_load_dword s3, s[4:5], 0x44
	s_load_dwordx4 s[16:19], s[4:5], 0x10
	s_load_dwordx2 s[8:9], s[4:5], 0x28
	v_lshlrev_b32_e32 v4, 5, v1
	s_waitcnt lgkmcnt(0)
	s_and_b32 s0, s0, 0xffff
	v_mad_u32_u24 v2, v1, s0, v0
	v_and_b32_e32 v5, 63, v2
	v_add_co_u32_e32 v9, vcc, s20, v4
	v_mbcnt_lo_u32_b32 v6, -1, 0
	v_addc_co_u32_e64 v10, s[22:23], 0, 0, vcc
	v_add_co_u32_e32 v4, vcc, v9, v5
	v_cmp_gt_u32_e64 s[0:1], 32, v5
	v_mbcnt_hi_u32_b32 v6, -1, v6
	v_addc_co_u32_e32 v5, vcc, 0, v10, vcc
	v_mul_lo_u32 v12, s15, v9
	v_mul_lo_u32 v13, s14, v10
	v_mad_u64_u32 v[9:10], s[22:23], s14, v9, 0
	v_lshlrev_b32_e32 v6, 2, v6
	v_and_b32_e32 v8, 0x100, v6
	v_lshlrev_b64 v[6:7], 2, v[4:5]
	v_mov_b32_e32 v3, 0
	v_lshl_or_b32 v2, s6, 6, v0
	v_mov_b32_e32 v11, s9
	v_add_co_u32_e32 v6, vcc, s8, v6
	v_add3_u32 v10, v10, v13, v12
	v_addc_co_u32_e32 v7, vcc, v11, v7, vcc
	v_lshlrev_b64 v[9:10], 1, v[9:10]
	v_lshlrev_b64 v[11:12], 1, v[2:3]
	s_lshl_b32 s22, s3, 5
	s_mul_i32 s3, s15, s22
	s_mul_hi_u32 s7, s14, s22
	v_add_co_u32_e32 v2, vcc, v9, v11
	s_mov_b32 s23, s21
	s_add_i32 s9, s7, s3
	s_mul_i32 s8, s14, s22
	v_addc_co_u32_e32 v9, vcc, v10, v12, vcc
	s_lshl_b64 s[24:25], s[22:23], 2
	s_lshl_b64 s[26:27], s[8:9], 1
	;; [unrolled: 1-line block ×3, first 2 shown]
	v_or_b32_e32 v10, 0x44, v8
	v_or_b32_e32 v11, 0x48, v8
	v_or_b32_e32 v12, 0x4c, v8
	v_or_b32_e32 v13, 0x50, v8
	v_or_b32_e32 v14, 0x54, v8
	v_or_b32_e32 v15, 0x58, v8
	v_or_b32_e32 v16, 0x5c, v8
	v_or_b32_e32 v17, 0x60, v8
	v_or_b32_e32 v18, 0x64, v8
	v_or_b32_e32 v19, 0x68, v8
	v_or_b32_e32 v20, 0x6c, v8
	v_or_b32_e32 v21, 0x70, v8
	v_or_b32_e32 v22, 0x74, v8
	v_or_b32_e32 v23, 0x78, v8
	v_or_b32_e32 v24, 0x7c, v8
	s_branch .LBB188_4
.LBB188_2:                              ;   in Loop: Header=BB188_4 Depth=1
	s_or_b64 exec, exec, s[30:31]
.LBB188_3:                              ;   in Loop: Header=BB188_4 Depth=1
	s_or_b64 exec, exec, s[8:9]
	v_mov_b32_e32 v26, s17
	v_add_co_u32_e32 v27, vcc, s16, v2
	v_addc_co_u32_e32 v28, vcc, v26, v9, vcc
	v_mov_b32_e32 v26, s29
	v_add_co_u32_e32 v29, vcc, s28, v27
	v_addc_co_u32_e32 v30, vcc, v28, v26, vcc
	global_load_ushort v33, v[27:28], off
	v_mov_b32_e32 v28, s19
	v_add_co_u32_e32 v27, vcc, s18, v2
	v_addc_co_u32_e32 v28, vcc, v28, v9, vcc
	global_load_ushort v34, v[27:28], off
	v_add_co_u32_e32 v27, vcc, s28, v27
	v_addc_co_u32_e32 v28, vcc, v28, v26, vcc
	global_load_ushort v35, v[29:30], off
	global_load_ushort v36, v[27:28], off
	v_add_co_u32_e32 v29, vcc, s28, v29
	v_addc_co_u32_e32 v30, vcc, v30, v26, vcc
	v_add_co_u32_e32 v27, vcc, s28, v27
	v_addc_co_u32_e32 v28, vcc, v28, v26, vcc
	global_load_ushort v37, v[29:30], off
	global_load_ushort v38, v[27:28], off
	v_add_co_u32_e32 v31, vcc, s28, v29
	v_addc_co_u32_e32 v32, vcc, v30, v26, vcc
	global_load_ushort v39, v[31:32], off
	v_add_co_u32_e32 v29, vcc, s28, v27
	v_addc_co_u32_e32 v30, vcc, v28, v26, vcc
	v_add_co_u32_e32 v27, vcc, s28, v31
	v_addc_co_u32_e32 v28, vcc, v32, v26, vcc
	;; [unrolled: 2-line block ×3, first 2 shown]
	global_load_ushort v40, v[29:30], off
	global_load_ushort v42, v[31:32], off
	v_add_co_u32_e32 v29, vcc, s28, v27
	v_addc_co_u32_e32 v30, vcc, v28, v26, vcc
	global_load_ushort v41, v[27:28], off
	v_add_co_u32_e32 v27, vcc, s28, v31
	v_addc_co_u32_e32 v28, vcc, v32, v26, vcc
	v_add_co_u32_e32 v31, vcc, s28, v29
	v_addc_co_u32_e32 v32, vcc, v30, v26, vcc
	global_load_ushort v43, v[29:30], off
	v_add_co_u32_e32 v29, vcc, s28, v27
	v_addc_co_u32_e32 v30, vcc, v28, v26, vcc
	global_load_ushort v44, v[27:28], off
	;; [unrolled: 3-line block ×3, first 2 shown]
	s_waitcnt vmcnt(13)
	ds_bpermute_b32 v32, v8, v25
	s_add_u32 s20, s20, s22
	s_addc_u32 s21, s21, 0
	v_add_co_u32_e64 v6, s[8:9], s24, v6
	s_waitcnt vmcnt(12)
	v_lshlrev_b32_e32 v33, 16, v33
	s_waitcnt vmcnt(11)
	v_lshlrev_b32_e32 v34, 16, v34
	v_mul_f32_e32 v33, v33, v34
	s_waitcnt lgkmcnt(0)
	v_fmac_f32_e32 v3, v33, v32
	global_load_ushort v33, v[29:30], off
	v_or_b32_e32 v34, 4, v8
	s_waitcnt vmcnt(11)
	v_lshlrev_b32_e32 v35, 16, v35
	s_waitcnt vmcnt(10)
	v_lshlrev_b32_e32 v36, 16, v36
	v_add_co_u32_e32 v29, vcc, s28, v29
	ds_bpermute_b32 v34, v34, v25
	v_mul_f32_e32 v32, v35, v36
	v_addc_co_u32_e32 v30, vcc, v30, v26, vcc
	global_load_ushort v35, v[27:28], off
	global_load_ushort v36, v[29:30], off
	v_add_co_u32_e32 v27, vcc, s28, v27
	v_addc_co_u32_e32 v28, vcc, v28, v26, vcc
	v_add_co_u32_e32 v29, vcc, s28, v29
	s_waitcnt lgkmcnt(0)
	v_fmac_f32_e32 v3, v32, v34
	v_addc_co_u32_e32 v30, vcc, v30, v26, vcc
	global_load_ushort v32, v[27:28], off
	global_load_ushort v34, v[29:30], off
	s_waitcnt vmcnt(13)
	v_lshlrev_b32_e32 v37, 16, v37
	s_waitcnt vmcnt(12)
	v_lshlrev_b32_e32 v38, 16, v38
	v_mul_f32_e32 v37, v37, v38
	v_or_b32_e32 v38, 8, v8
	ds_bpermute_b32 v38, v38, v25
	v_add_co_u32_e32 v27, vcc, s28, v27
	v_addc_co_u32_e32 v28, vcc, v28, v26, vcc
	s_waitcnt lgkmcnt(0)
	v_fmac_f32_e32 v3, v37, v38
	v_or_b32_e32 v37, 12, v8
	ds_bpermute_b32 v37, v37, v25
	s_waitcnt vmcnt(11)
	v_lshlrev_b32_e32 v38, 16, v39
	s_waitcnt vmcnt(10)
	v_lshlrev_b32_e32 v39, 16, v40
	v_mul_f32_e32 v38, v38, v39
	s_waitcnt vmcnt(9)
	v_lshlrev_b32_e32 v39, 16, v42
	s_waitcnt lgkmcnt(0)
	v_fmac_f32_e32 v3, v38, v37
	v_or_b32_e32 v37, 16, v8
	ds_bpermute_b32 v37, v37, v25
	s_waitcnt vmcnt(8)
	v_lshlrev_b32_e32 v38, 16, v41
	v_mul_f32_e32 v38, v38, v39
	v_or_b32_e32 v39, 20, v8
	ds_bpermute_b32 v39, v39, v25
	s_waitcnt lgkmcnt(1)
	v_fmac_f32_e32 v3, v38, v37
	s_waitcnt vmcnt(7)
	v_lshlrev_b32_e32 v37, 16, v43
	v_add_co_u32_e32 v29, vcc, s28, v29
	v_addc_co_u32_e32 v30, vcc, v30, v26, vcc
	s_waitcnt vmcnt(6)
	v_lshlrev_b32_e32 v38, 16, v44
	v_mul_f32_e32 v37, v37, v38
	s_waitcnt lgkmcnt(0)
	v_fmac_f32_e32 v3, v37, v39
	v_or_b32_e32 v37, 24, v8
	ds_bpermute_b32 v37, v37, v25
	s_waitcnt vmcnt(5)
	v_lshlrev_b32_e32 v31, 16, v31
	s_waitcnt vmcnt(4)
	v_lshlrev_b32_e32 v33, 16, v33
	v_mul_f32_e32 v31, v31, v33
	v_or_b32_e32 v33, 28, v8
	ds_bpermute_b32 v33, v33, v25
	s_waitcnt lgkmcnt(1)
	v_fmac_f32_e32 v3, v31, v37
	s_waitcnt vmcnt(3)
	v_lshlrev_b32_e32 v31, 16, v35
	s_waitcnt vmcnt(2)
	v_lshlrev_b32_e32 v35, 16, v36
	v_mul_f32_e32 v31, v31, v35
	global_load_ushort v35, v[27:28], off
	global_load_ushort v36, v[29:30], off
	s_waitcnt lgkmcnt(0)
	v_fmac_f32_e32 v3, v31, v33
	s_waitcnt vmcnt(3)
	v_lshlrev_b32_e32 v31, 16, v32
	s_waitcnt vmcnt(2)
	v_lshlrev_b32_e32 v32, 16, v34
	v_mul_f32_e32 v33, v31, v32
	v_or_b32_e32 v31, 32, v8
	ds_bpermute_b32 v34, v31, v25
	v_add_co_u32_e32 v31, vcc, s28, v27
	v_addc_co_u32_e32 v32, vcc, v28, v26, vcc
	v_add_co_u32_e32 v27, vcc, s28, v29
	v_addc_co_u32_e32 v28, vcc, v30, v26, vcc
	;; [unrolled: 2-line block ×3, first 2 shown]
	global_load_ushort v37, v[31:32], off
	global_load_ushort v38, v[27:28], off
	v_add_co_u32_e32 v31, vcc, s28, v27
	v_addc_co_u32_e32 v32, vcc, v28, v26, vcc
	v_add_co_u32_e32 v27, vcc, s28, v29
	global_load_ushort v39, v[29:30], off
	global_load_ushort v40, v[31:32], off
	v_addc_co_u32_e32 v28, vcc, v30, v26, vcc
	v_add_co_u32_e32 v29, vcc, s28, v31
	v_addc_co_u32_e32 v30, vcc, v32, v26, vcc
	v_add_co_u32_e32 v31, vcc, s28, v27
	v_addc_co_u32_e32 v32, vcc, v28, v26, vcc
	global_load_ushort v41, v[27:28], off
	global_load_ushort v42, v[29:30], off
	v_add_co_u32_e32 v27, vcc, s28, v29
	v_addc_co_u32_e32 v28, vcc, v30, v26, vcc
	v_add_co_u32_e32 v29, vcc, s28, v31
	global_load_ushort v43, v[31:32], off
	global_load_ushort v44, v[27:28], off
	v_addc_co_u32_e32 v30, vcc, v32, v26, vcc
	v_add_co_u32_e32 v27, vcc, s28, v27
	v_addc_co_u32_e32 v28, vcc, v28, v26, vcc
	global_load_ushort v31, v[29:30], off
	global_load_ushort v32, v[27:28], off
	v_add_co_u32_e32 v29, vcc, s28, v29
	v_addc_co_u32_e32 v30, vcc, v30, v26, vcc
	v_add_co_u32_e32 v27, vcc, s28, v27
	s_waitcnt lgkmcnt(0)
	v_fmac_f32_e32 v3, v33, v34
	v_addc_co_u32_e32 v28, vcc, v28, v26, vcc
	global_load_ushort v33, v[29:30], off
	global_load_ushort v34, v[27:28], off
	v_add_co_u32_e32 v29, vcc, s28, v29
	v_addc_co_u32_e32 v30, vcc, v30, v26, vcc
	v_add_co_u32_e32 v27, vcc, s28, v27
	v_addc_co_u32_e32 v28, vcc, v28, v26, vcc
	s_waitcnt vmcnt(13)
	v_lshlrev_b32_e32 v35, 16, v35
	s_waitcnt vmcnt(12)
	v_lshlrev_b32_e32 v36, 16, v36
	v_mul_f32_e32 v35, v35, v36
	v_or_b32_e32 v36, 36, v8
	ds_bpermute_b32 v36, v36, v25
	s_waitcnt lgkmcnt(0)
	v_fmac_f32_e32 v3, v35, v36
	v_or_b32_e32 v35, 40, v8
	ds_bpermute_b32 v35, v35, v25
	s_waitcnt vmcnt(11)
	v_lshlrev_b32_e32 v36, 16, v37
	s_waitcnt vmcnt(10)
	v_lshlrev_b32_e32 v37, 16, v38
	v_mul_f32_e32 v36, v36, v37
	s_waitcnt lgkmcnt(0)
	v_fmac_f32_e32 v3, v36, v35
	v_or_b32_e32 v35, 44, v8
	ds_bpermute_b32 v35, v35, v25
	s_waitcnt vmcnt(9)
	v_lshlrev_b32_e32 v36, 16, v39
	s_waitcnt vmcnt(8)
	v_lshlrev_b32_e32 v37, 16, v40
	v_mul_f32_e32 v36, v36, v37
	v_or_b32_e32 v37, 48, v8
	ds_bpermute_b32 v37, v37, v25
	s_waitcnt lgkmcnt(1)
	v_fmac_f32_e32 v3, v36, v35
	s_waitcnt vmcnt(7)
	v_lshlrev_b32_e32 v35, 16, v41
	s_waitcnt vmcnt(6)
	v_lshlrev_b32_e32 v36, 16, v42
	v_mul_f32_e32 v35, v35, v36
	s_waitcnt lgkmcnt(0)
	v_fmac_f32_e32 v3, v35, v37
	v_or_b32_e32 v35, 52, v8
	ds_bpermute_b32 v35, v35, v25
	s_waitcnt vmcnt(5)
	v_lshlrev_b32_e32 v36, 16, v43
	s_waitcnt vmcnt(4)
	v_lshlrev_b32_e32 v37, 16, v44
	v_mul_f32_e32 v36, v36, v37
	v_or_b32_e32 v37, 56, v8
	ds_bpermute_b32 v37, v37, v25
	s_waitcnt lgkmcnt(1)
	v_fmac_f32_e32 v3, v36, v35
	global_load_ushort v35, v[29:30], off
	s_waitcnt vmcnt(4)
	v_lshlrev_b32_e32 v31, 16, v31
	s_waitcnt vmcnt(3)
	v_lshlrev_b32_e32 v32, 16, v32
	global_load_ushort v36, v[27:28], off
	v_mul_f32_e32 v31, v31, v32
	s_waitcnt lgkmcnt(0)
	v_fmac_f32_e32 v3, v31, v37
	s_waitcnt vmcnt(3)
	v_lshlrev_b32_e32 v31, 16, v33
	s_waitcnt vmcnt(2)
	v_lshlrev_b32_e32 v32, 16, v34
	v_mul_f32_e32 v33, v31, v32
	v_or_b32_e32 v31, 60, v8
	ds_bpermute_b32 v34, v31, v25
	v_add_co_u32_e32 v31, vcc, s28, v29
	v_addc_co_u32_e32 v32, vcc, v30, v26, vcc
	v_add_co_u32_e32 v29, vcc, s28, v27
	v_addc_co_u32_e32 v30, vcc, v28, v26, vcc
	;; [unrolled: 2-line block ×3, first 2 shown]
	global_load_ushort v37, v[31:32], off
	v_add_co_u32_e32 v31, vcc, s28, v29
	global_load_ushort v38, v[29:30], off
	v_addc_co_u32_e32 v32, vcc, v30, v26, vcc
	v_add_co_u32_e32 v29, vcc, s28, v27
	v_addc_co_u32_e32 v30, vcc, v28, v26, vcc
	global_load_ushort v39, v[27:28], off
	global_load_ushort v40, v[31:32], off
	v_add_co_u32_e32 v27, vcc, s28, v31
	v_addc_co_u32_e32 v28, vcc, v32, v26, vcc
	v_add_co_u32_e32 v31, vcc, s28, v29
	v_addc_co_u32_e32 v32, vcc, v30, v26, vcc
	global_load_ushort v41, v[29:30], off
	global_load_ushort v42, v[27:28], off
	v_add_co_u32_e32 v29, vcc, s28, v27
	v_addc_co_u32_e32 v30, vcc, v28, v26, vcc
	global_load_ushort v43, v[31:32], off
	global_load_ushort v44, v[29:30], off
	v_add_co_u32_e32 v27, vcc, s28, v31
	v_addc_co_u32_e32 v28, vcc, v32, v26, vcc
	v_add_co_u32_e32 v29, vcc, s28, v29
	v_addc_co_u32_e32 v30, vcc, v30, v26, vcc
	global_load_ushort v31, v[27:28], off
	global_load_ushort v32, v[29:30], off
	v_add_co_u32_e32 v27, vcc, s28, v27
	v_addc_co_u32_e32 v28, vcc, v28, v26, vcc
	v_add_co_u32_e32 v29, vcc, s28, v29
	v_addc_co_u32_e32 v30, vcc, v30, v26, vcc
	s_waitcnt lgkmcnt(0)
	v_fmac_f32_e32 v3, v33, v34
	global_load_ushort v33, v[29:30], off
	global_load_ushort v34, v[27:28], off
	v_add_co_u32_e32 v29, vcc, s28, v29
	v_addc_co_u32_e32 v30, vcc, v30, v26, vcc
	v_add_co_u32_e32 v27, vcc, s28, v27
	s_waitcnt vmcnt(13)
	v_lshlrev_b32_e32 v35, 16, v35
	v_addc_co_u32_e32 v28, vcc, v28, v26, vcc
	s_waitcnt vmcnt(12)
	v_lshlrev_b32_e32 v36, 16, v36
	v_mul_f32_e32 v35, v35, v36
	v_or_b32_e32 v36, 64, v8
	ds_bpermute_b32 v36, v36, v25
	s_waitcnt lgkmcnt(0)
	v_fmac_f32_e32 v3, v35, v36
	ds_bpermute_b32 v35, v10, v25
	s_waitcnt vmcnt(11)
	v_lshlrev_b32_e32 v36, 16, v37
	s_waitcnt vmcnt(10)
	v_lshlrev_b32_e32 v37, 16, v38
	v_mul_f32_e32 v36, v36, v37
	s_waitcnt lgkmcnt(0)
	v_fmac_f32_e32 v3, v36, v35
	ds_bpermute_b32 v35, v11, v25
	s_waitcnt vmcnt(9)
	v_lshlrev_b32_e32 v36, 16, v39
	s_waitcnt vmcnt(8)
	v_lshlrev_b32_e32 v37, 16, v40
	v_mul_f32_e32 v36, v36, v37
	ds_bpermute_b32 v37, v12, v25
	s_waitcnt lgkmcnt(1)
	v_fmac_f32_e32 v3, v36, v35
	s_waitcnt vmcnt(7)
	v_lshlrev_b32_e32 v35, 16, v41
	s_waitcnt vmcnt(6)
	v_lshlrev_b32_e32 v36, 16, v42
	v_mul_f32_e32 v35, v35, v36
	s_waitcnt lgkmcnt(0)
	v_fmac_f32_e32 v3, v35, v37
	ds_bpermute_b32 v35, v13, v25
	s_waitcnt vmcnt(5)
	v_lshlrev_b32_e32 v36, 16, v43
	s_waitcnt vmcnt(4)
	v_lshlrev_b32_e32 v37, 16, v44
	v_mul_f32_e32 v36, v36, v37
	ds_bpermute_b32 v37, v14, v25
	s_waitcnt lgkmcnt(1)
	v_fmac_f32_e32 v3, v36, v35
	s_waitcnt vmcnt(3)
	v_lshlrev_b32_e32 v31, 16, v31
	s_waitcnt vmcnt(2)
	v_lshlrev_b32_e32 v32, 16, v32
	v_mul_f32_e32 v31, v31, v32
	s_waitcnt lgkmcnt(0)
	v_fmac_f32_e32 v3, v31, v37
	ds_bpermute_b32 v31, v15, v25
	s_waitcnt vmcnt(1)
	v_lshlrev_b32_e32 v32, 16, v33
	s_waitcnt vmcnt(0)
	v_lshlrev_b32_e32 v33, 16, v34
	v_mul_f32_e32 v32, v33, v32
	s_waitcnt lgkmcnt(0)
	v_fmac_f32_e32 v3, v32, v31
	v_add_co_u32_e32 v31, vcc, s28, v29
	v_addc_co_u32_e32 v32, vcc, v30, v26, vcc
	global_load_ushort v33, v[29:30], off
	v_add_co_u32_e32 v29, vcc, s28, v27
	v_addc_co_u32_e32 v30, vcc, v28, v26, vcc
	global_load_ushort v34, v[27:28], off
	;; [unrolled: 3-line block ×3, first 2 shown]
	v_add_co_u32_e32 v31, vcc, s28, v29
	global_load_ushort v36, v[29:30], off
	v_addc_co_u32_e32 v32, vcc, v30, v26, vcc
	v_add_co_u32_e32 v29, vcc, s28, v27
	v_addc_co_u32_e32 v30, vcc, v28, v26, vcc
	global_load_ushort v37, v[27:28], off
	v_add_co_u32_e32 v27, vcc, s28, v31
	global_load_ushort v38, v[31:32], off
	v_addc_co_u32_e32 v28, vcc, v32, v26, vcc
	v_add_co_u32_e32 v31, vcc, s28, v29
	v_addc_co_u32_e32 v32, vcc, v30, v26, vcc
	global_load_ushort v39, v[29:30], off
	global_load_ushort v40, v[27:28], off
	v_add_co_u32_e32 v29, vcc, s28, v27
	v_addc_co_u32_e32 v30, vcc, v28, v26, vcc
	v_add_co_u32_e32 v27, vcc, s28, v31
	v_addc_co_u32_e32 v28, vcc, v32, v26, vcc
	global_load_ushort v41, v[31:32], off
	global_load_ushort v42, v[29:30], off
	v_add_co_u32_e32 v31, vcc, s28, v29
	v_addc_co_u32_e32 v32, vcc, v30, v26, vcc
	v_add_co_u32_e32 v29, vcc, s28, v27
	global_load_ushort v43, v[27:28], off
	global_load_ushort v44, v[31:32], off
	v_addc_co_u32_e32 v30, vcc, v28, v26, vcc
	v_add_co_u32_e32 v27, vcc, s28, v31
	v_addc_co_u32_e32 v28, vcc, v32, v26, vcc
	v_add_co_u32_e32 v31, vcc, s28, v29
	global_load_ushort v45, v[29:30], off
	global_load_ushort v46, v[27:28], off
	v_addc_co_u32_e32 v32, vcc, v30, v26, vcc
	v_add_co_u32_e32 v29, vcc, s28, v27
	v_addc_co_u32_e32 v30, vcc, v28, v26, vcc
	v_add_co_u32_e32 v27, vcc, s28, v31
	v_addc_co_u32_e32 v28, vcc, v32, v26, vcc
	global_load_ushort v47, v[31:32], off
	v_add_co_u32_e32 v31, vcc, s28, v29
	v_addc_co_u32_e32 v32, vcc, v30, v26, vcc
	global_load_ushort v26, v[29:30], off
	s_nop 0
	global_load_ushort v29, v[27:28], off
	global_load_ushort v30, v[31:32], off
	ds_bpermute_b32 v27, v16, v25
	s_waitcnt vmcnt(17)
	v_lshlrev_b32_e32 v28, 16, v33
	s_waitcnt vmcnt(16)
	v_lshlrev_b32_e32 v31, 16, v34
	v_mul_f32_e32 v28, v31, v28
	s_waitcnt lgkmcnt(0)
	v_fmac_f32_e32 v3, v28, v27
	ds_bpermute_b32 v27, v17, v25
	s_waitcnt vmcnt(15)
	v_lshlrev_b32_e32 v28, 16, v35
	s_waitcnt vmcnt(14)
	v_lshlrev_b32_e32 v31, 16, v36
	v_mul_f32_e32 v28, v31, v28
	ds_bpermute_b32 v31, v18, v25
	s_waitcnt lgkmcnt(1)
	v_fmac_f32_e32 v3, v28, v27
	s_waitcnt vmcnt(13)
	v_lshlrev_b32_e32 v27, 16, v37
	s_waitcnt vmcnt(12)
	v_lshlrev_b32_e32 v28, 16, v38
	v_mul_f32_e32 v27, v28, v27
	s_waitcnt lgkmcnt(0)
	v_fmac_f32_e32 v3, v27, v31
	ds_bpermute_b32 v27, v19, v25
	s_waitcnt vmcnt(11)
	v_lshlrev_b32_e32 v28, 16, v39
	s_waitcnt vmcnt(10)
	v_lshlrev_b32_e32 v31, 16, v40
	v_mul_f32_e32 v28, v31, v28
	ds_bpermute_b32 v31, v20, v25
	s_waitcnt lgkmcnt(1)
	v_fmac_f32_e32 v3, v28, v27
	;; [unrolled: 16-line block ×3, first 2 shown]
	s_waitcnt vmcnt(5)
	v_lshlrev_b32_e32 v27, 16, v45
	s_waitcnt vmcnt(4)
	v_lshlrev_b32_e32 v28, 16, v46
	v_mul_f32_e32 v27, v28, v27
	s_waitcnt lgkmcnt(0)
	v_fmac_f32_e32 v3, v27, v31
	ds_bpermute_b32 v27, v23, v25
	ds_bpermute_b32 v25, v24, v25
	s_waitcnt vmcnt(3)
	v_lshlrev_b32_e32 v28, 16, v47
	s_waitcnt vmcnt(2)
	v_lshlrev_b32_e32 v26, 16, v26
	v_mul_f32_e32 v26, v26, v28
	s_waitcnt lgkmcnt(1)
	v_fmac_f32_e32 v3, v26, v27
	s_waitcnt vmcnt(1)
	v_lshlrev_b32_e32 v26, 16, v29
	s_waitcnt vmcnt(0)
	v_lshlrev_b32_e32 v27, 16, v30
	v_mul_f32_e32 v26, v27, v26
	s_waitcnt lgkmcnt(0)
	v_fmac_f32_e32 v3, v26, v25
	v_mov_b32_e32 v26, s13
	v_mov_b32_e32 v25, s12
	v_cmp_lt_i64_e32 vcc, s[20:21], v[25:26]
	v_mov_b32_e32 v25, s25
	v_addc_co_u32_e64 v7, s[8:9], v7, v25, s[8:9]
	v_mov_b32_e32 v25, s27
	v_add_co_u32_e64 v2, s[8:9], s26, v2
	v_addc_co_u32_e64 v9, s[8:9], v9, v25, s[8:9]
	v_add_co_u32_e64 v4, s[8:9], s22, v4
	v_addc_co_u32_e64 v5, s[8:9], 0, v5, s[8:9]
	s_cbranch_vccz .LBB188_7
.LBB188_4:                              ; =>This Inner Loop Header: Depth=1
	v_mov_b32_e32 v25, 0
	s_and_saveexec_b64 s[8:9], s[0:1]
	s_cbranch_execz .LBB188_3
; %bb.5:                                ;   in Loop: Header=BB188_4 Depth=1
	v_cmp_gt_i64_e32 vcc, s[12:13], v[4:5]
	v_mov_b32_e32 v25, 0
	s_and_saveexec_b64 s[30:31], vcc
	s_cbranch_execz .LBB188_2
; %bb.6:                                ;   in Loop: Header=BB188_4 Depth=1
	global_load_dword v25, v[6:7], off
	s_branch .LBB188_2
.LBB188_7:
	s_cmp_eq_u64 s[10:11], 0
	s_cbranch_scc1 .LBB188_9
; %bb.8:
	s_load_dword s0, s[4:5], 0x4c
	v_mov_b32_e32 v2, 0
	v_mov_b32_e32 v4, s2
	;; [unrolled: 1-line block ×3, first 2 shown]
	v_cmp_o_f32_e32 vcc, v3, v3
	s_waitcnt lgkmcnt(0)
	s_lshr_b32 s0, s0, 16
	v_mad_u64_u32 v[1:2], s[0:1], s0, v4, v[1:2]
	v_bfe_u32 v4, v3, 16, 1
	s_movk_i32 s0, 0x7fff
	v_add3_u32 v4, v3, v4, s0
	v_mul_lo_u32 v5, v2, s14
	v_mul_lo_u32 v6, v1, s15
	v_mad_u64_u32 v[1:2], s[0:1], v1, s14, 0
	v_lshrrev_b32_e32 v4, 16, v4
	s_mov_b32 s7, 0
	v_add3_u32 v2, v2, v6, v5
	v_lshlrev_b64 v[1:2], 1, v[1:2]
	v_cndmask_b32_e32 v3, v7, v4, vcc
	v_mov_b32_e32 v4, s11
	v_add_co_u32_e32 v1, vcc, s10, v1
	v_addc_co_u32_e32 v2, vcc, v4, v2, vcc
	s_lshl_b64 s[0:1], s[6:7], 7
	v_mov_b32_e32 v4, s1
	v_add_co_u32_e32 v1, vcc, s0, v1
	v_addc_co_u32_e32 v2, vcc, v2, v4, vcc
	v_lshlrev_b32_e32 v0, 1, v0
	v_add_co_u32_e32 v0, vcc, v1, v0
	v_addc_co_u32_e32 v1, vcc, 0, v2, vcc
	global_store_short v[0:1], v3, off
.LBB188_9:
	s_endpgm
	.section	.rodata,"a",@progbits
	.p2align	6, 0x0
	.amdhsa_kernel _ZN2at6native12_GLOBAL__N_135GammaBetaBackwardCUDAKernelTemplateIN3c108BFloat16EfLj64ELj1ELj32ELb1ELb1ELb1EEEvllPKT_S7_PKT0_SA_PS5_SB_
		.amdhsa_group_segment_fixed_size 0
		.amdhsa_private_segment_fixed_size 0
		.amdhsa_kernarg_size 320
		.amdhsa_user_sgpr_count 6
		.amdhsa_user_sgpr_private_segment_buffer 1
		.amdhsa_user_sgpr_dispatch_ptr 0
		.amdhsa_user_sgpr_queue_ptr 0
		.amdhsa_user_sgpr_kernarg_segment_ptr 1
		.amdhsa_user_sgpr_dispatch_id 0
		.amdhsa_user_sgpr_flat_scratch_init 0
		.amdhsa_user_sgpr_private_segment_size 0
		.amdhsa_uses_dynamic_stack 0
		.amdhsa_system_sgpr_private_segment_wavefront_offset 0
		.amdhsa_system_sgpr_workgroup_id_x 1
		.amdhsa_system_sgpr_workgroup_id_y 1
		.amdhsa_system_sgpr_workgroup_id_z 0
		.amdhsa_system_sgpr_workgroup_info 0
		.amdhsa_system_vgpr_workitem_id 1
		.amdhsa_next_free_vgpr 48
		.amdhsa_next_free_sgpr 32
		.amdhsa_reserve_vcc 1
		.amdhsa_reserve_flat_scratch 0
		.amdhsa_float_round_mode_32 0
		.amdhsa_float_round_mode_16_64 0
		.amdhsa_float_denorm_mode_32 3
		.amdhsa_float_denorm_mode_16_64 3
		.amdhsa_dx10_clamp 1
		.amdhsa_ieee_mode 1
		.amdhsa_fp16_overflow 0
		.amdhsa_exception_fp_ieee_invalid_op 0
		.amdhsa_exception_fp_denorm_src 0
		.amdhsa_exception_fp_ieee_div_zero 0
		.amdhsa_exception_fp_ieee_overflow 0
		.amdhsa_exception_fp_ieee_underflow 0
		.amdhsa_exception_fp_ieee_inexact 0
		.amdhsa_exception_int_div_zero 0
	.end_amdhsa_kernel
	.section	.text._ZN2at6native12_GLOBAL__N_135GammaBetaBackwardCUDAKernelTemplateIN3c108BFloat16EfLj64ELj1ELj32ELb1ELb1ELb1EEEvllPKT_S7_PKT0_SA_PS5_SB_,"axG",@progbits,_ZN2at6native12_GLOBAL__N_135GammaBetaBackwardCUDAKernelTemplateIN3c108BFloat16EfLj64ELj1ELj32ELb1ELb1ELb1EEEvllPKT_S7_PKT0_SA_PS5_SB_,comdat
.Lfunc_end188:
	.size	_ZN2at6native12_GLOBAL__N_135GammaBetaBackwardCUDAKernelTemplateIN3c108BFloat16EfLj64ELj1ELj32ELb1ELb1ELb1EEEvllPKT_S7_PKT0_SA_PS5_SB_, .Lfunc_end188-_ZN2at6native12_GLOBAL__N_135GammaBetaBackwardCUDAKernelTemplateIN3c108BFloat16EfLj64ELj1ELj32ELb1ELb1ELb1EEEvllPKT_S7_PKT0_SA_PS5_SB_
                                        ; -- End function
	.set _ZN2at6native12_GLOBAL__N_135GammaBetaBackwardCUDAKernelTemplateIN3c108BFloat16EfLj64ELj1ELj32ELb1ELb1ELb1EEEvllPKT_S7_PKT0_SA_PS5_SB_.num_vgpr, 48
	.set _ZN2at6native12_GLOBAL__N_135GammaBetaBackwardCUDAKernelTemplateIN3c108BFloat16EfLj64ELj1ELj32ELb1ELb1ELb1EEEvllPKT_S7_PKT0_SA_PS5_SB_.num_agpr, 0
	.set _ZN2at6native12_GLOBAL__N_135GammaBetaBackwardCUDAKernelTemplateIN3c108BFloat16EfLj64ELj1ELj32ELb1ELb1ELb1EEEvllPKT_S7_PKT0_SA_PS5_SB_.numbered_sgpr, 32
	.set _ZN2at6native12_GLOBAL__N_135GammaBetaBackwardCUDAKernelTemplateIN3c108BFloat16EfLj64ELj1ELj32ELb1ELb1ELb1EEEvllPKT_S7_PKT0_SA_PS5_SB_.num_named_barrier, 0
	.set _ZN2at6native12_GLOBAL__N_135GammaBetaBackwardCUDAKernelTemplateIN3c108BFloat16EfLj64ELj1ELj32ELb1ELb1ELb1EEEvllPKT_S7_PKT0_SA_PS5_SB_.private_seg_size, 0
	.set _ZN2at6native12_GLOBAL__N_135GammaBetaBackwardCUDAKernelTemplateIN3c108BFloat16EfLj64ELj1ELj32ELb1ELb1ELb1EEEvllPKT_S7_PKT0_SA_PS5_SB_.uses_vcc, 1
	.set _ZN2at6native12_GLOBAL__N_135GammaBetaBackwardCUDAKernelTemplateIN3c108BFloat16EfLj64ELj1ELj32ELb1ELb1ELb1EEEvllPKT_S7_PKT0_SA_PS5_SB_.uses_flat_scratch, 0
	.set _ZN2at6native12_GLOBAL__N_135GammaBetaBackwardCUDAKernelTemplateIN3c108BFloat16EfLj64ELj1ELj32ELb1ELb1ELb1EEEvllPKT_S7_PKT0_SA_PS5_SB_.has_dyn_sized_stack, 0
	.set _ZN2at6native12_GLOBAL__N_135GammaBetaBackwardCUDAKernelTemplateIN3c108BFloat16EfLj64ELj1ELj32ELb1ELb1ELb1EEEvllPKT_S7_PKT0_SA_PS5_SB_.has_recursion, 0
	.set _ZN2at6native12_GLOBAL__N_135GammaBetaBackwardCUDAKernelTemplateIN3c108BFloat16EfLj64ELj1ELj32ELb1ELb1ELb1EEEvllPKT_S7_PKT0_SA_PS5_SB_.has_indirect_call, 0
	.section	.AMDGPU.csdata,"",@progbits
; Kernel info:
; codeLenInByte = 2980
; TotalNumSgprs: 36
; NumVgprs: 48
; ScratchSize: 0
; MemoryBound: 0
; FloatMode: 240
; IeeeMode: 1
; LDSByteSize: 0 bytes/workgroup (compile time only)
; SGPRBlocks: 4
; VGPRBlocks: 11
; NumSGPRsForWavesPerEU: 36
; NumVGPRsForWavesPerEU: 48
; Occupancy: 5
; WaveLimiterHint : 0
; COMPUTE_PGM_RSRC2:SCRATCH_EN: 0
; COMPUTE_PGM_RSRC2:USER_SGPR: 6
; COMPUTE_PGM_RSRC2:TRAP_HANDLER: 0
; COMPUTE_PGM_RSRC2:TGID_X_EN: 1
; COMPUTE_PGM_RSRC2:TGID_Y_EN: 1
; COMPUTE_PGM_RSRC2:TGID_Z_EN: 0
; COMPUTE_PGM_RSRC2:TIDIG_COMP_CNT: 1
	.section	.text._ZN2at6native12_GLOBAL__N_135GammaBetaBackwardCUDAKernelTemplateIN3c108BFloat16EfLj64ELj1ELj32ELb1ELb0ELb1EEEvllPKT_S7_PKT0_SA_PS5_SB_,"axG",@progbits,_ZN2at6native12_GLOBAL__N_135GammaBetaBackwardCUDAKernelTemplateIN3c108BFloat16EfLj64ELj1ELj32ELb1ELb0ELb1EEEvllPKT_S7_PKT0_SA_PS5_SB_,comdat
	.globl	_ZN2at6native12_GLOBAL__N_135GammaBetaBackwardCUDAKernelTemplateIN3c108BFloat16EfLj64ELj1ELj32ELb1ELb0ELb1EEEvllPKT_S7_PKT0_SA_PS5_SB_ ; -- Begin function _ZN2at6native12_GLOBAL__N_135GammaBetaBackwardCUDAKernelTemplateIN3c108BFloat16EfLj64ELj1ELj32ELb1ELb0ELb1EEEvllPKT_S7_PKT0_SA_PS5_SB_
	.p2align	8
	.type	_ZN2at6native12_GLOBAL__N_135GammaBetaBackwardCUDAKernelTemplateIN3c108BFloat16EfLj64ELj1ELj32ELb1ELb0ELb1EEEvllPKT_S7_PKT0_SA_PS5_SB_,@function
_ZN2at6native12_GLOBAL__N_135GammaBetaBackwardCUDAKernelTemplateIN3c108BFloat16EfLj64ELj1ELj32ELb1ELb0ELb1EEEvllPKT_S7_PKT0_SA_PS5_SB_: ; @_ZN2at6native12_GLOBAL__N_135GammaBetaBackwardCUDAKernelTemplateIN3c108BFloat16EfLj64ELj1ELj32ELb1ELb0ELb1EEEvllPKT_S7_PKT0_SA_PS5_SB_
; %bb.0:
	s_mov_b64 s[38:39], s[2:3]
	s_mov_b64 s[36:37], s[0:1]
	s_add_u32 s36, s36, s8
	s_mov_b32 s8, s7
	s_load_dwordx8 s[12:19], s[4:5], 0x0
	s_load_dwordx2 s[20:21], s[4:5], 0x28
	s_addc_u32 s37, s37, 0
	s_lshl_b32 s22, s8, 5
	v_mov_b32_e32 v207, v1
	s_lshl_b32 s7, s6, 6
	s_mov_b32 s23, 0
	v_mov_b32_e32 v1, s22
	s_or_b32 s0, s7, 63
	v_mov_b32_e32 v2, s23
	v_mov_b32_e32 v129, s0
	;; [unrolled: 1-line block ×3, first 2 shown]
	s_waitcnt lgkmcnt(0)
	v_cmp_gt_i64_e64 s[0:1], s[12:13], v[1:2]
	v_cmp_le_i64_e32 vcc, s[14:15], v[129:130]
	v_cndmask_b32_e64 v1, 0, 1, s[0:1]
	v_cmp_ne_u32_e64 s[0:1], 1, v1
	s_cbranch_vccz .LBB189_145
; %bb.1:
	s_and_b64 vcc, exec, s[0:1]
	s_cbranch_vccnz .LBB189_146
; %bb.2:
	v_lshlrev_b32_e32 v206, 5, v207
	v_add_co_u32_e32 v8, vcc, s22, v206
	v_addc_co_u32_e64 v9, s[2:3], 0, 0, vcc
	v_mul_lo_u32 v10, s15, v8
	v_mul_lo_u32 v11, s14, v9
	v_mad_u64_u32 v[6:7], s[2:3], s14, v8, 0
	s_load_dword s9, s[4:5], 0x44
	v_add_u32_e32 v2, s7, v0
	v_add3_u32 v7, v7, v11, v10
	v_lshlrev_b64 v[11:12], 1, v[6:7]
	v_mov_b32_e32 v3, 0
	s_add_u32 s24, s4, 64
	v_cmp_gt_i64_e64 s[2:3], s[14:15], v[2:3]
	v_lshlrev_b64 v[4:5], 1, v[2:3]
	v_mov_b32_e32 v10, s17
	v_add_co_u32_e32 v2, vcc, s16, v11
	s_addc_u32 s25, s5, 0
	s_waitcnt lgkmcnt(0)
	s_lshl_b32 s9, s9, 5
	v_addc_co_u32_e32 v10, vcc, v10, v12, vcc
	s_mul_i32 s10, s15, s9
	s_mul_hi_u32 s11, s14, s9
	v_add_co_u32_e32 v13, vcc, 31, v8
	s_add_i32 s11, s11, s10
	s_mul_i32 s10, s14, s9
	v_addc_co_u32_e32 v14, vcc, 0, v9, vcc
	s_lshl_b64 s[26:27], s[10:11], 1
	v_mul_lo_u32 v16, s15, v13
	v_mul_lo_u32 v17, s14, v14
	v_mad_u64_u32 v[13:14], s[10:11], s14, v13, 0
	v_mov_b32_e32 v15, s19
	v_add_co_u32_e32 v11, vcc, s18, v11
	v_add3_u32 v14, v14, v17, v16
	v_addc_co_u32_e32 v12, vcc, v15, v12, vcc
	v_lshlrev_b64 v[15:16], 1, v[13:14]
	v_mov_b32_e32 v14, s17
	v_add_co_u32_e32 v13, vcc, s16, v15
	v_addc_co_u32_e32 v14, vcc, v14, v16, vcc
	v_add_co_u32_e32 v17, vcc, 30, v8
	v_addc_co_u32_e32 v18, vcc, 0, v9, vcc
	v_mul_lo_u32 v20, s15, v17
	v_mul_lo_u32 v21, s14, v18
	v_mad_u64_u32 v[17:18], s[10:11], s14, v17, 0
	v_mov_b32_e32 v19, s19
	v_add_co_u32_e32 v15, vcc, s18, v15
	v_add3_u32 v18, v18, v21, v20
	v_addc_co_u32_e32 v16, vcc, v19, v16, vcc
	v_lshlrev_b64 v[19:20], 1, v[17:18]
	v_mov_b32_e32 v18, s17
	v_add_co_u32_e32 v17, vcc, s16, v19
	v_addc_co_u32_e32 v18, vcc, v18, v20, vcc
	v_add_co_u32_e32 v21, vcc, 29, v8
	v_addc_co_u32_e32 v22, vcc, 0, v9, vcc
	;; [unrolled: 13-line block ×29, first 2 shown]
	v_mul_lo_u32 v130, s15, v8
	v_mul_lo_u32 v131, s14, v9
	v_mad_u64_u32 v[8:9], s[10:11], s14, v8, 0
	v_mov_b32_e32 v129, s19
	v_add_co_u32_e32 v127, vcc, s18, v127
	v_add3_u32 v9, v9, v131, v130
	v_lshlrev_b64 v[8:9], 1, v[8:9]
	v_addc_co_u32_e32 v128, vcc, v129, v128, vcc
	v_mov_b32_e32 v130, s17
	v_add_co_u32_e32 v129, vcc, s16, v8
	v_addc_co_u32_e32 v131, vcc, v130, v9, vcc
	v_mov_b32_e32 v130, s19
	v_add_co_u32_e32 v132, vcc, s18, v8
	v_addc_co_u32_e32 v133, vcc, v130, v9, vcc
	v_mov_b32_e32 v8, s15
	v_add_co_u32_e32 v6, vcc, s14, v6
	v_addc_co_u32_e32 v7, vcc, v7, v8, vcc
	v_lshlrev_b64 v[6:7], 1, v[6:7]
	v_mov_b32_e32 v8, s17
	v_add_co_u32_e32 v134, vcc, s16, v6
	v_addc_co_u32_e32 v135, vcc, v8, v7, vcc
	v_add_co_u32_e32 v136, vcc, s18, v6
	v_mbcnt_lo_u32_b32 v6, -1, 0
	v_mbcnt_hi_u32_b32 v6, -1, v6
	v_mov_b32_e32 v8, s19
	v_lshlrev_b32_e32 v6, 2, v6
	v_mov_b32_e32 v1, v3
	s_mov_b64 s[28:29], 31
	v_addc_co_u32_e32 v137, vcc, v8, v7, vcc
	v_and_b32_e32 v138, 0x100, v6
	s_mov_b64 s[30:31], s[22:23]
	v_mov_b32_e32 v139, 0
.LBB189_3:                              ; =>This Inner Loop Header: Depth=1
	s_add_u32 s10, s22, s28
	v_mov_b32_e32 v6, s12
	s_addc_u32 s11, 0, s29
	v_mov_b32_e32 v7, s13
	v_cmp_ge_i64_e32 vcc, s[10:11], v[6:7]
	v_add_co_u32_e64 v6, s[10:11], s22, v206
	v_addc_co_u32_e64 v7, s[10:11], 0, v1, s[10:11]
	s_mov_b64 s[10:11], -1
                                        ; implicit-def: $vgpr130
                                        ; implicit-def: $vgpr183
                                        ; implicit-def: $vgpr8
	s_cbranch_vccz .LBB189_73
; %bb.4:                                ;   in Loop: Header=BB189_3 Depth=1
	s_load_dword s10, s[24:25], 0xc
	v_mov_b32_e32 v130, 0
	v_mov_b32_e32 v140, 0
	s_waitcnt lgkmcnt(0)
	s_and_b32 s10, s10, 0xffff
	v_mad_u32_u24 v8, v207, s10, v0
	v_and_b32_e32 v8, 63, v8
	v_cmp_gt_u32_e32 vcc, 32, v8
	s_and_saveexec_b64 s[10:11], vcc
	s_cbranch_execz .LBB189_8
; %bb.5:                                ;   in Loop: Header=BB189_3 Depth=1
	v_add_co_u32_e32 v8, vcc, v6, v8
	v_addc_co_u32_e32 v9, vcc, 0, v7, vcc
	v_cmp_gt_i64_e32 vcc, s[12:13], v[8:9]
	v_mov_b32_e32 v140, 0
	s_and_saveexec_b64 s[34:35], vcc
	s_cbranch_execz .LBB189_7
; %bb.6:                                ;   in Loop: Header=BB189_3 Depth=1
	v_lshlrev_b64 v[8:9], 2, v[8:9]
	v_mov_b32_e32 v140, s21
	v_add_co_u32_e32 v8, vcc, s20, v8
	v_addc_co_u32_e32 v9, vcc, v140, v9, vcc
	global_load_dword v140, v[8:9], off
.LBB189_7:                              ;   in Loop: Header=BB189_3 Depth=1
	s_or_b64 exec, exec, s[34:35]
.LBB189_8:                              ;   in Loop: Header=BB189_3 Depth=1
	s_or_b64 exec, exec, s[10:11]
	v_cmp_gt_i64_e32 vcc, s[12:13], v[6:7]
	v_mov_b32_e32 v8, 0
	s_and_b64 s[34:35], s[2:3], vcc
	s_and_saveexec_b64 s[10:11], s[34:35]
	s_cbranch_execz .LBB189_10
; %bb.9:                                ;   in Loop: Header=BB189_3 Depth=1
	v_add_co_u32_e32 v8, vcc, v2, v4
	v_addc_co_u32_e32 v9, vcc, v10, v5, vcc
	v_add_co_u32_e32 v141, vcc, v11, v4
	v_addc_co_u32_e32 v142, vcc, v12, v5, vcc
	global_load_ushort v8, v[8:9], off
	s_nop 0
	global_load_ushort v9, v[141:142], off
	s_waitcnt vmcnt(1)
	v_lshlrev_b32_e32 v130, 16, v8
	s_waitcnt vmcnt(0)
	v_lshlrev_b32_e32 v8, 16, v9
.LBB189_10:                             ;   in Loop: Header=BB189_3 Depth=1
	s_or_b64 exec, exec, s[10:11]
	v_add_co_u32_e32 v141, vcc, 1, v6
	v_addc_co_u32_e32 v142, vcc, 0, v7, vcc
	v_cmp_gt_i64_e32 vcc, s[12:13], v[141:142]
	v_mov_b32_e32 v9, 0
	s_and_b64 s[34:35], s[2:3], vcc
	v_mov_b32_e32 v141, 0
	v_mov_b32_e32 v142, 0
	s_and_saveexec_b64 s[10:11], s[34:35]
	s_cbranch_execz .LBB189_12
; %bb.11:                               ;   in Loop: Header=BB189_3 Depth=1
	v_add_co_u32_e32 v141, vcc, v134, v4
	v_addc_co_u32_e32 v142, vcc, v135, v5, vcc
	v_add_co_u32_e32 v143, vcc, v136, v4
	v_addc_co_u32_e32 v144, vcc, v137, v5, vcc
	global_load_ushort v141, v[141:142], off
	s_nop 0
	global_load_ushort v142, v[143:144], off
	s_waitcnt vmcnt(1)
	v_lshlrev_b32_e32 v141, 16, v141
	s_waitcnt vmcnt(0)
	v_lshlrev_b32_e32 v142, 16, v142
.LBB189_12:                             ;   in Loop: Header=BB189_3 Depth=1
	s_or_b64 exec, exec, s[10:11]
	v_add_co_u32_e32 v143, vcc, 2, v6
	v_addc_co_u32_e32 v144, vcc, 0, v7, vcc
	v_cmp_gt_i64_e32 vcc, s[12:13], v[143:144]
	v_mov_b32_e32 v143, 0
	s_and_b64 s[34:35], s[2:3], vcc
	s_and_saveexec_b64 s[10:11], s[34:35]
	s_cbranch_execz .LBB189_14
; %bb.13:                               ;   in Loop: Header=BB189_3 Depth=1
	v_add_co_u32_e32 v143, vcc, v129, v4
	v_addc_co_u32_e32 v144, vcc, v131, v5, vcc
	v_add_co_u32_e32 v145, vcc, v132, v4
	v_addc_co_u32_e32 v146, vcc, v133, v5, vcc
	global_load_ushort v9, v[143:144], off
	s_nop 0
	global_load_ushort v143, v[145:146], off
	s_waitcnt vmcnt(1)
	v_lshlrev_b32_e32 v9, 16, v9
	s_waitcnt vmcnt(0)
	v_lshlrev_b32_e32 v143, 16, v143
.LBB189_14:                             ;   in Loop: Header=BB189_3 Depth=1
	s_or_b64 exec, exec, s[10:11]
	v_add_co_u32_e32 v144, vcc, 3, v6
	v_addc_co_u32_e32 v145, vcc, 0, v7, vcc
	v_cmp_gt_i64_e32 vcc, s[12:13], v[144:145]
	v_mov_b32_e32 v144, 0
	s_and_b64 s[34:35], s[2:3], vcc
	v_mov_b32_e32 v145, 0
	v_mov_b32_e32 v146, 0
	s_and_saveexec_b64 s[10:11], s[34:35]
	s_cbranch_execz .LBB189_16
; %bb.15:                               ;   in Loop: Header=BB189_3 Depth=1
	v_add_co_u32_e32 v145, vcc, v125, v4
	v_addc_co_u32_e32 v146, vcc, v126, v5, vcc
	v_add_co_u32_e32 v147, vcc, v127, v4
	v_addc_co_u32_e32 v148, vcc, v128, v5, vcc
	global_load_ushort v145, v[145:146], off
	s_nop 0
	global_load_ushort v146, v[147:148], off
	s_waitcnt vmcnt(1)
	v_lshlrev_b32_e32 v145, 16, v145
	s_waitcnt vmcnt(0)
	v_lshlrev_b32_e32 v146, 16, v146
.LBB189_16:                             ;   in Loop: Header=BB189_3 Depth=1
	s_or_b64 exec, exec, s[10:11]
	v_add_co_u32_e32 v147, vcc, 4, v6
	v_addc_co_u32_e32 v148, vcc, 0, v7, vcc
	v_cmp_gt_i64_e32 vcc, s[12:13], v[147:148]
	v_mov_b32_e32 v147, 0
	s_and_b64 s[34:35], s[2:3], vcc
	s_and_saveexec_b64 s[10:11], s[34:35]
	s_cbranch_execz .LBB189_18
; %bb.17:                               ;   in Loop: Header=BB189_3 Depth=1
	v_add_co_u32_e32 v147, vcc, v121, v4
	v_addc_co_u32_e32 v148, vcc, v122, v5, vcc
	v_add_co_u32_e32 v149, vcc, v123, v4
	v_addc_co_u32_e32 v150, vcc, v124, v5, vcc
	global_load_ushort v144, v[147:148], off
	s_nop 0
	global_load_ushort v147, v[149:150], off
	s_waitcnt vmcnt(1)
	v_lshlrev_b32_e32 v144, 16, v144
	s_waitcnt vmcnt(0)
	v_lshlrev_b32_e32 v147, 16, v147
.LBB189_18:                             ;   in Loop: Header=BB189_3 Depth=1
	;; [unrolled: 44-line block ×15, first 2 shown]
	s_or_b64 exec, exec, s[10:11]
	v_add_co_u32_e32 v201, vcc, 31, v6
	v_addc_co_u32_e32 v202, vcc, 0, v7, vcc
	v_cmp_gt_i64_e32 vcc, s[12:13], v[201:202]
	v_mov_b32_e32 v183, 0
	s_and_b64 s[34:35], s[2:3], vcc
	s_and_saveexec_b64 s[10:11], s[34:35]
	s_cbranch_execz .LBB189_72
; %bb.71:                               ;   in Loop: Header=BB189_3 Depth=1
	v_add_co_u32_e32 v201, vcc, v13, v4
	v_addc_co_u32_e32 v202, vcc, v14, v5, vcc
	v_add_co_u32_e32 v203, vcc, v15, v4
	v_addc_co_u32_e32 v204, vcc, v16, v5, vcc
	global_load_ushort v183, v[203:204], off
	s_nop 0
	global_load_ushort v201, v[201:202], off
	s_waitcnt vmcnt(1)
	v_lshlrev_b32_e32 v183, 16, v183
	s_waitcnt vmcnt(0)
	v_lshlrev_b32_e32 v201, 16, v201
	v_mul_f32_e32 v183, v201, v183
.LBB189_72:                             ;   in Loop: Header=BB189_3 Depth=1
	s_or_b64 exec, exec, s[10:11]
	s_waitcnt vmcnt(0)
	ds_bpermute_b32 v201, v138, v140
	ds_bpermute_b32 v202, v138, v140 offset:4
	v_mul_f32_e32 v141, v141, v142
	ds_bpermute_b32 v142, v138, v140 offset:8
	v_mul_f32_e32 v8, v130, v8
	s_waitcnt lgkmcnt(2)
	v_fma_f32 v130, v8, v201, v139
	s_waitcnt lgkmcnt(1)
	v_fmac_f32_e32 v130, v141, v202
	ds_bpermute_b32 v8, v138, v140 offset:12
	v_mul_f32_e32 v9, v9, v143
	s_waitcnt lgkmcnt(1)
	v_fmac_f32_e32 v130, v9, v142
	ds_bpermute_b32 v9, v138, v140 offset:16
	v_mul_f32_e32 v141, v145, v146
	;; [unrolled: 4-line block ×26, first 2 shown]
	s_waitcnt lgkmcnt(1)
	v_fmac_f32_e32 v130, v141, v8
	v_mul_f32_e32 v8, v193, v196
	ds_bpermute_b32 v141, v138, v140 offset:116
	s_waitcnt lgkmcnt(1)
	v_fmac_f32_e32 v130, v8, v9
	ds_bpermute_b32 v9, v138, v140 offset:120
	ds_bpermute_b32 v8, v138, v140 offset:124
	v_mul_f32_e32 v142, v198, v199
	s_waitcnt lgkmcnt(2)
	v_fmac_f32_e32 v130, v142, v141
	v_mul_f32_e32 v140, v197, v200
	s_waitcnt lgkmcnt(1)
	v_fmac_f32_e32 v130, v140, v9
	s_mov_b64 s[10:11], 0
.LBB189_73:                             ;   in Loop: Header=BB189_3 Depth=1
	s_and_b64 vcc, exec, s[10:11]
	s_cbranch_vccz .LBB189_143
; %bb.74:                               ;   in Loop: Header=BB189_3 Depth=1
	s_load_dword s10, s[24:25], 0x0
	v_mov_b32_e32 v9, 0
	s_waitcnt lgkmcnt(0)
	s_cmp_lt_u32 s6, s10
	s_cselect_b32 s10, 12, 18
	s_add_u32 s10, s24, s10
	s_addc_u32 s11, s25, 0
	global_load_ushort v8, v3, s[10:11]
	s_waitcnt vmcnt(0)
	v_mad_u32_u24 v8, v207, v8, v0
	v_and_b32_e32 v130, 63, v8
	v_cmp_gt_u32_e32 vcc, 32, v130
	v_mov_b32_e32 v8, 0
	s_and_saveexec_b64 s[10:11], vcc
	s_cbranch_execz .LBB189_78
; %bb.75:                               ;   in Loop: Header=BB189_3 Depth=1
	v_add_co_u32_e32 v6, vcc, v6, v130
	v_addc_co_u32_e32 v7, vcc, 0, v7, vcc
	v_cmp_gt_i64_e32 vcc, s[12:13], v[6:7]
	v_mov_b32_e32 v8, 0
	s_and_saveexec_b64 s[34:35], vcc
	s_cbranch_execz .LBB189_77
; %bb.76:                               ;   in Loop: Header=BB189_3 Depth=1
	v_lshlrev_b64 v[6:7], 2, v[6:7]
	v_mov_b32_e32 v8, s21
	v_add_co_u32_e32 v6, vcc, s20, v6
	v_addc_co_u32_e32 v7, vcc, v8, v7, vcc
	global_load_dword v8, v[6:7], off
.LBB189_77:                             ;   in Loop: Header=BB189_3 Depth=1
	s_or_b64 exec, exec, s[34:35]
.LBB189_78:                             ;   in Loop: Header=BB189_3 Depth=1
	s_or_b64 exec, exec, s[10:11]
	v_mov_b32_e32 v6, 0
	v_mov_b32_e32 v7, 0
	s_and_saveexec_b64 s[10:11], s[2:3]
	s_cbranch_execz .LBB189_80
; %bb.79:                               ;   in Loop: Header=BB189_3 Depth=1
	v_add_co_u32_e32 v6, vcc, v2, v4
	v_addc_co_u32_e32 v7, vcc, v10, v5, vcc
	v_add_co_u32_e32 v140, vcc, v11, v4
	v_addc_co_u32_e32 v141, vcc, v12, v5, vcc
	global_load_ushort v6, v[6:7], off
	s_nop 0
	global_load_ushort v7, v[140:141], off
	s_waitcnt vmcnt(1)
	v_lshlrev_b32_e32 v6, 16, v6
	s_waitcnt vmcnt(0)
	v_lshlrev_b32_e32 v7, 16, v7
.LBB189_80:                             ;   in Loop: Header=BB189_3 Depth=1
	s_or_b64 exec, exec, s[10:11]
	v_mov_b32_e32 v130, 0
	s_and_saveexec_b64 s[10:11], s[2:3]
	s_cbranch_execz .LBB189_82
; %bb.81:                               ;   in Loop: Header=BB189_3 Depth=1
	v_add_co_u32_e32 v140, vcc, v134, v4
	v_addc_co_u32_e32 v141, vcc, v135, v5, vcc
	v_add_co_u32_e32 v142, vcc, v136, v4
	v_addc_co_u32_e32 v143, vcc, v137, v5, vcc
	global_load_ushort v9, v[140:141], off
	global_load_ushort v130, v[142:143], off
	s_waitcnt vmcnt(1)
	v_lshlrev_b32_e32 v9, 16, v9
	s_waitcnt vmcnt(0)
	v_lshlrev_b32_e32 v130, 16, v130
.LBB189_82:                             ;   in Loop: Header=BB189_3 Depth=1
	s_or_b64 exec, exec, s[10:11]
	v_mov_b32_e32 v140, 0
	v_mov_b32_e32 v141, 0
	v_mov_b32_e32 v142, 0
	s_and_saveexec_b64 s[10:11], s[2:3]
	s_cbranch_execz .LBB189_84
; %bb.83:                               ;   in Loop: Header=BB189_3 Depth=1
	v_add_co_u32_e32 v141, vcc, v129, v4
	v_addc_co_u32_e32 v142, vcc, v131, v5, vcc
	v_add_co_u32_e32 v143, vcc, v132, v4
	v_addc_co_u32_e32 v144, vcc, v133, v5, vcc
	global_load_ushort v141, v[141:142], off
	s_nop 0
	global_load_ushort v142, v[143:144], off
	s_waitcnt vmcnt(1)
	v_lshlrev_b32_e32 v141, 16, v141
	s_waitcnt vmcnt(0)
	v_lshlrev_b32_e32 v142, 16, v142
.LBB189_84:                             ;   in Loop: Header=BB189_3 Depth=1
	s_or_b64 exec, exec, s[10:11]
	v_mov_b32_e32 v143, 0
	s_and_saveexec_b64 s[10:11], s[2:3]
	s_cbranch_execz .LBB189_86
; %bb.85:                               ;   in Loop: Header=BB189_3 Depth=1
	v_add_co_u32_e32 v143, vcc, v125, v4
	v_addc_co_u32_e32 v144, vcc, v126, v5, vcc
	v_add_co_u32_e32 v145, vcc, v127, v4
	v_addc_co_u32_e32 v146, vcc, v128, v5, vcc
	global_load_ushort v140, v[143:144], off
	s_nop 0
	global_load_ushort v143, v[145:146], off
	s_waitcnt vmcnt(1)
	v_lshlrev_b32_e32 v140, 16, v140
	s_waitcnt vmcnt(0)
	v_lshlrev_b32_e32 v143, 16, v143
.LBB189_86:                             ;   in Loop: Header=BB189_3 Depth=1
	s_or_b64 exec, exec, s[10:11]
	v_mov_b32_e32 v144, 0
	v_mov_b32_e32 v145, 0
	v_mov_b32_e32 v146, 0
	s_and_saveexec_b64 s[10:11], s[2:3]
	s_cbranch_execz .LBB189_88
; %bb.87:                               ;   in Loop: Header=BB189_3 Depth=1
	v_add_co_u32_e32 v145, vcc, v121, v4
	v_addc_co_u32_e32 v146, vcc, v122, v5, vcc
	v_add_co_u32_e32 v147, vcc, v123, v4
	v_addc_co_u32_e32 v148, vcc, v124, v5, vcc
	global_load_ushort v145, v[145:146], off
	s_nop 0
	global_load_ushort v146, v[147:148], off
	s_waitcnt vmcnt(1)
	v_lshlrev_b32_e32 v145, 16, v145
	s_waitcnt vmcnt(0)
	v_lshlrev_b32_e32 v146, 16, v146
.LBB189_88:                             ;   in Loop: Header=BB189_3 Depth=1
	s_or_b64 exec, exec, s[10:11]
	v_mov_b32_e32 v147, 0
	s_and_saveexec_b64 s[10:11], s[2:3]
	s_cbranch_execz .LBB189_90
; %bb.89:                               ;   in Loop: Header=BB189_3 Depth=1
	v_add_co_u32_e32 v147, vcc, v117, v4
	v_addc_co_u32_e32 v148, vcc, v118, v5, vcc
	v_add_co_u32_e32 v149, vcc, v119, v4
	v_addc_co_u32_e32 v150, vcc, v120, v5, vcc
	global_load_ushort v144, v[147:148], off
	s_nop 0
	global_load_ushort v147, v[149:150], off
	s_waitcnt vmcnt(1)
	v_lshlrev_b32_e32 v144, 16, v144
	s_waitcnt vmcnt(0)
	v_lshlrev_b32_e32 v147, 16, v147
.LBB189_90:                             ;   in Loop: Header=BB189_3 Depth=1
	;; [unrolled: 36-line block ×4, first 2 shown]
	s_or_b64 exec, exec, s[10:11]
	v_mov_b32_e32 v156, 0
	v_mov_b32_e32 v157, 0
	;; [unrolled: 1-line block ×3, first 2 shown]
	s_and_saveexec_b64 s[10:11], s[2:3]
	s_cbranch_execz .LBB189_100
; %bb.99:                               ;   in Loop: Header=BB189_3 Depth=1
	v_add_co_u32_e32 v157, vcc, v97, v4
	v_addc_co_u32_e32 v158, vcc, v98, v5, vcc
	v_add_co_u32_e32 v159, vcc, v99, v4
	v_addc_co_u32_e32 v160, vcc, v100, v5, vcc
	global_load_ushort v157, v[157:158], off
	s_nop 0
	global_load_ushort v158, v[159:160], off
	s_waitcnt vmcnt(1)
	v_lshlrev_b32_e32 v157, 16, v157
	s_waitcnt vmcnt(0)
	v_lshlrev_b32_e32 v158, 16, v158
.LBB189_100:                            ;   in Loop: Header=BB189_3 Depth=1
	s_or_b64 exec, exec, s[10:11]
	v_mov_b32_e32 v159, 0
	s_and_saveexec_b64 s[10:11], s[2:3]
	s_cbranch_execz .LBB189_102
; %bb.101:                              ;   in Loop: Header=BB189_3 Depth=1
	v_add_co_u32_e32 v159, vcc, v93, v4
	v_addc_co_u32_e32 v160, vcc, v94, v5, vcc
	v_add_co_u32_e32 v161, vcc, v95, v4
	v_addc_co_u32_e32 v162, vcc, v96, v5, vcc
	global_load_ushort v156, v[159:160], off
	s_nop 0
	global_load_ushort v159, v[161:162], off
	s_waitcnt vmcnt(1)
	v_lshlrev_b32_e32 v156, 16, v156
	s_waitcnt vmcnt(0)
	v_lshlrev_b32_e32 v159, 16, v159
.LBB189_102:                            ;   in Loop: Header=BB189_3 Depth=1
	s_or_b64 exec, exec, s[10:11]
	v_mov_b32_e32 v160, 0
	v_mov_b32_e32 v161, 0
	v_mov_b32_e32 v162, 0
	s_and_saveexec_b64 s[10:11], s[2:3]
	s_cbranch_execz .LBB189_104
; %bb.103:                              ;   in Loop: Header=BB189_3 Depth=1
	v_add_co_u32_e32 v161, vcc, v89, v4
	v_addc_co_u32_e32 v162, vcc, v90, v5, vcc
	v_add_co_u32_e32 v163, vcc, v91, v4
	v_addc_co_u32_e32 v164, vcc, v92, v5, vcc
	global_load_ushort v161, v[161:162], off
	s_nop 0
	global_load_ushort v162, v[163:164], off
	s_waitcnt vmcnt(1)
	v_lshlrev_b32_e32 v161, 16, v161
	s_waitcnt vmcnt(0)
	v_lshlrev_b32_e32 v162, 16, v162
.LBB189_104:                            ;   in Loop: Header=BB189_3 Depth=1
	s_or_b64 exec, exec, s[10:11]
	v_mov_b32_e32 v163, 0
	s_and_saveexec_b64 s[10:11], s[2:3]
	s_cbranch_execz .LBB189_106
; %bb.105:                              ;   in Loop: Header=BB189_3 Depth=1
	v_add_co_u32_e32 v163, vcc, v85, v4
	v_addc_co_u32_e32 v164, vcc, v86, v5, vcc
	v_add_co_u32_e32 v165, vcc, v87, v4
	v_addc_co_u32_e32 v166, vcc, v88, v5, vcc
	global_load_ushort v160, v[163:164], off
	s_nop 0
	global_load_ushort v163, v[165:166], off
	s_waitcnt vmcnt(1)
	v_lshlrev_b32_e32 v160, 16, v160
	s_waitcnt vmcnt(0)
	v_lshlrev_b32_e32 v163, 16, v163
.LBB189_106:                            ;   in Loop: Header=BB189_3 Depth=1
	s_or_b64 exec, exec, s[10:11]
	v_mov_b32_e32 v164, 0
	v_mov_b32_e32 v165, 0
	v_mov_b32_e32 v166, 0
	s_and_saveexec_b64 s[10:11], s[2:3]
	s_cbranch_execz .LBB189_108
; %bb.107:                              ;   in Loop: Header=BB189_3 Depth=1
	v_add_co_u32_e32 v165, vcc, v81, v4
	v_addc_co_u32_e32 v166, vcc, v82, v5, vcc
	v_add_co_u32_e32 v167, vcc, v83, v4
	v_addc_co_u32_e32 v168, vcc, v84, v5, vcc
	global_load_ushort v165, v[165:166], off
	s_nop 0
	global_load_ushort v166, v[167:168], off
	s_waitcnt vmcnt(1)
	v_lshlrev_b32_e32 v165, 16, v165
	s_waitcnt vmcnt(0)
	v_lshlrev_b32_e32 v166, 16, v166
.LBB189_108:                            ;   in Loop: Header=BB189_3 Depth=1
	;; [unrolled: 36-line block ×10, first 2 shown]
	s_or_b64 exec, exec, s[10:11]
	s_and_saveexec_b64 s[10:11], s[2:3]
	s_cbranch_execz .LBB189_142
; %bb.141:                              ;   in Loop: Header=BB189_3 Depth=1
	v_add_co_u32_e32 v199, vcc, v13, v4
	v_addc_co_u32_e32 v200, vcc, v14, v5, vcc
	v_add_co_u32_e32 v201, vcc, v15, v4
	v_addc_co_u32_e32 v202, vcc, v16, v5, vcc
	global_load_ushort v183, v[201:202], off
	s_nop 0
	global_load_ushort v199, v[199:200], off
	s_waitcnt vmcnt(1)
	v_lshlrev_b32_e32 v183, 16, v183
	s_waitcnt vmcnt(0)
	v_lshlrev_b32_e32 v199, 16, v199
	v_mul_f32_e32 v183, v199, v183
.LBB189_142:                            ;   in Loop: Header=BB189_3 Depth=1
	s_or_b64 exec, exec, s[10:11]
	s_waitcnt vmcnt(0)
	ds_bpermute_b32 v199, v138, v8
	ds_bpermute_b32 v200, v138, v8 offset:4
	v_mul_f32_e32 v6, v6, v7
	v_mul_f32_e32 v7, v9, v130
	ds_bpermute_b32 v9, v138, v8 offset:8
	s_waitcnt lgkmcnt(2)
	v_fmac_f32_e32 v139, v6, v199
	s_waitcnt lgkmcnt(1)
	v_fmac_f32_e32 v139, v7, v200
	ds_bpermute_b32 v6, v138, v8 offset:12
	v_mul_f32_e32 v7, v141, v142
	s_waitcnt lgkmcnt(1)
	v_fmac_f32_e32 v139, v7, v9
	ds_bpermute_b32 v7, v138, v8 offset:16
	v_mul_f32_e32 v9, v140, v143
	;; [unrolled: 4-line block ×26, first 2 shown]
	s_waitcnt lgkmcnt(1)
	v_fmac_f32_e32 v139, v9, v6
	v_mul_f32_e32 v6, v194, v195
	ds_bpermute_b32 v9, v138, v8 offset:116
	s_waitcnt lgkmcnt(1)
	v_fmac_f32_e32 v139, v6, v7
	ds_bpermute_b32 v6, v138, v8 offset:120
	ds_bpermute_b32 v8, v138, v8 offset:124
	v_mul_f32_e32 v7, v193, v196
	s_waitcnt lgkmcnt(2)
	v_fmac_f32_e32 v139, v7, v9
	v_mul_f32_e32 v7, v197, v198
	s_waitcnt lgkmcnt(1)
	v_fmac_f32_e32 v139, v7, v6
	v_mov_b32_e32 v130, v139
.LBB189_143:                            ;   in Loop: Header=BB189_3 Depth=1
	v_mov_b32_e32 v6, s27
	v_add_co_u32_e32 v2, vcc, s26, v2
	v_addc_co_u32_e32 v10, vcc, v10, v6, vcc
	v_add_co_u32_e32 v11, vcc, s26, v11
	v_addc_co_u32_e32 v12, vcc, v12, v6, vcc
	;; [unrolled: 2-line block ×64, first 2 shown]
	s_add_u32 s30, s30, s9
	v_add_co_u32_e32 v206, vcc, s9, v206
	v_mov_b32_e32 v6, s12
	s_addc_u32 s31, s31, 0
	v_addc_co_u32_e32 v1, vcc, 0, v1, vcc
	v_mov_b32_e32 v7, s13
	v_cmp_lt_i64_e32 vcc, s[30:31], v[6:7]
	s_add_u32 s28, s28, s9
	s_waitcnt lgkmcnt(0)
	v_fmac_f32_e32 v130, v183, v8
	s_addc_u32 s29, 0, s29
	s_cbranch_vccz .LBB189_146
; %bb.144:                              ;   in Loop: Header=BB189_3 Depth=1
	v_mov_b32_e32 v139, v130
	s_branch .LBB189_3
.LBB189_145:
                                        ; implicit-def: $vgpr130
	s_load_dwordx2 s[2:3], s[4:5], 0x30
	s_branch .LBB189_147
.LBB189_146:
	s_load_dwordx2 s[2:3], s[4:5], 0x30
	s_cbranch_execnz .LBB189_227
.LBB189_147:
	s_and_b64 vcc, exec, s[0:1]
	v_mov_b32_e32 v130, 0
	s_cbranch_vccnz .LBB189_227
; %bb.148:
	s_load_dword s0, s[4:5], 0x44
	v_mov_b32_e32 v3, 0
	v_lshlrev_b32_e32 v135, 5, v207
	v_mov_b32_e32 v1, v3
	v_add_u32_e32 v2, s7, v0
	s_add_u32 s10, s4, 64
	buffer_store_dword v0, off, s[36:39], 0 offset:292 ; 4-byte Folded Spill
	s_nop 0
	buffer_store_dword v1, off, s[36:39], 0 offset:296 ; 4-byte Folded Spill
	v_add_co_u32_e32 v166, vcc, s22, v135
	s_addc_u32 s11, s5, 0
	s_waitcnt lgkmcnt(0)
	s_lshl_b32 s7, s0, 5
	v_addc_co_u32_e64 v1, s[0:1], 0, 0, vcc
	v_mov_b32_e32 v136, v3
	v_lshlrev_b64 v[4:5], 1, v[2:3]
	v_mul_lo_u32 v2, s15, v166
	v_mul_lo_u32 v3, s14, v1
	v_mad_u64_u32 v[130:131], s[0:1], s14, v166, 0
	v_mov_b32_e32 v6, s17
	s_mul_i32 s0, s15, s7
	v_add3_u32 v131, v131, v3, v2
	v_lshlrev_b64 v[2:3], 1, v[130:131]
	s_mul_hi_u32 s1, s14, s7
	v_add_co_u32_e32 v206, vcc, s16, v2
	v_addc_co_u32_e32 v209, vcc, v6, v3, vcc
	s_add_i32 s1, s1, s0
	s_mul_i32 s0, s14, s7
	v_add_co_u32_e32 v210, vcc, s18, v2
	v_mov_b32_e32 v2, s19
	s_lshl_b64 s[24:25], s[0:1], 1
	v_addc_co_u32_e32 v211, vcc, v2, v3, vcc
	v_lshlrev_b32_e32 v2, 6, v207
	s_lshl_b64 s[0:1], s[22:23], 1
	v_add_co_u32_e32 v66, vcc, s0, v2
	v_mov_b32_e32 v2, s1
	v_addc_co_u32_e32 v67, vcc, 0, v2, vcc
	v_add_co_u32_e32 v68, vcc, 2, v66
	v_addc_co_u32_e32 v8, vcc, 0, v67, vcc
	v_add_co_u32_e32 v72, vcc, 4, v66
	;; [unrolled: 2-line block ×30, first 2 shown]
	v_mov_b32_e32 v2, s16
	v_addc_co_u32_e32 v69, vcc, 0, v67, vcc
	v_mov_b32_e32 v3, s17
	v_add_co_u32_e32 v163, vcc, 62, v66
	v_mad_u64_u32 v[6:7], s[0:1], s14, v68, v[2:3]
	v_mul_lo_u32 v70, s14, v8
	v_mad_u64_u32 v[8:9], s[0:1], s14, v72, v[2:3]
	v_mul_lo_u32 v73, s14, v10
	;; [unrolled: 2-line block ×30, first 2 shown]
	v_addc_co_u32_e32 v69, vcc, 0, v67, vcc
	v_mad_u64_u32 v[66:67], s[0:1], s14, v163, v[2:3]
	v_mov_b32_e32 v2, s18
	v_mov_b32_e32 v3, s19
	v_mul_lo_u32 v71, s15, v68
	v_mul_lo_u32 v164, s14, v69
	v_mad_u64_u32 v[68:69], s[0:1], s14, v68, v[2:3]
	v_add3_u32 v7, v71, v7, v70
	v_mul_lo_u32 v74, s15, v72
	v_add3_u32 v69, v71, v69, v70
	v_mad_u64_u32 v[70:71], s[0:1], s14, v72, v[2:3]
	v_add3_u32 v9, v74, v9, v73
	v_mul_lo_u32 v77, s15, v75
	v_add3_u32 v71, v74, v71, v73
	v_mad_u64_u32 v[72:73], s[0:1], s14, v75, v[2:3]
	v_mul_lo_u32 v80, s15, v78
	v_mad_u64_u32 v[74:75], s[0:1], s14, v78, v[2:3]
	v_add3_u32 v11, v77, v11, v76
	v_mul_lo_u32 v83, s15, v81
	v_add3_u32 v73, v77, v73, v76
	v_mad_u64_u32 v[76:77], s[0:1], s14, v81, v[2:3]
	v_add3_u32 v13, v80, v13, v79
	v_mul_lo_u32 v86, s15, v84
	v_add3_u32 v75, v80, v75, v79
	v_mad_u64_u32 v[78:79], s[0:1], s14, v84, v[2:3]
	v_add3_u32 v15, v83, v15, v82
	v_mul_lo_u32 v89, s15, v87
	v_mul_lo_u32 v92, s15, v90
	v_add3_u32 v77, v83, v77, v82
	v_mad_u64_u32 v[80:81], s[0:1], s14, v87, v[2:3]
	v_mad_u64_u32 v[82:83], s[0:1], s14, v90, v[2:3]
	v_add3_u32 v17, v86, v17, v85
	v_mul_lo_u32 v95, s15, v93
	v_add3_u32 v79, v86, v79, v85
	v_mad_u64_u32 v[84:85], s[0:1], s14, v93, v[2:3]
	v_add3_u32 v19, v89, v19, v88
	v_add3_u32 v21, v92, v21, v91
	v_mul_lo_u32 v98, s15, v96
	v_mul_lo_u32 v101, s15, v99
	;; [unrolled: 1-line block ×4, first 2 shown]
	v_add3_u32 v81, v89, v81, v88
	v_add3_u32 v83, v92, v83, v91
	v_mad_u64_u32 v[86:87], s[0:1], s14, v96, v[2:3]
	v_mad_u64_u32 v[88:89], s[0:1], s14, v99, v[2:3]
	;; [unrolled: 1-line block ×4, first 2 shown]
	v_add3_u32 v23, v95, v23, v94
	v_mul_lo_u32 v110, s15, v108
	v_add3_u32 v85, v95, v85, v94
	v_mad_u64_u32 v[94:95], s[0:1], s14, v108, v[2:3]
	v_add3_u32 v25, v98, v25, v97
	v_add3_u32 v27, v101, v27, v100
	v_add3_u32 v29, v104, v29, v103
	v_add3_u32 v31, v107, v31, v106
	v_mul_lo_u32 v113, s15, v111
	v_mul_lo_u32 v116, s15, v114
	;; [unrolled: 1-line block ×6, first 2 shown]
	v_add3_u32 v87, v98, v87, v97
	v_add3_u32 v89, v101, v89, v100
	;; [unrolled: 1-line block ×4, first 2 shown]
	v_mad_u64_u32 v[96:97], s[0:1], s14, v111, v[2:3]
	v_mad_u64_u32 v[98:99], s[0:1], s14, v114, v[2:3]
	;; [unrolled: 1-line block ×6, first 2 shown]
	v_add3_u32 v33, v110, v33, v109
	v_mul_lo_u32 v133, s15, v129
	v_add3_u32 v95, v110, v95, v109
	v_mad_u64_u32 v[108:109], s[0:1], s14, v129, v[2:3]
	v_add3_u32 v35, v113, v35, v112
	v_add3_u32 v37, v116, v37, v115
	;; [unrolled: 1-line block ×12, first 2 shown]
	v_mad_u64_u32 v[110:111], s[0:1], s14, v134, v[2:3]
	v_mad_u64_u32 v[112:113], s[0:1], s14, v139, v[2:3]
	;; [unrolled: 1-line block ×10, first 2 shown]
	v_add_co_u32_e32 v2, vcc, 31, v166
	v_addc_co_u32_e32 v3, vcc, 0, v1, vcc
	v_add3_u32 v47, v133, v47, v132
	v_add3_u32 v109, v133, v109, v132
	v_mul_lo_u32 v132, s15, v2
	v_mul_lo_u32 v133, s14, v3
	v_mad_u64_u32 v[2:3], s[0:1], s14, v2, 0
	v_mul_lo_u32 v141, s15, v139
	v_mul_lo_u32 v138, s15, v134
	v_add3_u32 v3, v3, v133, v132
	v_lshlrev_b64 v[2:3], 1, v[2:3]
	v_mov_b32_e32 v132, s17
	v_add_co_u32_e32 v212, vcc, s16, v2
	v_addc_co_u32_e32 v213, vcc, v132, v3, vcc
	v_add_co_u32_e32 v214, vcc, s18, v2
	v_mov_b32_e32 v2, s19
	v_addc_co_u32_e32 v215, vcc, v2, v3, vcc
	v_add_co_u32_e32 v2, vcc, 30, v166
	v_addc_co_u32_e32 v3, vcc, 0, v1, vcc
	v_mul_lo_u32 v132, s15, v2
	v_mul_lo_u32 v133, s14, v3
	v_mad_u64_u32 v[2:3], s[0:1], s14, v2, 0
	v_add3_u32 v51, v141, v51, v140
	v_add3_u32 v113, v141, v113, v140
	v_add3_u32 v3, v3, v133, v132
	v_lshlrev_b64 v[2:3], 1, v[2:3]
	v_mov_b32_e32 v132, s17
	v_add_co_u32_e32 v216, vcc, s16, v2
	v_addc_co_u32_e32 v217, vcc, v132, v3, vcc
	v_add_co_u32_e32 v218, vcc, s18, v2
	v_mov_b32_e32 v2, s19
	v_addc_co_u32_e32 v219, vcc, v2, v3, vcc
	v_add_co_u32_e32 v2, vcc, 29, v166
	v_addc_co_u32_e32 v3, vcc, 0, v1, vcc
	v_mul_lo_u32 v132, s15, v2
	v_mul_lo_u32 v133, s14, v3
	v_mad_u64_u32 v[2:3], s[0:1], s14, v2, 0
	v_add3_u32 v49, v138, v49, v137
	v_add3_u32 v111, v138, v111, v137
	;; [unrolled: 1-line block ×3, first 2 shown]
	v_lshlrev_b64 v[2:3], 1, v[2:3]
	v_mov_b32_e32 v132, s17
	v_add_co_u32_e32 v220, vcc, s16, v2
	v_addc_co_u32_e32 v221, vcc, v132, v3, vcc
	v_add_co_u32_e32 v222, vcc, s18, v2
	v_mov_b32_e32 v2, s19
	v_addc_co_u32_e32 v223, vcc, v2, v3, vcc
	v_add_co_u32_e32 v2, vcc, 28, v166
	v_addc_co_u32_e32 v3, vcc, 0, v1, vcc
	v_mul_lo_u32 v132, s15, v2
	v_mul_lo_u32 v133, s14, v3
	v_mad_u64_u32 v[2:3], s[0:1], s14, v2, 0
	v_mul_lo_u32 v144, s15, v142
	v_mul_lo_u32 v147, s15, v145
	v_add3_u32 v3, v3, v133, v132
	v_lshlrev_b64 v[2:3], 1, v[2:3]
	v_mov_b32_e32 v132, s17
	v_add_co_u32_e32 v224, vcc, s16, v2
	v_addc_co_u32_e32 v225, vcc, v132, v3, vcc
	v_add_co_u32_e32 v226, vcc, s18, v2
	v_mov_b32_e32 v2, s19
	v_addc_co_u32_e32 v227, vcc, v2, v3, vcc
	v_add_co_u32_e32 v2, vcc, 27, v166
	v_addc_co_u32_e32 v3, vcc, 0, v1, vcc
	v_mul_lo_u32 v132, s15, v2
	v_mul_lo_u32 v133, s14, v3
	v_mad_u64_u32 v[2:3], s[0:1], s14, v2, 0
	v_add3_u32 v53, v144, v53, v143
	v_mul_lo_u32 v150, s15, v148
	v_add3_u32 v3, v3, v133, v132
	v_lshlrev_b64 v[2:3], 1, v[2:3]
	v_mov_b32_e32 v132, s17
	v_add_co_u32_e32 v228, vcc, s16, v2
	v_addc_co_u32_e32 v229, vcc, v132, v3, vcc
	v_add_co_u32_e32 v230, vcc, s18, v2
	v_mov_b32_e32 v2, s19
	v_addc_co_u32_e32 v231, vcc, v2, v3, vcc
	v_add_co_u32_e32 v2, vcc, 26, v166
	v_addc_co_u32_e32 v3, vcc, 0, v1, vcc
	v_mul_lo_u32 v132, s15, v2
	v_mul_lo_u32 v133, s14, v3
	v_mad_u64_u32 v[2:3], s[0:1], s14, v2, 0
	v_mul_lo_u32 v153, s15, v151
	v_mul_lo_u32 v156, s15, v154
	v_add3_u32 v3, v3, v133, v132
	v_lshlrev_b64 v[2:3], 1, v[2:3]
	v_mov_b32_e32 v132, s17
	v_add_co_u32_e32 v232, vcc, s16, v2
	v_addc_co_u32_e32 v233, vcc, v132, v3, vcc
	v_add_co_u32_e32 v234, vcc, s18, v2
	v_mov_b32_e32 v2, s19
	v_addc_co_u32_e32 v235, vcc, v2, v3, vcc
	v_add_co_u32_e32 v2, vcc, 25, v166
	v_addc_co_u32_e32 v3, vcc, 0, v1, vcc
	v_mul_lo_u32 v132, s15, v2
	v_mul_lo_u32 v133, s14, v3
	v_mad_u64_u32 v[2:3], s[0:1], s14, v2, 0
	v_mul_lo_u32 v159, s15, v157
	;; [unrolled: 15-line block ×3, first 2 shown]
	v_add3_u32 v115, v144, v115, v143
	v_add3_u32 v3, v3, v133, v132
	v_lshlrev_b64 v[2:3], 1, v[2:3]
	v_mov_b32_e32 v132, s17
	v_add_co_u32_e32 v240, vcc, s16, v2
	v_addc_co_u32_e32 v241, vcc, v132, v3, vcc
	v_add_co_u32_e32 v242, vcc, s18, v2
	v_mov_b32_e32 v2, s19
	v_addc_co_u32_e32 v243, vcc, v2, v3, vcc
	v_add_co_u32_e32 v2, vcc, 23, v166
	v_addc_co_u32_e32 v3, vcc, 0, v1, vcc
	v_mul_lo_u32 v132, s15, v2
	v_mul_lo_u32 v133, s14, v3
	v_mad_u64_u32 v[2:3], s[0:1], s14, v2, 0
	v_add3_u32 v55, v147, v55, v146
	v_add3_u32 v57, v150, v57, v149
	v_add3_u32 v3, v3, v133, v132
	v_lshlrev_b64 v[2:3], 1, v[2:3]
	v_mov_b32_e32 v132, s17
	v_add_co_u32_e32 v244, vcc, s16, v2
	v_addc_co_u32_e32 v245, vcc, v132, v3, vcc
	v_add_co_u32_e32 v246, vcc, s18, v2
	v_mov_b32_e32 v2, s19
	v_addc_co_u32_e32 v247, vcc, v2, v3, vcc
	v_add_co_u32_e32 v2, vcc, 22, v166
	v_addc_co_u32_e32 v3, vcc, 0, v1, vcc
	v_mul_lo_u32 v132, s15, v2
	v_mul_lo_u32 v133, s14, v3
	v_mad_u64_u32 v[2:3], s[0:1], s14, v2, 0
	v_add3_u32 v59, v153, v59, v152
	;; [unrolled: 15-line block ×5, first 2 shown]
	v_add3_u32 v121, v153, v121, v152
	v_add3_u32 v3, v3, v133, v132
	v_lshlrev_b64 v[2:3], 1, v[2:3]
	v_add3_u32 v123, v156, v123, v155
	v_add_co_u32_e32 v132, vcc, s16, v2
	buffer_store_dword v132, off, s[36:39], 0 ; 4-byte Folded Spill
	v_mov_b32_e32 v132, s17
	v_addc_co_u32_e32 v132, vcc, v132, v3, vcc
	v_add_co_u32_e32 v2, vcc, s18, v2
	buffer_store_dword v2, off, s[36:39], 0 offset:8 ; 4-byte Folded Spill
	v_mov_b32_e32 v2, s19
	v_addc_co_u32_e32 v2, vcc, v2, v3, vcc
	buffer_store_dword v2, off, s[36:39], 0 offset:12 ; 4-byte Folded Spill
	v_add_co_u32_e32 v2, vcc, 18, v166
	v_addc_co_u32_e32 v3, vcc, 0, v1, vcc
	buffer_store_dword v132, off, s[36:39], 0 offset:4 ; 4-byte Folded Spill
	v_mul_lo_u32 v132, s15, v2
	v_mul_lo_u32 v133, s14, v3
	v_mad_u64_u32 v[2:3], s[0:1], s14, v2, 0
	v_add3_u32 v125, v159, v125, v158
	v_add3_u32 v127, v162, v127, v161
	v_add3_u32 v3, v3, v133, v132
	v_lshlrev_b64 v[2:3], 1, v[2:3]
	v_add3_u32 v129, v165, v129, v164
	v_add_co_u32_e32 v132, vcc, s16, v2
	buffer_store_dword v132, off, s[36:39], 0 offset:16 ; 4-byte Folded Spill
	v_mov_b32_e32 v132, s17
	v_addc_co_u32_e32 v132, vcc, v132, v3, vcc
	v_add_co_u32_e32 v2, vcc, s18, v2
	buffer_store_dword v2, off, s[36:39], 0 offset:24 ; 4-byte Folded Spill
	v_mov_b32_e32 v2, s19
	v_addc_co_u32_e32 v2, vcc, v2, v3, vcc
	buffer_store_dword v2, off, s[36:39], 0 offset:28 ; 4-byte Folded Spill
	v_add_co_u32_e32 v2, vcc, 17, v166
	v_addc_co_u32_e32 v3, vcc, 0, v1, vcc
	buffer_store_dword v132, off, s[36:39], 0 offset:20 ; 4-byte Folded Spill
	v_mul_lo_u32 v132, s15, v2
	v_mul_lo_u32 v133, s14, v3
	v_mad_u64_u32 v[2:3], s[0:1], s14, v2, 0
	s_mov_b64 s[26:27], 31
	v_mov_b32_e32 v146, 0
	v_add3_u32 v3, v3, v133, v132
	v_lshlrev_b64 v[2:3], 1, v[2:3]
	v_add_co_u32_e32 v132, vcc, s16, v2
	buffer_store_dword v132, off, s[36:39], 0 offset:32 ; 4-byte Folded Spill
	v_mov_b32_e32 v132, s17
	v_addc_co_u32_e32 v132, vcc, v132, v3, vcc
	v_add_co_u32_e32 v2, vcc, s18, v2
	buffer_store_dword v2, off, s[36:39], 0 offset:40 ; 4-byte Folded Spill
	v_mov_b32_e32 v2, s19
	v_addc_co_u32_e32 v2, vcc, v2, v3, vcc
	buffer_store_dword v2, off, s[36:39], 0 offset:44 ; 4-byte Folded Spill
	v_add_co_u32_e32 v2, vcc, 16, v166
	v_addc_co_u32_e32 v3, vcc, 0, v1, vcc
	buffer_store_dword v132, off, s[36:39], 0 offset:36 ; 4-byte Folded Spill
	v_mul_lo_u32 v132, s15, v2
	v_mul_lo_u32 v133, s14, v3
	v_mad_u64_u32 v[2:3], s[0:1], s14, v2, 0
	v_add3_u32 v3, v3, v133, v132
	v_lshlrev_b64 v[2:3], 1, v[2:3]
	v_add_co_u32_e32 v132, vcc, s16, v2
	buffer_store_dword v132, off, s[36:39], 0 offset:48 ; 4-byte Folded Spill
	v_mov_b32_e32 v132, s17
	v_addc_co_u32_e32 v132, vcc, v132, v3, vcc
	v_add_co_u32_e32 v2, vcc, s18, v2
	buffer_store_dword v2, off, s[36:39], 0 offset:56 ; 4-byte Folded Spill
	v_mov_b32_e32 v2, s19
	v_addc_co_u32_e32 v2, vcc, v2, v3, vcc
	buffer_store_dword v2, off, s[36:39], 0 offset:60 ; 4-byte Folded Spill
	v_add_co_u32_e32 v2, vcc, 15, v166
	v_addc_co_u32_e32 v3, vcc, 0, v1, vcc
	buffer_store_dword v132, off, s[36:39], 0 offset:52 ; 4-byte Folded Spill
	v_mul_lo_u32 v132, s15, v2
	v_mul_lo_u32 v133, s14, v3
	v_mad_u64_u32 v[2:3], s[0:1], s14, v2, 0
	;; [unrolled: 17-line block ×15, first 2 shown]
	v_mov_b32_e32 v1, v137
	v_add3_u32 v133, v133, v3, v2
	v_lshlrev_b64 v[132:133], 1, v[132:133]
	v_mov_b32_e32 v3, v134
	v_add_co_u32_e32 v2, vcc, s16, v132
	buffer_store_dword v2, off, s[36:39], 0 offset:272 ; 4-byte Folded Spill
	v_mov_b32_e32 v2, s17
	v_addc_co_u32_e32 v2, vcc, v2, v133, vcc
	buffer_store_dword v2, off, s[36:39], 0 offset:276 ; 4-byte Folded Spill
	v_add_co_u32_e32 v2, vcc, s18, v132
	buffer_store_dword v2, off, s[36:39], 0 offset:280 ; 4-byte Folded Spill
	v_mov_b32_e32 v2, s19
	v_addc_co_u32_e32 v2, vcc, v2, v133, vcc
	buffer_store_dword v2, off, s[36:39], 0 offset:284 ; 4-byte Folded Spill
	v_add_co_u32_e32 v130, vcc, s14, v130
	v_mov_b32_e32 v2, s15
	v_addc_co_u32_e32 v131, vcc, v131, v2, vcc
	v_lshlrev_b64 v[130:131], 1, v[130:131]
	v_mov_b32_e32 v2, s17
	v_add_co_u32_e32 v141, vcc, s16, v130
	v_addc_co_u32_e32 v142, vcc, v2, v131, vcc
	v_add_co_u32_e32 v143, vcc, s18, v130
	v_mov_b32_e32 v2, s19
	v_addc_co_u32_e32 v144, vcc, v2, v131, vcc
	v_mbcnt_lo_u32_b32 v2, -1, 0
	v_mbcnt_hi_u32_b32 v2, -1, v2
	v_lshlrev_b32_e32 v2, 2, v2
	v_and_b32_e32 v145, 0x100, v2
	s_mov_b64 s[16:17], s[22:23]
.LBB189_149:                            ; =>This Inner Loop Header: Depth=1
	s_add_u32 s0, s22, s26
	v_mov_b32_e32 v131, s13
	s_addc_u32 s1, 0, s27
	v_mov_b32_e32 v130, s12
	v_cmp_ge_i64_e32 vcc, s[0:1], v[130:131]
	v_add_co_u32_e64 v131, s[0:1], s22, v135
	v_addc_co_u32_e64 v132, s[0:1], 0, v136, s[0:1]
	s_mov_b64 s[0:1], -1
                                        ; implicit-def: $vgpr130
	s_cbranch_vccz .LBB189_219
; %bb.150:                              ;   in Loop: Header=BB189_149 Depth=1
	s_load_dword s0, s[10:11], 0xc
	v_mov_b32_e32 v2, 0
	buffer_store_dword v2, off, s[36:39], 0 offset:288 ; 4-byte Folded Spill
	v_mov_b32_e32 v147, 0
	s_waitcnt lgkmcnt(0)
	s_and_b32 s0, s0, 0xffff
	v_mad_u32_u24 v2, v207, s0, v0
	v_and_b32_e32 v2, 63, v2
	v_cmp_gt_u32_e32 vcc, 32, v2
	s_and_saveexec_b64 s[0:1], vcc
	s_cbranch_execz .LBB189_154
; %bb.151:                              ;   in Loop: Header=BB189_149 Depth=1
	v_add_co_u32_e32 v133, vcc, v131, v2
	v_addc_co_u32_e32 v134, vcc, 0, v132, vcc
	v_cmp_gt_i64_e32 vcc, s[12:13], v[133:134]
	v_mov_b32_e32 v147, 0
	s_and_saveexec_b64 s[18:19], vcc
	s_cbranch_execz .LBB189_153
; %bb.152:                              ;   in Loop: Header=BB189_149 Depth=1
	v_lshlrev_b64 v[133:134], 2, v[133:134]
	v_mov_b32_e32 v2, s21
	v_add_co_u32_e32 v133, vcc, s20, v133
	v_addc_co_u32_e32 v134, vcc, v2, v134, vcc
	global_load_dword v147, v[133:134], off
.LBB189_153:                            ;   in Loop: Header=BB189_149 Depth=1
	s_or_b64 exec, exec, s[18:19]
.LBB189_154:                            ;   in Loop: Header=BB189_149 Depth=1
	s_or_b64 exec, exec, s[0:1]
	v_cmp_gt_i64_e32 vcc, s[12:13], v[131:132]
	v_mov_b32_e32 v133, 0
	s_and_saveexec_b64 s[0:1], vcc
	s_cbranch_execz .LBB189_156
; %bb.155:                              ;   in Loop: Header=BB189_149 Depth=1
	v_add_co_u32_e32 v133, vcc, v206, v4
	v_addc_co_u32_e32 v134, vcc, v209, v5, vcc
	v_add_co_u32_e32 v137, vcc, v210, v4
	v_addc_co_u32_e32 v138, vcc, v211, v5, vcc
	global_load_ushort v2, v[133:134], off
	s_nop 0
	global_load_ushort v133, v[137:138], off
	s_waitcnt vmcnt(1)
	v_lshlrev_b32_e32 v2, 16, v2
	s_waitcnt vmcnt(0)
	v_lshlrev_b32_e32 v133, 16, v133
	buffer_store_dword v2, off, s[36:39], 0 offset:288 ; 4-byte Folded Spill
.LBB189_156:                            ;   in Loop: Header=BB189_149 Depth=1
	s_or_b64 exec, exec, s[0:1]
	v_add_co_u32_e32 v137, vcc, 1, v131
	v_addc_co_u32_e32 v138, vcc, 0, v132, vcc
	v_cmp_gt_i64_e32 vcc, s[12:13], v[137:138]
	v_mov_b32_e32 v134, 0
	v_mov_b32_e32 v148, 0
	;; [unrolled: 1-line block ×3, first 2 shown]
	s_and_saveexec_b64 s[0:1], vcc
	s_cbranch_execz .LBB189_158
; %bb.157:                              ;   in Loop: Header=BB189_149 Depth=1
	v_add_co_u32_e32 v137, vcc, v141, v4
	v_addc_co_u32_e32 v138, vcc, v142, v5, vcc
	v_add_co_u32_e32 v148, vcc, v143, v4
	v_addc_co_u32_e32 v149, vcc, v144, v5, vcc
	global_load_ushort v2, v[137:138], off
	s_nop 0
	global_load_ushort v137, v[148:149], off
	s_waitcnt vmcnt(1)
	v_lshlrev_b32_e32 v148, 16, v2
	s_waitcnt vmcnt(0)
	v_lshlrev_b32_e32 v149, 16, v137
.LBB189_158:                            ;   in Loop: Header=BB189_149 Depth=1
	s_or_b64 exec, exec, s[0:1]
	v_add_co_u32_e32 v137, vcc, 2, v131
	v_addc_co_u32_e32 v138, vcc, 0, v132, vcc
	v_cmp_gt_i64_e32 vcc, s[12:13], v[137:138]
	v_mov_b32_e32 v151, 0
	s_and_saveexec_b64 s[0:1], vcc
	s_cbranch_execz .LBB189_160
; %bb.159:                              ;   in Loop: Header=BB189_149 Depth=1
	buffer_load_dword v2, off, s[36:39], 0 offset:272 ; 4-byte Folded Reload
	s_waitcnt vmcnt(0)
	v_add_co_u32_e32 v137, vcc, v2, v4
	buffer_load_dword v2, off, s[36:39], 0 offset:276 ; 4-byte Folded Reload
	s_waitcnt vmcnt(0)
	v_addc_co_u32_e32 v138, vcc, v2, v5, vcc
	buffer_load_dword v2, off, s[36:39], 0 offset:280 ; 4-byte Folded Reload
	s_waitcnt vmcnt(0)
	v_add_co_u32_e32 v150, vcc, v2, v4
	buffer_load_dword v2, off, s[36:39], 0 offset:284 ; 4-byte Folded Reload
	s_waitcnt vmcnt(0)
	v_addc_co_u32_e32 v151, vcc, v2, v5, vcc
	global_load_ushort v2, v[137:138], off
	s_nop 0
	global_load_ushort v137, v[150:151], off
	s_waitcnt vmcnt(1)
	v_lshlrev_b32_e32 v134, 16, v2
	s_waitcnt vmcnt(0)
	v_lshlrev_b32_e32 v151, 16, v137
.LBB189_160:                            ;   in Loop: Header=BB189_149 Depth=1
	s_or_b64 exec, exec, s[0:1]
	v_add_co_u32_e32 v137, vcc, 3, v131
	v_addc_co_u32_e32 v138, vcc, 0, v132, vcc
	v_cmp_gt_i64_e32 vcc, s[12:13], v[137:138]
	v_mov_b32_e32 v150, 0
	v_mov_b32_e32 v152, 0
	v_mov_b32_e32 v153, 0
	s_and_saveexec_b64 s[0:1], vcc
	s_cbranch_execz .LBB189_162
; %bb.161:                              ;   in Loop: Header=BB189_149 Depth=1
	buffer_load_dword v2, off, s[36:39], 0 offset:256 ; 4-byte Folded Reload
	s_waitcnt vmcnt(0)
	v_add_co_u32_e32 v137, vcc, v2, v4
	buffer_load_dword v2, off, s[36:39], 0 offset:260 ; 4-byte Folded Reload
	s_waitcnt vmcnt(0)
	v_addc_co_u32_e32 v138, vcc, v2, v5, vcc
	buffer_load_dword v2, off, s[36:39], 0 offset:264 ; 4-byte Folded Reload
	s_waitcnt vmcnt(0)
	v_add_co_u32_e32 v152, vcc, v2, v4
	buffer_load_dword v2, off, s[36:39], 0 offset:268 ; 4-byte Folded Reload
	s_waitcnt vmcnt(0)
	v_addc_co_u32_e32 v153, vcc, v2, v5, vcc
	global_load_ushort v2, v[137:138], off
	s_nop 0
	global_load_ushort v137, v[152:153], off
	s_waitcnt vmcnt(1)
	v_lshlrev_b32_e32 v152, 16, v2
	s_waitcnt vmcnt(0)
	v_lshlrev_b32_e32 v153, 16, v137
.LBB189_162:                            ;   in Loop: Header=BB189_149 Depth=1
	s_or_b64 exec, exec, s[0:1]
	v_add_co_u32_e32 v137, vcc, 4, v131
	v_addc_co_u32_e32 v138, vcc, 0, v132, vcc
	v_cmp_gt_i64_e32 vcc, s[12:13], v[137:138]
	v_mov_b32_e32 v155, 0
	s_and_saveexec_b64 s[0:1], vcc
	s_cbranch_execz .LBB189_164
; %bb.163:                              ;   in Loop: Header=BB189_149 Depth=1
	buffer_load_dword v2, off, s[36:39], 0 offset:240 ; 4-byte Folded Reload
	s_waitcnt vmcnt(0)
	v_add_co_u32_e32 v137, vcc, v2, v4
	buffer_load_dword v2, off, s[36:39], 0 offset:244 ; 4-byte Folded Reload
	s_waitcnt vmcnt(0)
	v_addc_co_u32_e32 v138, vcc, v2, v5, vcc
	buffer_load_dword v2, off, s[36:39], 0 offset:248 ; 4-byte Folded Reload
	s_waitcnt vmcnt(0)
	v_add_co_u32_e32 v154, vcc, v2, v4
	buffer_load_dword v2, off, s[36:39], 0 offset:252 ; 4-byte Folded Reload
	s_waitcnt vmcnt(0)
	v_addc_co_u32_e32 v155, vcc, v2, v5, vcc
	global_load_ushort v2, v[137:138], off
	s_nop 0
	global_load_ushort v137, v[154:155], off
	s_waitcnt vmcnt(1)
	v_lshlrev_b32_e32 v150, 16, v2
	s_waitcnt vmcnt(0)
	v_lshlrev_b32_e32 v155, 16, v137
.LBB189_164:                            ;   in Loop: Header=BB189_149 Depth=1
	s_or_b64 exec, exec, s[0:1]
	v_add_co_u32_e32 v137, vcc, 5, v131
	v_addc_co_u32_e32 v138, vcc, 0, v132, vcc
	v_cmp_gt_i64_e32 vcc, s[12:13], v[137:138]
	v_mov_b32_e32 v154, 0
	v_mov_b32_e32 v156, 0
	v_mov_b32_e32 v2, 0
	s_and_saveexec_b64 s[0:1], vcc
	s_cbranch_execz .LBB189_166
; %bb.165:                              ;   in Loop: Header=BB189_149 Depth=1
	buffer_load_dword v2, off, s[36:39], 0 offset:224 ; 4-byte Folded Reload
	s_waitcnt vmcnt(0)
	v_add_co_u32_e32 v137, vcc, v2, v4
	buffer_load_dword v2, off, s[36:39], 0 offset:228 ; 4-byte Folded Reload
	s_waitcnt vmcnt(0)
	v_addc_co_u32_e32 v138, vcc, v2, v5, vcc
	buffer_load_dword v2, off, s[36:39], 0 offset:232 ; 4-byte Folded Reload
	s_waitcnt vmcnt(0)
	v_add_co_u32_e32 v156, vcc, v2, v4
	buffer_load_dword v2, off, s[36:39], 0 offset:236 ; 4-byte Folded Reload
	s_waitcnt vmcnt(0)
	v_addc_co_u32_e32 v157, vcc, v2, v5, vcc
	global_load_ushort v2, v[137:138], off
	s_nop 0
	global_load_ushort v137, v[156:157], off
	s_waitcnt vmcnt(1)
	v_lshlrev_b32_e32 v156, 16, v2
	s_waitcnt vmcnt(0)
	v_lshlrev_b32_e32 v2, 16, v137
.LBB189_166:                            ;   in Loop: Header=BB189_149 Depth=1
	s_or_b64 exec, exec, s[0:1]
	v_add_co_u32_e32 v137, vcc, 6, v131
	v_addc_co_u32_e32 v138, vcc, 0, v132, vcc
	v_cmp_gt_i64_e32 vcc, s[12:13], v[137:138]
	v_mov_b32_e32 v158, 0
	s_and_saveexec_b64 s[0:1], vcc
	s_cbranch_execz .LBB189_168
; %bb.167:                              ;   in Loop: Header=BB189_149 Depth=1
	buffer_load_dword v130, off, s[36:39], 0 offset:208 ; 4-byte Folded Reload
	s_waitcnt vmcnt(0)
	v_add_co_u32_e32 v137, vcc, v130, v4
	buffer_load_dword v130, off, s[36:39], 0 offset:212 ; 4-byte Folded Reload
	s_waitcnt vmcnt(0)
	v_addc_co_u32_e32 v138, vcc, v130, v5, vcc
	buffer_load_dword v130, off, s[36:39], 0 offset:216 ; 4-byte Folded Reload
	s_waitcnt vmcnt(0)
	v_add_co_u32_e32 v157, vcc, v130, v4
	buffer_load_dword v130, off, s[36:39], 0 offset:220 ; 4-byte Folded Reload
	s_waitcnt vmcnt(0)
	v_addc_co_u32_e32 v158, vcc, v130, v5, vcc
	global_load_ushort v137, v[137:138], off
	s_nop 0
	global_load_ushort v138, v[157:158], off
	s_waitcnt vmcnt(1)
	v_lshlrev_b32_e32 v154, 16, v137
	s_waitcnt vmcnt(0)
	v_lshlrev_b32_e32 v158, 16, v138
.LBB189_168:                            ;   in Loop: Header=BB189_149 Depth=1
	s_or_b64 exec, exec, s[0:1]
	v_add_co_u32_e32 v137, vcc, 7, v131
	v_addc_co_u32_e32 v138, vcc, 0, v132, vcc
	v_cmp_gt_i64_e32 vcc, s[12:13], v[137:138]
	v_mov_b32_e32 v157, 0
	v_mov_b32_e32 v137, 0
	v_mov_b32_e32 v159, 0
	s_and_saveexec_b64 s[0:1], vcc
	s_cbranch_execz .LBB189_170
; %bb.169:                              ;   in Loop: Header=BB189_149 Depth=1
	buffer_load_dword v130, off, s[36:39], 0 offset:192 ; 4-byte Folded Reload
	s_waitcnt vmcnt(0)
	v_add_co_u32_e32 v137, vcc, v130, v4
	buffer_load_dword v130, off, s[36:39], 0 offset:196 ; 4-byte Folded Reload
	s_waitcnt vmcnt(0)
	v_addc_co_u32_e32 v138, vcc, v130, v5, vcc
	buffer_load_dword v130, off, s[36:39], 0 offset:200 ; 4-byte Folded Reload
	s_waitcnt vmcnt(0)
	v_add_co_u32_e32 v159, vcc, v130, v4
	buffer_load_dword v130, off, s[36:39], 0 offset:204 ; 4-byte Folded Reload
	s_waitcnt vmcnt(0)
	v_addc_co_u32_e32 v160, vcc, v130, v5, vcc
	global_load_ushort v137, v[137:138], off
	s_nop 0
	global_load_ushort v138, v[159:160], off
	s_waitcnt vmcnt(1)
	v_lshlrev_b32_e32 v137, 16, v137
	s_waitcnt vmcnt(0)
	v_lshlrev_b32_e32 v159, 16, v138
.LBB189_170:                            ;   in Loop: Header=BB189_149 Depth=1
	s_or_b64 exec, exec, s[0:1]
	v_add_co_u32_e32 v138, vcc, 8, v131
	v_addc_co_u32_e32 v139, vcc, 0, v132, vcc
	v_cmp_gt_i64_e32 vcc, s[12:13], v[138:139]
	v_mov_b32_e32 v160, 0
	s_and_saveexec_b64 s[0:1], vcc
	s_cbranch_execz .LBB189_172
; %bb.171:                              ;   in Loop: Header=BB189_149 Depth=1
	buffer_load_dword v130, off, s[36:39], 0 offset:176 ; 4-byte Folded Reload
	s_waitcnt vmcnt(0)
	v_add_co_u32_e32 v138, vcc, v130, v4
	buffer_load_dword v130, off, s[36:39], 0 offset:180 ; 4-byte Folded Reload
	s_waitcnt vmcnt(0)
	v_addc_co_u32_e32 v139, vcc, v130, v5, vcc
	buffer_load_dword v130, off, s[36:39], 0 offset:184 ; 4-byte Folded Reload
	s_waitcnt vmcnt(0)
	v_add_co_u32_e32 v160, vcc, v130, v4
	buffer_load_dword v130, off, s[36:39], 0 offset:188 ; 4-byte Folded Reload
	s_waitcnt vmcnt(0)
	v_addc_co_u32_e32 v161, vcc, v130, v5, vcc
	global_load_ushort v138, v[138:139], off
	s_nop 0
	global_load_ushort v139, v[160:161], off
	s_waitcnt vmcnt(1)
	v_lshlrev_b32_e32 v157, 16, v138
	s_waitcnt vmcnt(0)
	v_lshlrev_b32_e32 v160, 16, v139
.LBB189_172:                            ;   in Loop: Header=BB189_149 Depth=1
	s_or_b64 exec, exec, s[0:1]
	v_add_co_u32_e32 v138, vcc, 9, v131
	v_addc_co_u32_e32 v139, vcc, 0, v132, vcc
	v_cmp_gt_i64_e32 vcc, s[12:13], v[138:139]
	v_mov_b32_e32 v138, 0
	v_mov_b32_e32 v161, 0
	v_mov_b32_e32 v162, 0
	s_and_saveexec_b64 s[0:1], vcc
	s_cbranch_execz .LBB189_174
; %bb.173:                              ;   in Loop: Header=BB189_149 Depth=1
	buffer_load_dword v130, off, s[36:39], 0 offset:160 ; 4-byte Folded Reload
	s_waitcnt vmcnt(0)
	v_add_co_u32_e32 v161, vcc, v130, v4
	buffer_load_dword v130, off, s[36:39], 0 offset:164 ; 4-byte Folded Reload
	s_waitcnt vmcnt(0)
	v_addc_co_u32_e32 v162, vcc, v130, v5, vcc
	buffer_load_dword v130, off, s[36:39], 0 offset:168 ; 4-byte Folded Reload
	s_waitcnt vmcnt(0)
	v_add_co_u32_e32 v163, vcc, v130, v4
	buffer_load_dword v130, off, s[36:39], 0 offset:172 ; 4-byte Folded Reload
	s_waitcnt vmcnt(0)
	v_addc_co_u32_e32 v164, vcc, v130, v5, vcc
	global_load_ushort v139, v[161:162], off
	s_nop 0
	global_load_ushort v162, v[163:164], off
	s_waitcnt vmcnt(1)
	v_lshlrev_b32_e32 v161, 16, v139
	s_waitcnt vmcnt(0)
	v_lshlrev_b32_e32 v162, 16, v162
.LBB189_174:                            ;   in Loop: Header=BB189_149 Depth=1
	s_or_b64 exec, exec, s[0:1]
	v_add_co_u32_e32 v163, vcc, 10, v131
	v_addc_co_u32_e32 v164, vcc, 0, v132, vcc
	v_cmp_gt_i64_e32 vcc, s[12:13], v[163:164]
	v_mov_b32_e32 v139, 0
	s_and_saveexec_b64 s[0:1], vcc
	s_cbranch_execz .LBB189_176
; %bb.175:                              ;   in Loop: Header=BB189_149 Depth=1
	buffer_load_dword v130, off, s[36:39], 0 offset:144 ; 4-byte Folded Reload
	s_waitcnt vmcnt(0)
	v_add_co_u32_e32 v138, vcc, v130, v4
	buffer_load_dword v130, off, s[36:39], 0 offset:148 ; 4-byte Folded Reload
	s_waitcnt vmcnt(0)
	v_addc_co_u32_e32 v139, vcc, v130, v5, vcc
	buffer_load_dword v130, off, s[36:39], 0 offset:152 ; 4-byte Folded Reload
	s_waitcnt vmcnt(0)
	v_add_co_u32_e32 v163, vcc, v130, v4
	buffer_load_dword v130, off, s[36:39], 0 offset:156 ; 4-byte Folded Reload
	s_waitcnt vmcnt(0)
	v_addc_co_u32_e32 v164, vcc, v130, v5, vcc
	global_load_ushort v138, v[138:139], off
	s_nop 0
	global_load_ushort v139, v[163:164], off
	s_waitcnt vmcnt(1)
	v_lshlrev_b32_e32 v138, 16, v138
	s_waitcnt vmcnt(0)
	v_lshlrev_b32_e32 v139, 16, v139
.LBB189_176:                            ;   in Loop: Header=BB189_149 Depth=1
	s_or_b64 exec, exec, s[0:1]
	v_add_co_u32_e32 v163, vcc, 11, v131
	v_addc_co_u32_e32 v164, vcc, 0, v132, vcc
	v_cmp_gt_i64_e32 vcc, s[12:13], v[163:164]
	v_mov_b32_e32 v163, 0
	v_mov_b32_e32 v164, 0
	v_mov_b32_e32 v165, 0
	s_and_saveexec_b64 s[0:1], vcc
	s_cbranch_execz .LBB189_178
; %bb.177:                              ;   in Loop: Header=BB189_149 Depth=1
	buffer_load_dword v130, off, s[36:39], 0 offset:128 ; 4-byte Folded Reload
	s_waitcnt vmcnt(0)
	v_add_co_u32_e32 v164, vcc, v130, v4
	buffer_load_dword v130, off, s[36:39], 0 offset:132 ; 4-byte Folded Reload
	s_waitcnt vmcnt(0)
	v_addc_co_u32_e32 v165, vcc, v130, v5, vcc
	buffer_load_dword v130, off, s[36:39], 0 offset:136 ; 4-byte Folded Reload
	s_waitcnt vmcnt(0)
	v_add_co_u32_e32 v166, vcc, v130, v4
	buffer_load_dword v130, off, s[36:39], 0 offset:140 ; 4-byte Folded Reload
	s_waitcnt vmcnt(0)
	v_addc_co_u32_e32 v167, vcc, v130, v5, vcc
	global_load_ushort v164, v[164:165], off
	s_nop 0
	global_load_ushort v165, v[166:167], off
	s_waitcnt vmcnt(1)
	v_lshlrev_b32_e32 v164, 16, v164
	s_waitcnt vmcnt(0)
	v_lshlrev_b32_e32 v165, 16, v165
.LBB189_178:                            ;   in Loop: Header=BB189_149 Depth=1
	s_or_b64 exec, exec, s[0:1]
	v_add_co_u32_e32 v166, vcc, 12, v131
	v_addc_co_u32_e32 v167, vcc, 0, v132, vcc
	v_cmp_gt_i64_e32 vcc, s[12:13], v[166:167]
	v_mov_b32_e32 v167, 0
	s_and_saveexec_b64 s[0:1], vcc
	s_cbranch_execz .LBB189_180
; %bb.179:                              ;   in Loop: Header=BB189_149 Depth=1
	buffer_load_dword v130, off, s[36:39], 0 offset:112 ; 4-byte Folded Reload
	s_waitcnt vmcnt(0)
	v_add_co_u32_e32 v166, vcc, v130, v4
	buffer_load_dword v130, off, s[36:39], 0 offset:116 ; 4-byte Folded Reload
	s_waitcnt vmcnt(0)
	v_addc_co_u32_e32 v167, vcc, v130, v5, vcc
	buffer_load_dword v130, off, s[36:39], 0 offset:120 ; 4-byte Folded Reload
	s_waitcnt vmcnt(0)
	v_add_co_u32_e32 v168, vcc, v130, v4
	buffer_load_dword v130, off, s[36:39], 0 offset:124 ; 4-byte Folded Reload
	s_waitcnt vmcnt(0)
	v_addc_co_u32_e32 v169, vcc, v130, v5, vcc
	global_load_ushort v163, v[166:167], off
	s_nop 0
	global_load_ushort v166, v[168:169], off
	s_waitcnt vmcnt(1)
	v_lshlrev_b32_e32 v163, 16, v163
	s_waitcnt vmcnt(0)
	v_lshlrev_b32_e32 v167, 16, v166
.LBB189_180:                            ;   in Loop: Header=BB189_149 Depth=1
	s_or_b64 exec, exec, s[0:1]
	v_add_co_u32_e32 v168, vcc, 13, v131
	v_addc_co_u32_e32 v169, vcc, 0, v132, vcc
	v_cmp_gt_i64_e32 vcc, s[12:13], v[168:169]
	v_mov_b32_e32 v166, 0
	v_mov_b32_e32 v168, 0
	v_mov_b32_e32 v169, 0
	s_and_saveexec_b64 s[0:1], vcc
	s_cbranch_execz .LBB189_182
; %bb.181:                              ;   in Loop: Header=BB189_149 Depth=1
	buffer_load_dword v130, off, s[36:39], 0 offset:96 ; 4-byte Folded Reload
	s_waitcnt vmcnt(0)
	v_add_co_u32_e32 v168, vcc, v130, v4
	buffer_load_dword v130, off, s[36:39], 0 offset:100 ; 4-byte Folded Reload
	s_waitcnt vmcnt(0)
	v_addc_co_u32_e32 v169, vcc, v130, v5, vcc
	buffer_load_dword v130, off, s[36:39], 0 offset:104 ; 4-byte Folded Reload
	s_waitcnt vmcnt(0)
	v_add_co_u32_e32 v170, vcc, v130, v4
	buffer_load_dword v130, off, s[36:39], 0 offset:108 ; 4-byte Folded Reload
	s_waitcnt vmcnt(0)
	v_addc_co_u32_e32 v171, vcc, v130, v5, vcc
	global_load_ushort v168, v[168:169], off
	s_nop 0
	global_load_ushort v169, v[170:171], off
	s_waitcnt vmcnt(1)
	v_lshlrev_b32_e32 v168, 16, v168
	s_waitcnt vmcnt(0)
	v_lshlrev_b32_e32 v169, 16, v169
.LBB189_182:                            ;   in Loop: Header=BB189_149 Depth=1
	s_or_b64 exec, exec, s[0:1]
	v_add_co_u32_e32 v170, vcc, 14, v131
	v_addc_co_u32_e32 v171, vcc, 0, v132, vcc
	v_cmp_gt_i64_e32 vcc, s[12:13], v[170:171]
	v_mov_b32_e32 v171, 0
	s_and_saveexec_b64 s[0:1], vcc
	s_cbranch_execz .LBB189_184
; %bb.183:                              ;   in Loop: Header=BB189_149 Depth=1
	buffer_load_dword v130, off, s[36:39], 0 offset:80 ; 4-byte Folded Reload
	s_waitcnt vmcnt(0)
	v_add_co_u32_e32 v170, vcc, v130, v4
	buffer_load_dword v130, off, s[36:39], 0 offset:84 ; 4-byte Folded Reload
	s_waitcnt vmcnt(0)
	v_addc_co_u32_e32 v171, vcc, v130, v5, vcc
	buffer_load_dword v130, off, s[36:39], 0 offset:88 ; 4-byte Folded Reload
	s_waitcnt vmcnt(0)
	v_add_co_u32_e32 v172, vcc, v130, v4
	buffer_load_dword v130, off, s[36:39], 0 offset:92 ; 4-byte Folded Reload
	s_waitcnt vmcnt(0)
	v_addc_co_u32_e32 v173, vcc, v130, v5, vcc
	global_load_ushort v166, v[170:171], off
	s_nop 0
	global_load_ushort v170, v[172:173], off
	s_waitcnt vmcnt(1)
	v_lshlrev_b32_e32 v166, 16, v166
	s_waitcnt vmcnt(0)
	v_lshlrev_b32_e32 v171, 16, v170
.LBB189_184:                            ;   in Loop: Header=BB189_149 Depth=1
	s_or_b64 exec, exec, s[0:1]
	v_add_co_u32_e32 v172, vcc, 15, v131
	v_addc_co_u32_e32 v173, vcc, 0, v132, vcc
	v_cmp_gt_i64_e32 vcc, s[12:13], v[172:173]
	v_mov_b32_e32 v170, 0
	v_mov_b32_e32 v172, 0
	v_mov_b32_e32 v173, 0
	s_and_saveexec_b64 s[0:1], vcc
	s_cbranch_execz .LBB189_186
; %bb.185:                              ;   in Loop: Header=BB189_149 Depth=1
	buffer_load_dword v130, off, s[36:39], 0 offset:64 ; 4-byte Folded Reload
	s_waitcnt vmcnt(0)
	v_add_co_u32_e32 v172, vcc, v130, v4
	buffer_load_dword v130, off, s[36:39], 0 offset:68 ; 4-byte Folded Reload
	s_waitcnt vmcnt(0)
	v_addc_co_u32_e32 v173, vcc, v130, v5, vcc
	buffer_load_dword v130, off, s[36:39], 0 offset:72 ; 4-byte Folded Reload
	s_waitcnt vmcnt(0)
	v_add_co_u32_e32 v174, vcc, v130, v4
	buffer_load_dword v130, off, s[36:39], 0 offset:76 ; 4-byte Folded Reload
	s_waitcnt vmcnt(0)
	v_addc_co_u32_e32 v175, vcc, v130, v5, vcc
	global_load_ushort v172, v[172:173], off
	s_nop 0
	global_load_ushort v173, v[174:175], off
	s_waitcnt vmcnt(1)
	v_lshlrev_b32_e32 v172, 16, v172
	s_waitcnt vmcnt(0)
	v_lshlrev_b32_e32 v173, 16, v173
.LBB189_186:                            ;   in Loop: Header=BB189_149 Depth=1
	s_or_b64 exec, exec, s[0:1]
	v_add_co_u32_e32 v174, vcc, 16, v131
	v_addc_co_u32_e32 v175, vcc, 0, v132, vcc
	v_cmp_gt_i64_e32 vcc, s[12:13], v[174:175]
	v_mov_b32_e32 v175, 0
	s_and_saveexec_b64 s[0:1], vcc
	s_cbranch_execz .LBB189_188
; %bb.187:                              ;   in Loop: Header=BB189_149 Depth=1
	buffer_load_dword v130, off, s[36:39], 0 offset:48 ; 4-byte Folded Reload
	s_waitcnt vmcnt(0)
	v_add_co_u32_e32 v174, vcc, v130, v4
	buffer_load_dword v130, off, s[36:39], 0 offset:52 ; 4-byte Folded Reload
	s_waitcnt vmcnt(0)
	v_addc_co_u32_e32 v175, vcc, v130, v5, vcc
	buffer_load_dword v130, off, s[36:39], 0 offset:56 ; 4-byte Folded Reload
	s_waitcnt vmcnt(0)
	v_add_co_u32_e32 v176, vcc, v130, v4
	buffer_load_dword v130, off, s[36:39], 0 offset:60 ; 4-byte Folded Reload
	s_waitcnt vmcnt(0)
	v_addc_co_u32_e32 v177, vcc, v130, v5, vcc
	global_load_ushort v170, v[174:175], off
	s_nop 0
	global_load_ushort v174, v[176:177], off
	s_waitcnt vmcnt(1)
	v_lshlrev_b32_e32 v170, 16, v170
	s_waitcnt vmcnt(0)
	v_lshlrev_b32_e32 v175, 16, v174
.LBB189_188:                            ;   in Loop: Header=BB189_149 Depth=1
	s_or_b64 exec, exec, s[0:1]
	v_add_co_u32_e32 v176, vcc, 17, v131
	v_addc_co_u32_e32 v177, vcc, 0, v132, vcc
	v_cmp_gt_i64_e32 vcc, s[12:13], v[176:177]
	v_mov_b32_e32 v174, 0
	v_mov_b32_e32 v176, 0
	v_mov_b32_e32 v177, 0
	s_and_saveexec_b64 s[0:1], vcc
	s_cbranch_execz .LBB189_190
; %bb.189:                              ;   in Loop: Header=BB189_149 Depth=1
	buffer_load_dword v130, off, s[36:39], 0 offset:32 ; 4-byte Folded Reload
	s_waitcnt vmcnt(0)
	v_add_co_u32_e32 v176, vcc, v130, v4
	buffer_load_dword v130, off, s[36:39], 0 offset:36 ; 4-byte Folded Reload
	s_waitcnt vmcnt(0)
	v_addc_co_u32_e32 v177, vcc, v130, v5, vcc
	buffer_load_dword v130, off, s[36:39], 0 offset:40 ; 4-byte Folded Reload
	s_waitcnt vmcnt(0)
	v_add_co_u32_e32 v178, vcc, v130, v4
	buffer_load_dword v130, off, s[36:39], 0 offset:44 ; 4-byte Folded Reload
	s_waitcnt vmcnt(0)
	v_addc_co_u32_e32 v179, vcc, v130, v5, vcc
	global_load_ushort v176, v[176:177], off
	s_nop 0
	global_load_ushort v177, v[178:179], off
	s_waitcnt vmcnt(1)
	v_lshlrev_b32_e32 v176, 16, v176
	s_waitcnt vmcnt(0)
	v_lshlrev_b32_e32 v177, 16, v177
.LBB189_190:                            ;   in Loop: Header=BB189_149 Depth=1
	s_or_b64 exec, exec, s[0:1]
	v_add_co_u32_e32 v178, vcc, 18, v131
	v_addc_co_u32_e32 v179, vcc, 0, v132, vcc
	v_cmp_gt_i64_e32 vcc, s[12:13], v[178:179]
	v_mov_b32_e32 v179, 0
	s_and_saveexec_b64 s[0:1], vcc
	s_cbranch_execz .LBB189_192
; %bb.191:                              ;   in Loop: Header=BB189_149 Depth=1
	buffer_load_dword v130, off, s[36:39], 0 offset:16 ; 4-byte Folded Reload
	s_waitcnt vmcnt(0)
	v_add_co_u32_e32 v178, vcc, v130, v4
	buffer_load_dword v130, off, s[36:39], 0 offset:20 ; 4-byte Folded Reload
	s_waitcnt vmcnt(0)
	v_addc_co_u32_e32 v179, vcc, v130, v5, vcc
	buffer_load_dword v130, off, s[36:39], 0 offset:24 ; 4-byte Folded Reload
	s_waitcnt vmcnt(0)
	v_add_co_u32_e32 v180, vcc, v130, v4
	buffer_load_dword v130, off, s[36:39], 0 offset:28 ; 4-byte Folded Reload
	s_waitcnt vmcnt(0)
	v_addc_co_u32_e32 v181, vcc, v130, v5, vcc
	global_load_ushort v174, v[178:179], off
	s_nop 0
	global_load_ushort v178, v[180:181], off
	s_waitcnt vmcnt(1)
	v_lshlrev_b32_e32 v174, 16, v174
	s_waitcnt vmcnt(0)
	v_lshlrev_b32_e32 v179, 16, v178
.LBB189_192:                            ;   in Loop: Header=BB189_149 Depth=1
	s_or_b64 exec, exec, s[0:1]
	v_add_co_u32_e32 v180, vcc, 19, v131
	v_addc_co_u32_e32 v181, vcc, 0, v132, vcc
	v_cmp_gt_i64_e32 vcc, s[12:13], v[180:181]
	v_mov_b32_e32 v178, 0
	v_mov_b32_e32 v180, 0
	;; [unrolled: 1-line block ×3, first 2 shown]
	s_and_saveexec_b64 s[0:1], vcc
	s_cbranch_execz .LBB189_194
; %bb.193:                              ;   in Loop: Header=BB189_149 Depth=1
	buffer_load_dword v130, off, s[36:39], 0 ; 4-byte Folded Reload
	s_waitcnt vmcnt(0)
	v_add_co_u32_e32 v180, vcc, v130, v4
	buffer_load_dword v130, off, s[36:39], 0 offset:4 ; 4-byte Folded Reload
	s_waitcnt vmcnt(0)
	v_addc_co_u32_e32 v181, vcc, v130, v5, vcc
	buffer_load_dword v130, off, s[36:39], 0 offset:8 ; 4-byte Folded Reload
	s_waitcnt vmcnt(0)
	v_add_co_u32_e32 v182, vcc, v130, v4
	buffer_load_dword v130, off, s[36:39], 0 offset:12 ; 4-byte Folded Reload
	s_waitcnt vmcnt(0)
	v_addc_co_u32_e32 v183, vcc, v130, v5, vcc
	global_load_ushort v180, v[180:181], off
	s_nop 0
	global_load_ushort v181, v[182:183], off
	s_waitcnt vmcnt(1)
	v_lshlrev_b32_e32 v180, 16, v180
	s_waitcnt vmcnt(0)
	v_lshlrev_b32_e32 v181, 16, v181
.LBB189_194:                            ;   in Loop: Header=BB189_149 Depth=1
	s_or_b64 exec, exec, s[0:1]
	v_add_co_u32_e32 v182, vcc, 20, v131
	v_addc_co_u32_e32 v183, vcc, 0, v132, vcc
	v_cmp_gt_i64_e32 vcc, s[12:13], v[182:183]
	v_mov_b32_e32 v183, 0
	s_and_saveexec_b64 s[0:1], vcc
	s_cbranch_execz .LBB189_196
; %bb.195:                              ;   in Loop: Header=BB189_149 Depth=1
	v_add_co_u32_e32 v182, vcc, v3, v4
	v_addc_co_u32_e32 v183, vcc, v140, v5, vcc
	v_add_co_u32_e32 v184, vcc, v208, v4
	v_addc_co_u32_e32 v185, vcc, v1, v5, vcc
	global_load_ushort v178, v[182:183], off
	s_nop 0
	global_load_ushort v182, v[184:185], off
	s_waitcnt vmcnt(1)
	v_lshlrev_b32_e32 v178, 16, v178
	s_waitcnt vmcnt(0)
	v_lshlrev_b32_e32 v183, 16, v182
.LBB189_196:                            ;   in Loop: Header=BB189_149 Depth=1
	s_or_b64 exec, exec, s[0:1]
	v_add_co_u32_e32 v184, vcc, 21, v131
	v_addc_co_u32_e32 v185, vcc, 0, v132, vcc
	v_cmp_gt_i64_e32 vcc, s[12:13], v[184:185]
	v_mov_b32_e32 v182, 0
	v_mov_b32_e32 v184, 0
	v_mov_b32_e32 v185, 0
	s_and_saveexec_b64 s[0:1], vcc
	s_cbranch_execz .LBB189_198
; %bb.197:                              ;   in Loop: Header=BB189_149 Depth=1
	v_add_co_u32_e32 v184, vcc, v252, v4
	v_addc_co_u32_e32 v185, vcc, v253, v5, vcc
	v_add_co_u32_e32 v186, vcc, v254, v4
	v_addc_co_u32_e32 v187, vcc, v255, v5, vcc
	global_load_ushort v184, v[184:185], off
	s_nop 0
	global_load_ushort v185, v[186:187], off
	s_waitcnt vmcnt(1)
	v_lshlrev_b32_e32 v184, 16, v184
	s_waitcnt vmcnt(0)
	v_lshlrev_b32_e32 v185, 16, v185
.LBB189_198:                            ;   in Loop: Header=BB189_149 Depth=1
	s_or_b64 exec, exec, s[0:1]
	v_add_co_u32_e32 v186, vcc, 22, v131
	v_addc_co_u32_e32 v187, vcc, 0, v132, vcc
	v_cmp_gt_i64_e32 vcc, s[12:13], v[186:187]
	v_mov_b32_e32 v187, 0
	s_and_saveexec_b64 s[0:1], vcc
	s_cbranch_execz .LBB189_200
; %bb.199:                              ;   in Loop: Header=BB189_149 Depth=1
	v_add_co_u32_e32 v186, vcc, v248, v4
	v_addc_co_u32_e32 v187, vcc, v249, v5, vcc
	v_add_co_u32_e32 v188, vcc, v250, v4
	v_addc_co_u32_e32 v189, vcc, v251, v5, vcc
	global_load_ushort v182, v[186:187], off
	s_nop 0
	global_load_ushort v186, v[188:189], off
	s_waitcnt vmcnt(1)
	v_lshlrev_b32_e32 v182, 16, v182
	s_waitcnt vmcnt(0)
	v_lshlrev_b32_e32 v187, 16, v186
.LBB189_200:                            ;   in Loop: Header=BB189_149 Depth=1
	s_or_b64 exec, exec, s[0:1]
	v_add_co_u32_e32 v188, vcc, 23, v131
	v_addc_co_u32_e32 v189, vcc, 0, v132, vcc
	v_cmp_gt_i64_e32 vcc, s[12:13], v[188:189]
	v_mov_b32_e32 v186, 0
	v_mov_b32_e32 v188, 0
	v_mov_b32_e32 v189, 0
	s_and_saveexec_b64 s[0:1], vcc
	s_cbranch_execz .LBB189_202
; %bb.201:                              ;   in Loop: Header=BB189_149 Depth=1
	v_add_co_u32_e32 v188, vcc, v244, v4
	v_addc_co_u32_e32 v189, vcc, v245, v5, vcc
	v_add_co_u32_e32 v190, vcc, v246, v4
	v_addc_co_u32_e32 v191, vcc, v247, v5, vcc
	global_load_ushort v188, v[188:189], off
	s_nop 0
	global_load_ushort v189, v[190:191], off
	s_waitcnt vmcnt(1)
	v_lshlrev_b32_e32 v188, 16, v188
	s_waitcnt vmcnt(0)
	v_lshlrev_b32_e32 v189, 16, v189
.LBB189_202:                            ;   in Loop: Header=BB189_149 Depth=1
	;; [unrolled: 42-line block ×5, first 2 shown]
	s_or_b64 exec, exec, s[0:1]
	v_add_co_u32_e32 v202, vcc, 30, v131
	v_addc_co_u32_e32 v203, vcc, 0, v132, vcc
	v_cmp_gt_i64_e32 vcc, s[12:13], v[202:203]
	v_mov_b32_e32 v202, 0
	s_and_saveexec_b64 s[0:1], vcc
	s_cbranch_execz .LBB189_216
; %bb.215:                              ;   in Loop: Header=BB189_149 Depth=1
	v_add_co_u32_e32 v202, vcc, v216, v4
	v_addc_co_u32_e32 v203, vcc, v217, v5, vcc
	v_add_co_u32_e32 v204, vcc, v218, v4
	v_addc_co_u32_e32 v205, vcc, v219, v5, vcc
	global_load_ushort v199, v[202:203], off
	s_nop 0
	global_load_ushort v202, v[204:205], off
	s_waitcnt vmcnt(1)
	v_lshlrev_b32_e32 v199, 16, v199
	s_waitcnt vmcnt(0)
	v_lshlrev_b32_e32 v202, 16, v202
.LBB189_216:                            ;   in Loop: Header=BB189_149 Depth=1
	s_or_b64 exec, exec, s[0:1]
	v_add_co_u32_e32 v203, vcc, 31, v131
	v_addc_co_u32_e32 v204, vcc, 0, v132, vcc
	v_cmp_gt_i64_e32 vcc, s[12:13], v[203:204]
	v_mov_b32_e32 v203, 0
	s_and_saveexec_b64 s[0:1], vcc
	s_cbranch_execz .LBB189_218
; %bb.217:                              ;   in Loop: Header=BB189_149 Depth=1
	v_add_co_u32_e32 v203, vcc, v212, v4
	v_addc_co_u32_e32 v204, vcc, v213, v5, vcc
	v_add_co_u32_e32 v205, vcc, v214, v4
	v_mov_b32_e32 v130, v1
	v_mov_b32_e32 v1, v208
	;; [unrolled: 1-line block ×53, first 2 shown]
	v_addc_co_u32_e32 v206, vcc, v215, v5, vcc
	global_load_ushort v205, v[205:206], off
	v_mov_b32_e32 v206, v209
	global_load_ushort v203, v[203:204], off
	v_mov_b32_e32 v209, v136
	v_mov_b32_e32 v136, v210
	v_mov_b32_e32 v210, v211
	v_mov_b32_e32 v211, v212
	v_mov_b32_e32 v212, v213
	v_mov_b32_e32 v213, v214
	v_mov_b32_e32 v214, v135
	v_mov_b32_e32 v135, v216
	v_mov_b32_e32 v216, v217
	v_mov_b32_e32 v217, v218
	v_mov_b32_e32 v218, v219
	v_mov_b32_e32 v219, v220
	v_mov_b32_e32 v220, v221
	v_mov_b32_e32 v221, v222
	v_mov_b32_e32 v222, v223
	v_mov_b32_e32 v223, v224
	v_mov_b32_e32 v224, v225
	v_mov_b32_e32 v225, v226
	v_mov_b32_e32 v226, v227
	v_mov_b32_e32 v227, v228
	v_mov_b32_e32 v228, v229
	v_mov_b32_e32 v229, v230
	v_mov_b32_e32 v230, v231
	v_mov_b32_e32 v231, v232
	v_mov_b32_e32 v232, v233
	v_mov_b32_e32 v233, v234
	v_mov_b32_e32 v234, v235
	v_mov_b32_e32 v235, v236
	v_mov_b32_e32 v236, v237
	v_mov_b32_e32 v237, v238
	v_mov_b32_e32 v238, v239
	v_mov_b32_e32 v239, v240
	v_mov_b32_e32 v240, v241
	v_mov_b32_e32 v241, v242
	v_mov_b32_e32 v242, v243
	v_mov_b32_e32 v243, v244
	v_mov_b32_e32 v244, v245
	v_mov_b32_e32 v245, v246
	v_mov_b32_e32 v246, v247
	v_mov_b32_e32 v247, v248
	v_mov_b32_e32 v248, v249
	v_mov_b32_e32 v249, v250
	v_mov_b32_e32 v250, v251
	v_mov_b32_e32 v251, v252
	v_mov_b32_e32 v252, v253
	v_mov_b32_e32 v253, v254
	v_mov_b32_e32 v254, v255
	v_mov_b32_e32 v255, v3
	v_mov_b32_e32 v3, v140
	v_mov_b32_e32 v140, v208
	v_mov_b32_e32 v208, v1
	v_mov_b32_e32 v1, v130
	s_waitcnt vmcnt(1)
	v_lshlrev_b32_e32 v204, 16, v205
	s_waitcnt vmcnt(0)
	v_lshlrev_b32_e32 v203, 16, v203
	v_mul_f32_e32 v203, v203, v204
.LBB189_218:                            ;   in Loop: Header=BB189_149 Depth=1
	s_or_b64 exec, exec, s[0:1]
	buffer_load_dword v130, off, s[36:39], 0 offset:288 ; 4-byte Folded Reload
	s_waitcnt vmcnt(1)
	ds_bpermute_b32 v204, v145, v147
	v_mul_f32_e32 v148, v148, v149
	v_mul_f32_e32 v134, v134, v151
	;; [unrolled: 1-line block ×3, first 2 shown]
	s_mov_b64 s[0:1], 0
	s_waitcnt vmcnt(0)
	v_mul_f32_e32 v130, v130, v133
	ds_bpermute_b32 v133, v145, v147 offset:4
	s_waitcnt lgkmcnt(1)
	v_fma_f32 v130, v130, v204, v146
	s_waitcnt lgkmcnt(0)
	v_fmac_f32_e32 v130, v148, v133
	ds_bpermute_b32 v133, v145, v147 offset:8
	s_waitcnt lgkmcnt(0)
	v_fmac_f32_e32 v130, v134, v133
	ds_bpermute_b32 v133, v145, v147 offset:12
	v_mul_f32_e32 v134, v152, v153
	s_waitcnt lgkmcnt(0)
	v_fmac_f32_e32 v130, v134, v133
	ds_bpermute_b32 v133, v145, v147 offset:16
	v_mul_f32_e32 v134, v150, v155
	s_waitcnt lgkmcnt(0)
	v_fmac_f32_e32 v130, v134, v133
	ds_bpermute_b32 v133, v145, v147 offset:20
	s_waitcnt lgkmcnt(0)
	v_fmac_f32_e32 v130, v2, v133
	ds_bpermute_b32 v2, v145, v147 offset:24
	v_mul_f32_e32 v133, v154, v158
	s_waitcnt lgkmcnt(0)
	v_fmac_f32_e32 v130, v133, v2
	ds_bpermute_b32 v2, v145, v147 offset:28
	v_mul_f32_e32 v133, v137, v159
	;; [unrolled: 4-line block ×25, first 2 shown]
	s_waitcnt lgkmcnt(0)
	v_fmac_f32_e32 v130, v133, v2
	ds_bpermute_b32 v2, v145, v147 offset:124
	s_waitcnt lgkmcnt(0)
	v_fmac_f32_e32 v130, v203, v2
.LBB189_219:                            ;   in Loop: Header=BB189_149 Depth=1
	s_and_b64 vcc, exec, s[0:1]
	s_cbranch_vccz .LBB189_225
; %bb.220:                              ;   in Loop: Header=BB189_149 Depth=1
	s_load_dword s0, s[10:11], 0x0
	buffer_load_dword v133, off, s[36:39], 0 offset:292 ; 4-byte Folded Reload
	buffer_load_dword v134, off, s[36:39], 0 offset:296 ; 4-byte Folded Reload
	s_waitcnt lgkmcnt(0)
	s_cmp_lt_u32 s6, s0
	s_cselect_b32 s0, 12, 18
	s_add_u32 s0, s10, s0
	s_addc_u32 s1, s11, 0
	s_waitcnt vmcnt(0)
	global_load_ushort v2, v134, s[0:1]
	s_waitcnt vmcnt(0)
	v_mad_u32_u24 v2, v207, v2, v0
	v_and_b32_e32 v130, 63, v2
	v_cmp_gt_u32_e32 vcc, 32, v130
	v_mov_b32_e32 v2, 0
	s_and_saveexec_b64 s[0:1], vcc
	s_cbranch_execz .LBB189_224
; %bb.221:                              ;   in Loop: Header=BB189_149 Depth=1
	v_add_co_u32_e32 v130, vcc, v131, v130
	v_addc_co_u32_e32 v131, vcc, 0, v132, vcc
	v_cmp_gt_i64_e32 vcc, s[12:13], v[130:131]
	v_mov_b32_e32 v2, 0
	s_and_saveexec_b64 s[18:19], vcc
	s_cbranch_execz .LBB189_223
; %bb.222:                              ;   in Loop: Header=BB189_149 Depth=1
	v_lshlrev_b64 v[130:131], 2, v[130:131]
	v_mov_b32_e32 v2, s21
	v_add_co_u32_e32 v130, vcc, s20, v130
	v_addc_co_u32_e32 v131, vcc, v2, v131, vcc
	global_load_dword v2, v[130:131], off
.LBB189_223:                            ;   in Loop: Header=BB189_149 Depth=1
	s_or_b64 exec, exec, s[18:19]
.LBB189_224:                            ;   in Loop: Header=BB189_149 Depth=1
	s_or_b64 exec, exec, s[0:1]
	v_add_co_u32_e32 v130, vcc, v206, v4
	v_addc_co_u32_e32 v131, vcc, v209, v5, vcc
	global_load_ushort v134, v[130:131], off
	v_add_co_u32_e32 v130, vcc, v210, v4
	v_addc_co_u32_e32 v131, vcc, v211, v5, vcc
	global_load_ushort v137, v[130:131], off
	v_add_co_u32_e32 v130, vcc, v6, v4
	v_addc_co_u32_e32 v131, vcc, v7, v5, vcc
	global_load_ushort v138, v[130:131], off
	v_add_co_u32_e32 v130, vcc, v68, v4
	v_addc_co_u32_e32 v131, vcc, v69, v5, vcc
	global_load_ushort v139, v[130:131], off
	v_add_co_u32_e32 v130, vcc, v8, v4
	v_addc_co_u32_e32 v131, vcc, v9, v5, vcc
	global_load_ushort v147, v[130:131], off
	v_add_co_u32_e32 v130, vcc, v70, v4
	v_addc_co_u32_e32 v131, vcc, v71, v5, vcc
	global_load_ushort v148, v[130:131], off
	v_add_co_u32_e32 v130, vcc, v10, v4
	v_addc_co_u32_e32 v131, vcc, v11, v5, vcc
	global_load_ushort v149, v[130:131], off
	v_add_co_u32_e32 v130, vcc, v72, v4
	v_addc_co_u32_e32 v131, vcc, v73, v5, vcc
	global_load_ushort v150, v[130:131], off
	v_add_co_u32_e32 v130, vcc, v12, v4
	v_addc_co_u32_e32 v131, vcc, v13, v5, vcc
	global_load_ushort v151, v[130:131], off
	v_add_co_u32_e32 v130, vcc, v74, v4
	v_addc_co_u32_e32 v131, vcc, v75, v5, vcc
	global_load_ushort v152, v[130:131], off
	v_add_co_u32_e32 v130, vcc, v14, v4
	v_addc_co_u32_e32 v131, vcc, v15, v5, vcc
	global_load_ushort v153, v[130:131], off
	v_add_co_u32_e32 v130, vcc, v76, v4
	v_addc_co_u32_e32 v131, vcc, v77, v5, vcc
	global_load_ushort v154, v[130:131], off
	v_add_co_u32_e32 v130, vcc, v16, v4
	v_addc_co_u32_e32 v131, vcc, v17, v5, vcc
	global_load_ushort v155, v[130:131], off
	v_add_co_u32_e32 v130, vcc, v78, v4
	v_addc_co_u32_e32 v131, vcc, v79, v5, vcc
	global_load_ushort v156, v[130:131], off
	v_add_co_u32_e32 v130, vcc, v18, v4
	v_addc_co_u32_e32 v131, vcc, v19, v5, vcc
	global_load_ushort v157, v[130:131], off
	v_add_co_u32_e32 v130, vcc, v80, v4
	v_addc_co_u32_e32 v131, vcc, v81, v5, vcc
	global_load_ushort v158, v[130:131], off
	v_add_co_u32_e32 v130, vcc, v20, v4
	v_addc_co_u32_e32 v131, vcc, v21, v5, vcc
	global_load_ushort v159, v[130:131], off
	v_add_co_u32_e32 v130, vcc, v82, v4
	v_addc_co_u32_e32 v131, vcc, v83, v5, vcc
	global_load_ushort v160, v[130:131], off
	v_add_co_u32_e32 v130, vcc, v22, v4
	v_addc_co_u32_e32 v131, vcc, v23, v5, vcc
	global_load_ushort v161, v[130:131], off
	v_add_co_u32_e32 v130, vcc, v84, v4
	v_addc_co_u32_e32 v131, vcc, v85, v5, vcc
	global_load_ushort v162, v[130:131], off
	v_add_co_u32_e32 v130, vcc, v24, v4
	v_addc_co_u32_e32 v131, vcc, v25, v5, vcc
	global_load_ushort v163, v[130:131], off
	v_add_co_u32_e32 v130, vcc, v86, v4
	v_addc_co_u32_e32 v131, vcc, v87, v5, vcc
	global_load_ushort v164, v[130:131], off
	v_add_co_u32_e32 v130, vcc, v26, v4
	v_addc_co_u32_e32 v131, vcc, v27, v5, vcc
	global_load_ushort v165, v[130:131], off
	v_add_co_u32_e32 v130, vcc, v88, v4
	v_addc_co_u32_e32 v131, vcc, v89, v5, vcc
	global_load_ushort v166, v[130:131], off
	v_add_co_u32_e32 v130, vcc, v28, v4
	v_addc_co_u32_e32 v131, vcc, v29, v5, vcc
	global_load_ushort v167, v[130:131], off
	v_add_co_u32_e32 v130, vcc, v90, v4
	v_addc_co_u32_e32 v131, vcc, v91, v5, vcc
	global_load_ushort v168, v[130:131], off
	v_add_co_u32_e32 v130, vcc, v30, v4
	v_addc_co_u32_e32 v131, vcc, v31, v5, vcc
	global_load_ushort v169, v[130:131], off
	v_add_co_u32_e32 v130, vcc, v92, v4
	v_addc_co_u32_e32 v131, vcc, v93, v5, vcc
	global_load_ushort v170, v[130:131], off
	v_add_co_u32_e32 v130, vcc, v32, v4
	v_addc_co_u32_e32 v131, vcc, v33, v5, vcc
	global_load_ushort v171, v[130:131], off
	v_add_co_u32_e32 v130, vcc, v94, v4
	v_addc_co_u32_e32 v131, vcc, v95, v5, vcc
	global_load_ushort v172, v[130:131], off
	v_add_co_u32_e32 v130, vcc, v34, v4
	v_addc_co_u32_e32 v131, vcc, v35, v5, vcc
	global_load_ushort v173, v[130:131], off
	v_add_co_u32_e32 v130, vcc, v96, v4
	v_addc_co_u32_e32 v131, vcc, v97, v5, vcc
	global_load_ushort v174, v[130:131], off
	v_add_co_u32_e32 v130, vcc, v36, v4
	v_addc_co_u32_e32 v131, vcc, v37, v5, vcc
	global_load_ushort v175, v[130:131], off
	v_add_co_u32_e32 v130, vcc, v98, v4
	v_addc_co_u32_e32 v131, vcc, v99, v5, vcc
	global_load_ushort v176, v[130:131], off
	v_add_co_u32_e32 v130, vcc, v38, v4
	v_addc_co_u32_e32 v131, vcc, v39, v5, vcc
	global_load_ushort v177, v[130:131], off
	v_add_co_u32_e32 v130, vcc, v100, v4
	v_addc_co_u32_e32 v131, vcc, v101, v5, vcc
	global_load_ushort v178, v[130:131], off
	v_add_co_u32_e32 v130, vcc, v40, v4
	v_addc_co_u32_e32 v131, vcc, v41, v5, vcc
	global_load_ushort v179, v[130:131], off
	v_add_co_u32_e32 v130, vcc, v102, v4
	v_addc_co_u32_e32 v131, vcc, v103, v5, vcc
	global_load_ushort v180, v[130:131], off
	v_add_co_u32_e32 v130, vcc, v42, v4
	v_addc_co_u32_e32 v131, vcc, v43, v5, vcc
	global_load_ushort v181, v[130:131], off
	v_add_co_u32_e32 v130, vcc, v104, v4
	v_addc_co_u32_e32 v131, vcc, v105, v5, vcc
	global_load_ushort v182, v[130:131], off
	v_add_co_u32_e32 v130, vcc, v44, v4
	v_addc_co_u32_e32 v131, vcc, v45, v5, vcc
	global_load_ushort v183, v[130:131], off
	v_add_co_u32_e32 v130, vcc, v106, v4
	v_addc_co_u32_e32 v131, vcc, v107, v5, vcc
	global_load_ushort v184, v[130:131], off
	v_add_co_u32_e32 v130, vcc, v46, v4
	v_addc_co_u32_e32 v131, vcc, v47, v5, vcc
	global_load_ushort v185, v[130:131], off
	v_add_co_u32_e32 v130, vcc, v108, v4
	v_addc_co_u32_e32 v131, vcc, v109, v5, vcc
	global_load_ushort v186, v[130:131], off
	v_add_co_u32_e32 v130, vcc, v48, v4
	v_addc_co_u32_e32 v131, vcc, v49, v5, vcc
	v_add_co_u32_e32 v132, vcc, v110, v4
	v_addc_co_u32_e32 v133, vcc, v111, v5, vcc
	global_load_ushort v187, v[130:131], off
	global_load_ushort v188, v[132:133], off
	v_add_co_u32_e32 v130, vcc, v50, v4
	v_addc_co_u32_e32 v131, vcc, v51, v5, vcc
	v_add_co_u32_e32 v132, vcc, v112, v4
	v_addc_co_u32_e32 v133, vcc, v113, v5, vcc
	global_load_ushort v189, v[130:131], off
	global_load_ushort v190, v[132:133], off
	;; [unrolled: 6-line block ×9, first 2 shown]
	v_add_co_u32_e32 v130, vcc, v66, v4
	v_addc_co_u32_e32 v131, vcc, v67, v5, vcc
	v_add_co_u32_e32 v132, vcc, v128, v4
	v_addc_co_u32_e32 v133, vcc, v129, v5, vcc
	global_load_ushort v132, v[132:133], off
	s_nop 0
	global_load_ushort v130, v[130:131], off
	s_waitcnt vmcnt(62)
	v_lshlrev_b32_e32 v133, 16, v137
	s_waitcnt vmcnt(60)
	v_lshlrev_b32_e32 v137, 16, v139
	;; [unrolled: 2-line block ×26, first 2 shown]
	v_lshlrev_b32_e32 v131, 16, v134
	v_lshlrev_b32_e32 v134, 16, v138
	;; [unrolled: 1-line block ×7, first 2 shown]
	s_waitcnt vmcnt(11)
	v_lshlrev_b32_e32 v194, 16, v195
	v_lshlrev_b32_e32 v155, 16, v157
	;; [unrolled: 1-line block ×10, first 2 shown]
	s_waitcnt vmcnt(8)
	v_lshlrev_b32_e32 v195, 16, v198
	v_lshlrev_b32_e32 v173, 16, v175
	;; [unrolled: 1-line block ×8, first 2 shown]
	s_waitcnt vmcnt(7)
	v_lshlrev_b32_e32 v198, 16, v199
	v_lshlrev_b32_e32 v188, 16, v189
	;; [unrolled: 1-line block ×6, first 2 shown]
	s_waitcnt vmcnt(6)
	v_lshlrev_b32_e32 v197, 16, v200
	v_mul_f32_e32 v131, v131, v133
	v_mul_f32_e32 v133, v134, v137
	s_waitcnt vmcnt(5)
	v_lshlrev_b32_e32 v200, 16, v201
	s_waitcnt vmcnt(4)
	v_lshlrev_b32_e32 v199, 16, v202
	v_mul_f32_e32 v134, v138, v139
	s_waitcnt vmcnt(3)
	v_lshlrev_b32_e32 v202, 16, v203
	ds_bpermute_b32 v203, v145, v2
	s_waitcnt vmcnt(2)
	v_lshlrev_b32_e32 v201, 16, v204
	ds_bpermute_b32 v204, v145, v2 offset:4
	s_waitcnt lgkmcnt(1)
	v_fmac_f32_e32 v146, v131, v203
	ds_bpermute_b32 v131, v145, v2 offset:8
	s_waitcnt lgkmcnt(1)
	v_fmac_f32_e32 v146, v133, v204
	ds_bpermute_b32 v133, v145, v2 offset:12
	s_waitcnt vmcnt(1)
	v_lshlrev_b32_e32 v132, 16, v132
	s_waitcnt vmcnt(0)
	v_lshlrev_b32_e32 v130, 16, v130
	s_waitcnt lgkmcnt(1)
	v_fmac_f32_e32 v146, v134, v131
	ds_bpermute_b32 v131, v145, v2 offset:16
	v_mul_f32_e32 v134, v147, v148
	s_waitcnt lgkmcnt(1)
	v_fmac_f32_e32 v146, v134, v133
	ds_bpermute_b32 v133, v145, v2 offset:20
	v_mul_f32_e32 v134, v149, v150
	;; [unrolled: 4-line block ×25, first 2 shown]
	s_waitcnt lgkmcnt(1)
	v_fmac_f32_e32 v146, v134, v133
	v_mul_f32_e32 v133, v198, v197
	ds_bpermute_b32 v134, v145, v2 offset:116
	s_waitcnt lgkmcnt(1)
	v_fmac_f32_e32 v146, v133, v131
	ds_bpermute_b32 v131, v145, v2 offset:120
	ds_bpermute_b32 v2, v145, v2 offset:124
	v_mul_f32_e32 v133, v200, v199
	s_waitcnt lgkmcnt(2)
	v_fmac_f32_e32 v146, v133, v134
	v_mul_f32_e32 v133, v202, v201
	s_waitcnt lgkmcnt(1)
	v_fmac_f32_e32 v146, v133, v131
	;; [unrolled: 3-line block ×3, first 2 shown]
	v_mov_b32_e32 v130, v146
.LBB189_225:                            ;   in Loop: Header=BB189_149 Depth=1
	v_add_co_u32_e32 v206, vcc, s24, v206
	v_mov_b32_e32 v2, s25
	v_addc_co_u32_e32 v209, vcc, v209, v2, vcc
	v_add_co_u32_e32 v210, vcc, s24, v210
	v_addc_co_u32_e32 v211, vcc, v211, v2, vcc
	v_add_co_u32_e32 v135, vcc, s7, v135
	;; [unrolled: 2-line block ×49, first 2 shown]
	buffer_load_dword v131, off, s[36:39], 0 ; 4-byte Folded Reload
	v_addc_co_u32_e32 v99, vcc, v99, v2, vcc
	v_add_co_u32_e32 v100, vcc, s24, v100
	v_addc_co_u32_e32 v101, vcc, v101, v2, vcc
	v_add_co_u32_e32 v102, vcc, s24, v102
	;; [unrolled: 2-line block ×39, first 2 shown]
	v_addc_co_u32_e32 v1, vcc, v1, v2, vcc
	s_waitcnt vmcnt(0)
	v_add_co_u32_e32 v131, vcc, s24, v131
	buffer_store_dword v131, off, s[36:39], 0 ; 4-byte Folded Spill
	buffer_load_dword v131, off, s[36:39], 0 offset:4 ; 4-byte Folded Reload
	s_add_u32 s16, s16, s7
	s_addc_u32 s17, s17, 0
	s_add_u32 s26, s26, s7
	s_addc_u32 s27, 0, s27
	s_waitcnt vmcnt(0)
	v_addc_co_u32_e32 v131, vcc, v131, v2, vcc
	buffer_store_dword v131, off, s[36:39], 0 offset:4 ; 4-byte Folded Spill
	buffer_load_dword v131, off, s[36:39], 0 offset:8 ; 4-byte Folded Reload
	s_waitcnt vmcnt(0)
	v_add_co_u32_e32 v131, vcc, s24, v131
	buffer_store_dword v131, off, s[36:39], 0 offset:8 ; 4-byte Folded Spill
	buffer_load_dword v131, off, s[36:39], 0 offset:12 ; 4-byte Folded Reload
	s_waitcnt vmcnt(0)
	v_addc_co_u32_e32 v131, vcc, v131, v2, vcc
	buffer_store_dword v131, off, s[36:39], 0 offset:12 ; 4-byte Folded Spill
	buffer_load_dword v131, off, s[36:39], 0 offset:16 ; 4-byte Folded Reload
	s_waitcnt vmcnt(0)
	v_add_co_u32_e32 v131, vcc, s24, v131
	buffer_store_dword v131, off, s[36:39], 0 offset:16 ; 4-byte Folded Spill
	buffer_load_dword v131, off, s[36:39], 0 offset:20 ; 4-byte Folded Reload
	;; [unrolled: 8-line block ×35, first 2 shown]
	s_waitcnt vmcnt(0)
	v_addc_co_u32_e32 v131, vcc, v131, v2, vcc
	v_add_co_u32_e32 v141, vcc, s24, v141
	v_addc_co_u32_e32 v142, vcc, v142, v2, vcc
	buffer_store_dword v131, off, s[36:39], 0 offset:284 ; 4-byte Folded Spill
	v_add_co_u32_e32 v143, vcc, s24, v143
	v_mov_b32_e32 v132, s13
	v_addc_co_u32_e32 v144, vcc, v144, v2, vcc
	v_mov_b32_e32 v131, s12
	v_cmp_ge_i64_e32 vcc, s[16:17], v[131:132]
	s_cbranch_vccnz .LBB189_227
; %bb.226:                              ;   in Loop: Header=BB189_149 Depth=1
	v_mov_b32_e32 v146, v130
	s_branch .LBB189_149
.LBB189_227:
	s_mov_b32 s7, 0
	s_lshl_b64 s[0:1], s[6:7], 6
	v_or_b32_e32 v3, s0, v0
	v_mov_b32_e32 v4, s1
	v_cmp_gt_i64_e32 vcc, s[14:15], v[3:4]
	s_waitcnt lgkmcnt(0)
	s_cmp_lg_u64 s[2:3], 0
	s_cselect_b64 s[0:1], -1, 0
	s_and_b64 s[0:1], vcc, s[0:1]
	s_and_saveexec_b64 s[6:7], s[0:1]
	s_cbranch_execz .LBB189_229
; %bb.228:
	s_load_dword s0, s[4:5], 0x4c
	v_mov_b32_e32 v208, 0
	v_mov_b32_e32 v0, s8
	v_bfe_u32 v2, v130, 16, 1
	v_mov_b32_e32 v7, 0x7fc0
	s_waitcnt lgkmcnt(0)
	s_lshr_b32 s0, s0, 16
	v_mad_u64_u32 v[0:1], s[0:1], s0, v0, v[207:208]
	s_movk_i32 s0, 0x7fff
	v_add3_u32 v2, v130, v2, s0
	v_mul_lo_u32 v5, v1, s14
	v_mul_lo_u32 v6, v0, s15
	v_mad_u64_u32 v[0:1], s[0:1], v0, s14, 0
	v_lshrrev_b32_e32 v2, 16, v2
	v_cmp_o_f32_e32 vcc, v130, v130
	v_add3_u32 v1, v1, v6, v5
	v_lshlrev_b64 v[0:1], 1, v[0:1]
	v_cndmask_b32_e32 v2, v7, v2, vcc
	v_mov_b32_e32 v5, s3
	v_add_co_u32_e32 v6, vcc, s2, v0
	v_addc_co_u32_e32 v5, vcc, v5, v1, vcc
	v_lshlrev_b64 v[0:1], 1, v[3:4]
	v_add_co_u32_e32 v0, vcc, v6, v0
	v_addc_co_u32_e32 v1, vcc, v5, v1, vcc
	global_store_short v[0:1], v2, off
.LBB189_229:
	s_endpgm
	.section	.rodata,"a",@progbits
	.p2align	6, 0x0
	.amdhsa_kernel _ZN2at6native12_GLOBAL__N_135GammaBetaBackwardCUDAKernelTemplateIN3c108BFloat16EfLj64ELj1ELj32ELb1ELb0ELb1EEEvllPKT_S7_PKT0_SA_PS5_SB_
		.amdhsa_group_segment_fixed_size 0
		.amdhsa_private_segment_fixed_size 304
		.amdhsa_kernarg_size 320
		.amdhsa_user_sgpr_count 6
		.amdhsa_user_sgpr_private_segment_buffer 1
		.amdhsa_user_sgpr_dispatch_ptr 0
		.amdhsa_user_sgpr_queue_ptr 0
		.amdhsa_user_sgpr_kernarg_segment_ptr 1
		.amdhsa_user_sgpr_dispatch_id 0
		.amdhsa_user_sgpr_flat_scratch_init 0
		.amdhsa_user_sgpr_private_segment_size 0
		.amdhsa_uses_dynamic_stack 0
		.amdhsa_system_sgpr_private_segment_wavefront_offset 1
		.amdhsa_system_sgpr_workgroup_id_x 1
		.amdhsa_system_sgpr_workgroup_id_y 1
		.amdhsa_system_sgpr_workgroup_id_z 0
		.amdhsa_system_sgpr_workgroup_info 0
		.amdhsa_system_vgpr_workitem_id 1
		.amdhsa_next_free_vgpr 256
		.amdhsa_next_free_sgpr 40
		.amdhsa_reserve_vcc 1
		.amdhsa_reserve_flat_scratch 0
		.amdhsa_float_round_mode_32 0
		.amdhsa_float_round_mode_16_64 0
		.amdhsa_float_denorm_mode_32 3
		.amdhsa_float_denorm_mode_16_64 3
		.amdhsa_dx10_clamp 1
		.amdhsa_ieee_mode 1
		.amdhsa_fp16_overflow 0
		.amdhsa_exception_fp_ieee_invalid_op 0
		.amdhsa_exception_fp_denorm_src 0
		.amdhsa_exception_fp_ieee_div_zero 0
		.amdhsa_exception_fp_ieee_overflow 0
		.amdhsa_exception_fp_ieee_underflow 0
		.amdhsa_exception_fp_ieee_inexact 0
		.amdhsa_exception_int_div_zero 0
	.end_amdhsa_kernel
	.section	.text._ZN2at6native12_GLOBAL__N_135GammaBetaBackwardCUDAKernelTemplateIN3c108BFloat16EfLj64ELj1ELj32ELb1ELb0ELb1EEEvllPKT_S7_PKT0_SA_PS5_SB_,"axG",@progbits,_ZN2at6native12_GLOBAL__N_135GammaBetaBackwardCUDAKernelTemplateIN3c108BFloat16EfLj64ELj1ELj32ELb1ELb0ELb1EEEvllPKT_S7_PKT0_SA_PS5_SB_,comdat
.Lfunc_end189:
	.size	_ZN2at6native12_GLOBAL__N_135GammaBetaBackwardCUDAKernelTemplateIN3c108BFloat16EfLj64ELj1ELj32ELb1ELb0ELb1EEEvllPKT_S7_PKT0_SA_PS5_SB_, .Lfunc_end189-_ZN2at6native12_GLOBAL__N_135GammaBetaBackwardCUDAKernelTemplateIN3c108BFloat16EfLj64ELj1ELj32ELb1ELb0ELb1EEEvllPKT_S7_PKT0_SA_PS5_SB_
                                        ; -- End function
	.set _ZN2at6native12_GLOBAL__N_135GammaBetaBackwardCUDAKernelTemplateIN3c108BFloat16EfLj64ELj1ELj32ELb1ELb0ELb1EEEvllPKT_S7_PKT0_SA_PS5_SB_.num_vgpr, 256
	.set _ZN2at6native12_GLOBAL__N_135GammaBetaBackwardCUDAKernelTemplateIN3c108BFloat16EfLj64ELj1ELj32ELb1ELb0ELb1EEEvllPKT_S7_PKT0_SA_PS5_SB_.num_agpr, 0
	.set _ZN2at6native12_GLOBAL__N_135GammaBetaBackwardCUDAKernelTemplateIN3c108BFloat16EfLj64ELj1ELj32ELb1ELb0ELb1EEEvllPKT_S7_PKT0_SA_PS5_SB_.numbered_sgpr, 40
	.set _ZN2at6native12_GLOBAL__N_135GammaBetaBackwardCUDAKernelTemplateIN3c108BFloat16EfLj64ELj1ELj32ELb1ELb0ELb1EEEvllPKT_S7_PKT0_SA_PS5_SB_.num_named_barrier, 0
	.set _ZN2at6native12_GLOBAL__N_135GammaBetaBackwardCUDAKernelTemplateIN3c108BFloat16EfLj64ELj1ELj32ELb1ELb0ELb1EEEvllPKT_S7_PKT0_SA_PS5_SB_.private_seg_size, 304
	.set _ZN2at6native12_GLOBAL__N_135GammaBetaBackwardCUDAKernelTemplateIN3c108BFloat16EfLj64ELj1ELj32ELb1ELb0ELb1EEEvllPKT_S7_PKT0_SA_PS5_SB_.uses_vcc, 1
	.set _ZN2at6native12_GLOBAL__N_135GammaBetaBackwardCUDAKernelTemplateIN3c108BFloat16EfLj64ELj1ELj32ELb1ELb0ELb1EEEvllPKT_S7_PKT0_SA_PS5_SB_.uses_flat_scratch, 0
	.set _ZN2at6native12_GLOBAL__N_135GammaBetaBackwardCUDAKernelTemplateIN3c108BFloat16EfLj64ELj1ELj32ELb1ELb0ELb1EEEvllPKT_S7_PKT0_SA_PS5_SB_.has_dyn_sized_stack, 0
	.set _ZN2at6native12_GLOBAL__N_135GammaBetaBackwardCUDAKernelTemplateIN3c108BFloat16EfLj64ELj1ELj32ELb1ELb0ELb1EEEvllPKT_S7_PKT0_SA_PS5_SB_.has_recursion, 0
	.set _ZN2at6native12_GLOBAL__N_135GammaBetaBackwardCUDAKernelTemplateIN3c108BFloat16EfLj64ELj1ELj32ELb1ELb0ELb1EEEvllPKT_S7_PKT0_SA_PS5_SB_.has_indirect_call, 0
	.section	.AMDGPU.csdata,"",@progbits
; Kernel info:
; codeLenInByte = 24276
; TotalNumSgprs: 44
; NumVgprs: 256
; ScratchSize: 304
; MemoryBound: 0
; FloatMode: 240
; IeeeMode: 1
; LDSByteSize: 0 bytes/workgroup (compile time only)
; SGPRBlocks: 5
; VGPRBlocks: 63
; NumSGPRsForWavesPerEU: 44
; NumVGPRsForWavesPerEU: 256
; Occupancy: 1
; WaveLimiterHint : 0
; COMPUTE_PGM_RSRC2:SCRATCH_EN: 1
; COMPUTE_PGM_RSRC2:USER_SGPR: 6
; COMPUTE_PGM_RSRC2:TRAP_HANDLER: 0
; COMPUTE_PGM_RSRC2:TGID_X_EN: 1
; COMPUTE_PGM_RSRC2:TGID_Y_EN: 1
; COMPUTE_PGM_RSRC2:TGID_Z_EN: 0
; COMPUTE_PGM_RSRC2:TIDIG_COMP_CNT: 1
	.section	.text._ZN2at6native12_GLOBAL__N_135GammaBetaBackwardCUDAKernelTemplateIN3c108BFloat16EfLj64ELj1ELj8ELb1ELb1ELb1EEEvllPKT_S7_PKT0_SA_PS5_SB_,"axG",@progbits,_ZN2at6native12_GLOBAL__N_135GammaBetaBackwardCUDAKernelTemplateIN3c108BFloat16EfLj64ELj1ELj8ELb1ELb1ELb1EEEvllPKT_S7_PKT0_SA_PS5_SB_,comdat
	.globl	_ZN2at6native12_GLOBAL__N_135GammaBetaBackwardCUDAKernelTemplateIN3c108BFloat16EfLj64ELj1ELj8ELb1ELb1ELb1EEEvllPKT_S7_PKT0_SA_PS5_SB_ ; -- Begin function _ZN2at6native12_GLOBAL__N_135GammaBetaBackwardCUDAKernelTemplateIN3c108BFloat16EfLj64ELj1ELj8ELb1ELb1ELb1EEEvllPKT_S7_PKT0_SA_PS5_SB_
	.p2align	8
	.type	_ZN2at6native12_GLOBAL__N_135GammaBetaBackwardCUDAKernelTemplateIN3c108BFloat16EfLj64ELj1ELj8ELb1ELb1ELb1EEEvllPKT_S7_PKT0_SA_PS5_SB_,@function
_ZN2at6native12_GLOBAL__N_135GammaBetaBackwardCUDAKernelTemplateIN3c108BFloat16EfLj64ELj1ELj8ELb1ELb1ELb1EEEvllPKT_S7_PKT0_SA_PS5_SB_: ; @_ZN2at6native12_GLOBAL__N_135GammaBetaBackwardCUDAKernelTemplateIN3c108BFloat16EfLj64ELj1ELj8ELb1ELb1ELb1EEEvllPKT_S7_PKT0_SA_PS5_SB_
; %bb.0:
	s_load_dwordx4 s[12:15], s[4:5], 0x0
	s_load_dwordx2 s[10:11], s[4:5], 0x30
	s_lshl_b32 s20, s7, 3
	s_mov_b32 s21, 0
	v_mov_b32_e32 v2, s20
	v_mov_b32_e32 v3, s21
	s_waitcnt lgkmcnt(0)
	v_cmp_le_i64_e32 vcc, s[12:13], v[2:3]
	s_mov_b32 s2, s7
	v_mov_b32_e32 v3, 0
	s_cbranch_vccnz .LBB190_7
; %bb.1:
	s_load_dword s0, s[4:5], 0x4c
	s_load_dword s3, s[4:5], 0x44
	s_load_dwordx4 s[16:19], s[4:5], 0x10
	s_load_dwordx2 s[8:9], s[4:5], 0x28
	v_lshlrev_b32_e32 v4, 3, v1
	s_waitcnt lgkmcnt(0)
	s_and_b32 s0, s0, 0xffff
	v_mad_u32_u24 v2, v1, s0, v0
	v_and_b32_e32 v5, 63, v2
	v_add_co_u32_e32 v9, vcc, s20, v4
	v_mbcnt_lo_u32_b32 v6, -1, 0
	v_addc_co_u32_e64 v10, s[22:23], 0, 0, vcc
	v_add_co_u32_e32 v4, vcc, v9, v5
	v_cmp_gt_u32_e64 s[0:1], 8, v5
	v_mbcnt_hi_u32_b32 v6, -1, v6
	v_addc_co_u32_e32 v5, vcc, 0, v10, vcc
	v_mul_lo_u32 v13, s15, v9
	v_mul_lo_u32 v14, s14, v10
	v_mad_u64_u32 v[10:11], s[22:23], s14, v9, 0
	v_lshlrev_b32_e32 v6, 2, v6
	v_and_b32_e32 v8, 0x100, v6
	v_lshlrev_b64 v[6:7], 2, v[4:5]
	v_mov_b32_e32 v3, 0
	v_lshl_or_b32 v2, s6, 6, v0
	v_mov_b32_e32 v12, s9
	v_add_co_u32_e32 v6, vcc, s8, v6
	v_add3_u32 v11, v11, v14, v13
	v_addc_co_u32_e32 v7, vcc, v12, v7, vcc
	v_lshlrev_b64 v[10:11], 1, v[10:11]
	v_lshlrev_b64 v[12:13], 1, v[2:3]
	s_lshl_b32 s22, s3, 3
	s_mul_i32 s3, s15, s22
	s_mul_hi_u32 s7, s14, s22
	v_add_co_u32_e32 v2, vcc, v10, v12
	s_mov_b32 s23, s21
	s_add_i32 s9, s7, s3
	s_mul_i32 s8, s14, s22
	v_or_b32_e32 v9, 20, v8
	v_addc_co_u32_e32 v10, vcc, v11, v13, vcc
	v_or_b32_e32 v11, 24, v8
	v_or_b32_e32 v12, 28, v8
	s_lshl_b64 s[24:25], s[22:23], 2
	s_lshl_b64 s[26:27], s[8:9], 1
	;; [unrolled: 1-line block ×3, first 2 shown]
	s_branch .LBB190_4
.LBB190_2:                              ;   in Loop: Header=BB190_4 Depth=1
	s_or_b64 exec, exec, s[30:31]
.LBB190_3:                              ;   in Loop: Header=BB190_4 Depth=1
	s_or_b64 exec, exec, s[8:9]
	v_mov_b32_e32 v15, s17
	v_add_co_u32_e32 v14, vcc, s16, v2
	v_addc_co_u32_e32 v15, vcc, v15, v10, vcc
	v_mov_b32_e32 v17, s19
	v_add_co_u32_e32 v16, vcc, s18, v2
	v_addc_co_u32_e32 v17, vcc, v17, v10, vcc
	;; [unrolled: 3-line block ×3, first 2 shown]
	global_load_ushort v21, v[16:17], off
	v_add_co_u32_e32 v16, vcc, s28, v14
	global_load_ushort v14, v[14:15], off
	v_addc_co_u32_e32 v17, vcc, v15, v20, vcc
	s_add_u32 s20, s20, s22
	s_addc_u32 s21, s21, 0
	v_add_co_u32_e64 v6, s[8:9], s24, v6
	s_waitcnt vmcnt(1)
	v_lshlrev_b32_e32 v15, 16, v21
	global_load_ushort v21, v[18:19], off
	s_waitcnt vmcnt(1)
	v_lshlrev_b32_e32 v14, 16, v14
	v_mul_f32_e32 v14, v14, v15
	ds_bpermute_b32 v15, v8, v13
	s_waitcnt lgkmcnt(0)
	v_fmac_f32_e32 v3, v14, v15
	v_add_co_u32_e32 v14, vcc, s28, v18
	v_addc_co_u32_e32 v15, vcc, v19, v20, vcc
	v_add_co_u32_e32 v18, vcc, s28, v16
	global_load_ushort v16, v[16:17], off
	v_addc_co_u32_e32 v19, vcc, v17, v20, vcc
	s_waitcnt vmcnt(1)
	v_lshlrev_b32_e32 v17, 16, v21
	global_load_ushort v21, v[14:15], off
	s_waitcnt vmcnt(1)
	v_lshlrev_b32_e32 v16, 16, v16
	v_mul_f32_e32 v16, v16, v17
	v_or_b32_e32 v17, 4, v8
	ds_bpermute_b32 v17, v17, v13
	s_waitcnt lgkmcnt(0)
	v_fmac_f32_e32 v3, v16, v17
	v_add_co_u32_e32 v16, vcc, s28, v14
	v_addc_co_u32_e32 v17, vcc, v15, v20, vcc
	v_add_co_u32_e32 v14, vcc, s28, v18
	global_load_ushort v18, v[18:19], off
	v_addc_co_u32_e32 v15, vcc, v19, v20, vcc
	s_waitcnt vmcnt(1)
	v_lshlrev_b32_e32 v19, 16, v21
	global_load_ushort v21, v[16:17], off
	s_waitcnt vmcnt(1)
	v_lshlrev_b32_e32 v18, 16, v18
	v_mul_f32_e32 v18, v18, v19
	v_or_b32_e32 v19, 8, v8
	;; [unrolled: 15-line block ×3, first 2 shown]
	ds_bpermute_b32 v15, v15, v13
	s_waitcnt lgkmcnt(0)
	v_fmac_f32_e32 v3, v14, v15
	v_add_co_u32_e32 v14, vcc, s28, v18
	v_addc_co_u32_e32 v15, vcc, v19, v20, vcc
	v_add_co_u32_e32 v18, vcc, s28, v16
	global_load_ushort v16, v[16:17], off
	v_addc_co_u32_e32 v19, vcc, v17, v20, vcc
	global_load_ushort v22, v[18:19], off
	s_waitcnt vmcnt(2)
	v_lshlrev_b32_e32 v17, 16, v21
	global_load_ushort v21, v[14:15], off
	s_waitcnt vmcnt(2)
	v_lshlrev_b32_e32 v16, 16, v16
	v_mul_f32_e32 v16, v16, v17
	v_or_b32_e32 v17, 16, v8
	ds_bpermute_b32 v17, v17, v13
	s_waitcnt lgkmcnt(0)
	v_fmac_f32_e32 v3, v16, v17
	v_add_co_u32_e32 v16, vcc, s28, v14
	v_addc_co_u32_e32 v17, vcc, v15, v20, vcc
	global_load_ushort v23, v[16:17], off
	v_add_co_u32_e32 v14, vcc, s28, v18
	v_addc_co_u32_e32 v15, vcc, v19, v20, vcc
	v_add_co_u32_e32 v18, vcc, s28, v16
	v_addc_co_u32_e32 v19, vcc, v17, v20, vcc
	;; [unrolled: 2-line block ×3, first 2 shown]
	global_load_ushort v14, v[14:15], off
	s_nop 0
	global_load_ushort v15, v[18:19], off
	global_load_ushort v20, v[16:17], off
	ds_bpermute_b32 v16, v9, v13
	s_waitcnt vmcnt(4)
	v_lshlrev_b32_e32 v17, 16, v21
	v_lshlrev_b32_e32 v18, 16, v22
	v_mul_f32_e32 v17, v18, v17
	s_waitcnt lgkmcnt(0)
	v_fmac_f32_e32 v3, v17, v16
	ds_bpermute_b32 v16, v11, v13
	ds_bpermute_b32 v13, v12, v13
	s_waitcnt vmcnt(3)
	v_lshlrev_b32_e32 v17, 16, v23
	s_waitcnt vmcnt(2)
	v_lshlrev_b32_e32 v14, 16, v14
	v_mul_f32_e32 v14, v14, v17
	s_waitcnt lgkmcnt(1)
	v_fmac_f32_e32 v3, v14, v16
	s_waitcnt vmcnt(1)
	v_lshlrev_b32_e32 v14, 16, v15
	s_waitcnt vmcnt(0)
	v_lshlrev_b32_e32 v15, 16, v20
	v_mul_f32_e32 v14, v15, v14
	s_waitcnt lgkmcnt(0)
	v_fmac_f32_e32 v3, v14, v13
	v_mov_b32_e32 v14, s13
	v_mov_b32_e32 v13, s12
	v_cmp_lt_i64_e32 vcc, s[20:21], v[13:14]
	v_mov_b32_e32 v13, s25
	v_addc_co_u32_e64 v7, s[8:9], v7, v13, s[8:9]
	v_mov_b32_e32 v13, s27
	v_add_co_u32_e64 v2, s[8:9], s26, v2
	v_addc_co_u32_e64 v10, s[8:9], v10, v13, s[8:9]
	v_add_co_u32_e64 v4, s[8:9], s22, v4
	v_addc_co_u32_e64 v5, s[8:9], 0, v5, s[8:9]
	s_cbranch_vccz .LBB190_7
.LBB190_4:                              ; =>This Inner Loop Header: Depth=1
	v_mov_b32_e32 v13, 0
	s_and_saveexec_b64 s[8:9], s[0:1]
	s_cbranch_execz .LBB190_3
; %bb.5:                                ;   in Loop: Header=BB190_4 Depth=1
	v_cmp_gt_i64_e32 vcc, s[12:13], v[4:5]
	v_mov_b32_e32 v13, 0
	s_and_saveexec_b64 s[30:31], vcc
	s_cbranch_execz .LBB190_2
; %bb.6:                                ;   in Loop: Header=BB190_4 Depth=1
	global_load_dword v13, v[6:7], off
	s_branch .LBB190_2
.LBB190_7:
	s_cmp_eq_u64 s[10:11], 0
	s_cbranch_scc1 .LBB190_9
; %bb.8:
	s_load_dword s0, s[4:5], 0x4c
	v_mov_b32_e32 v2, 0
	v_mov_b32_e32 v4, s2
	;; [unrolled: 1-line block ×3, first 2 shown]
	v_cmp_o_f32_e32 vcc, v3, v3
	s_waitcnt lgkmcnt(0)
	s_lshr_b32 s0, s0, 16
	v_mad_u64_u32 v[1:2], s[0:1], s0, v4, v[1:2]
	v_bfe_u32 v4, v3, 16, 1
	s_movk_i32 s0, 0x7fff
	v_add3_u32 v4, v3, v4, s0
	v_mul_lo_u32 v5, v2, s14
	v_mul_lo_u32 v6, v1, s15
	v_mad_u64_u32 v[1:2], s[0:1], v1, s14, 0
	v_lshrrev_b32_e32 v4, 16, v4
	s_mov_b32 s7, 0
	v_add3_u32 v2, v2, v6, v5
	v_lshlrev_b64 v[1:2], 1, v[1:2]
	v_cndmask_b32_e32 v3, v7, v4, vcc
	v_mov_b32_e32 v4, s11
	v_add_co_u32_e32 v1, vcc, s10, v1
	v_addc_co_u32_e32 v2, vcc, v4, v2, vcc
	s_lshl_b64 s[0:1], s[6:7], 7
	v_mov_b32_e32 v4, s1
	v_add_co_u32_e32 v1, vcc, s0, v1
	v_addc_co_u32_e32 v2, vcc, v2, v4, vcc
	v_lshlrev_b32_e32 v0, 1, v0
	v_add_co_u32_e32 v0, vcc, v1, v0
	v_addc_co_u32_e32 v1, vcc, 0, v2, vcc
	global_store_short v[0:1], v3, off
.LBB190_9:
	s_endpgm
	.section	.rodata,"a",@progbits
	.p2align	6, 0x0
	.amdhsa_kernel _ZN2at6native12_GLOBAL__N_135GammaBetaBackwardCUDAKernelTemplateIN3c108BFloat16EfLj64ELj1ELj8ELb1ELb1ELb1EEEvllPKT_S7_PKT0_SA_PS5_SB_
		.amdhsa_group_segment_fixed_size 0
		.amdhsa_private_segment_fixed_size 0
		.amdhsa_kernarg_size 320
		.amdhsa_user_sgpr_count 6
		.amdhsa_user_sgpr_private_segment_buffer 1
		.amdhsa_user_sgpr_dispatch_ptr 0
		.amdhsa_user_sgpr_queue_ptr 0
		.amdhsa_user_sgpr_kernarg_segment_ptr 1
		.amdhsa_user_sgpr_dispatch_id 0
		.amdhsa_user_sgpr_flat_scratch_init 0
		.amdhsa_user_sgpr_private_segment_size 0
		.amdhsa_uses_dynamic_stack 0
		.amdhsa_system_sgpr_private_segment_wavefront_offset 0
		.amdhsa_system_sgpr_workgroup_id_x 1
		.amdhsa_system_sgpr_workgroup_id_y 1
		.amdhsa_system_sgpr_workgroup_id_z 0
		.amdhsa_system_sgpr_workgroup_info 0
		.amdhsa_system_vgpr_workitem_id 1
		.amdhsa_next_free_vgpr 24
		.amdhsa_next_free_sgpr 32
		.amdhsa_reserve_vcc 1
		.amdhsa_reserve_flat_scratch 0
		.amdhsa_float_round_mode_32 0
		.amdhsa_float_round_mode_16_64 0
		.amdhsa_float_denorm_mode_32 3
		.amdhsa_float_denorm_mode_16_64 3
		.amdhsa_dx10_clamp 1
		.amdhsa_ieee_mode 1
		.amdhsa_fp16_overflow 0
		.amdhsa_exception_fp_ieee_invalid_op 0
		.amdhsa_exception_fp_denorm_src 0
		.amdhsa_exception_fp_ieee_div_zero 0
		.amdhsa_exception_fp_ieee_overflow 0
		.amdhsa_exception_fp_ieee_underflow 0
		.amdhsa_exception_fp_ieee_inexact 0
		.amdhsa_exception_int_div_zero 0
	.end_amdhsa_kernel
	.section	.text._ZN2at6native12_GLOBAL__N_135GammaBetaBackwardCUDAKernelTemplateIN3c108BFloat16EfLj64ELj1ELj8ELb1ELb1ELb1EEEvllPKT_S7_PKT0_SA_PS5_SB_,"axG",@progbits,_ZN2at6native12_GLOBAL__N_135GammaBetaBackwardCUDAKernelTemplateIN3c108BFloat16EfLj64ELj1ELj8ELb1ELb1ELb1EEEvllPKT_S7_PKT0_SA_PS5_SB_,comdat
.Lfunc_end190:
	.size	_ZN2at6native12_GLOBAL__N_135GammaBetaBackwardCUDAKernelTemplateIN3c108BFloat16EfLj64ELj1ELj8ELb1ELb1ELb1EEEvllPKT_S7_PKT0_SA_PS5_SB_, .Lfunc_end190-_ZN2at6native12_GLOBAL__N_135GammaBetaBackwardCUDAKernelTemplateIN3c108BFloat16EfLj64ELj1ELj8ELb1ELb1ELb1EEEvllPKT_S7_PKT0_SA_PS5_SB_
                                        ; -- End function
	.set _ZN2at6native12_GLOBAL__N_135GammaBetaBackwardCUDAKernelTemplateIN3c108BFloat16EfLj64ELj1ELj8ELb1ELb1ELb1EEEvllPKT_S7_PKT0_SA_PS5_SB_.num_vgpr, 24
	.set _ZN2at6native12_GLOBAL__N_135GammaBetaBackwardCUDAKernelTemplateIN3c108BFloat16EfLj64ELj1ELj8ELb1ELb1ELb1EEEvllPKT_S7_PKT0_SA_PS5_SB_.num_agpr, 0
	.set _ZN2at6native12_GLOBAL__N_135GammaBetaBackwardCUDAKernelTemplateIN3c108BFloat16EfLj64ELj1ELj8ELb1ELb1ELb1EEEvllPKT_S7_PKT0_SA_PS5_SB_.numbered_sgpr, 32
	.set _ZN2at6native12_GLOBAL__N_135GammaBetaBackwardCUDAKernelTemplateIN3c108BFloat16EfLj64ELj1ELj8ELb1ELb1ELb1EEEvllPKT_S7_PKT0_SA_PS5_SB_.num_named_barrier, 0
	.set _ZN2at6native12_GLOBAL__N_135GammaBetaBackwardCUDAKernelTemplateIN3c108BFloat16EfLj64ELj1ELj8ELb1ELb1ELb1EEEvllPKT_S7_PKT0_SA_PS5_SB_.private_seg_size, 0
	.set _ZN2at6native12_GLOBAL__N_135GammaBetaBackwardCUDAKernelTemplateIN3c108BFloat16EfLj64ELj1ELj8ELb1ELb1ELb1EEEvllPKT_S7_PKT0_SA_PS5_SB_.uses_vcc, 1
	.set _ZN2at6native12_GLOBAL__N_135GammaBetaBackwardCUDAKernelTemplateIN3c108BFloat16EfLj64ELj1ELj8ELb1ELb1ELb1EEEvllPKT_S7_PKT0_SA_PS5_SB_.uses_flat_scratch, 0
	.set _ZN2at6native12_GLOBAL__N_135GammaBetaBackwardCUDAKernelTemplateIN3c108BFloat16EfLj64ELj1ELj8ELb1ELb1ELb1EEEvllPKT_S7_PKT0_SA_PS5_SB_.has_dyn_sized_stack, 0
	.set _ZN2at6native12_GLOBAL__N_135GammaBetaBackwardCUDAKernelTemplateIN3c108BFloat16EfLj64ELj1ELj8ELb1ELb1ELb1EEEvllPKT_S7_PKT0_SA_PS5_SB_.has_recursion, 0
	.set _ZN2at6native12_GLOBAL__N_135GammaBetaBackwardCUDAKernelTemplateIN3c108BFloat16EfLj64ELj1ELj8ELb1ELb1ELb1EEEvllPKT_S7_PKT0_SA_PS5_SB_.has_indirect_call, 0
	.section	.AMDGPU.csdata,"",@progbits
; Kernel info:
; codeLenInByte = 1184
; TotalNumSgprs: 36
; NumVgprs: 24
; ScratchSize: 0
; MemoryBound: 0
; FloatMode: 240
; IeeeMode: 1
; LDSByteSize: 0 bytes/workgroup (compile time only)
; SGPRBlocks: 4
; VGPRBlocks: 5
; NumSGPRsForWavesPerEU: 36
; NumVGPRsForWavesPerEU: 24
; Occupancy: 10
; WaveLimiterHint : 0
; COMPUTE_PGM_RSRC2:SCRATCH_EN: 0
; COMPUTE_PGM_RSRC2:USER_SGPR: 6
; COMPUTE_PGM_RSRC2:TRAP_HANDLER: 0
; COMPUTE_PGM_RSRC2:TGID_X_EN: 1
; COMPUTE_PGM_RSRC2:TGID_Y_EN: 1
; COMPUTE_PGM_RSRC2:TGID_Z_EN: 0
; COMPUTE_PGM_RSRC2:TIDIG_COMP_CNT: 1
	.section	.text._ZN2at6native12_GLOBAL__N_135GammaBetaBackwardCUDAKernelTemplateIN3c108BFloat16EfLj64ELj1ELj8ELb1ELb0ELb1EEEvllPKT_S7_PKT0_SA_PS5_SB_,"axG",@progbits,_ZN2at6native12_GLOBAL__N_135GammaBetaBackwardCUDAKernelTemplateIN3c108BFloat16EfLj64ELj1ELj8ELb1ELb0ELb1EEEvllPKT_S7_PKT0_SA_PS5_SB_,comdat
	.globl	_ZN2at6native12_GLOBAL__N_135GammaBetaBackwardCUDAKernelTemplateIN3c108BFloat16EfLj64ELj1ELj8ELb1ELb0ELb1EEEvllPKT_S7_PKT0_SA_PS5_SB_ ; -- Begin function _ZN2at6native12_GLOBAL__N_135GammaBetaBackwardCUDAKernelTemplateIN3c108BFloat16EfLj64ELj1ELj8ELb1ELb0ELb1EEEvllPKT_S7_PKT0_SA_PS5_SB_
	.p2align	8
	.type	_ZN2at6native12_GLOBAL__N_135GammaBetaBackwardCUDAKernelTemplateIN3c108BFloat16EfLj64ELj1ELj8ELb1ELb0ELb1EEEvllPKT_S7_PKT0_SA_PS5_SB_,@function
_ZN2at6native12_GLOBAL__N_135GammaBetaBackwardCUDAKernelTemplateIN3c108BFloat16EfLj64ELj1ELj8ELb1ELb0ELb1EEEvllPKT_S7_PKT0_SA_PS5_SB_: ; @_ZN2at6native12_GLOBAL__N_135GammaBetaBackwardCUDAKernelTemplateIN3c108BFloat16EfLj64ELj1ELj8ELb1ELb0ELb1EEEvllPKT_S7_PKT0_SA_PS5_SB_
; %bb.0:
	s_mov_b32 s8, s7
	s_load_dwordx8 s[12:19], s[4:5], 0x0
	s_load_dwordx2 s[20:21], s[4:5], 0x28
	s_lshl_b32 s22, s8, 3
	s_lshl_b32 s7, s6, 6
	s_mov_b32 s23, 0
	v_mov_b32_e32 v2, s22
	s_or_b32 s0, s7, 63
	v_mov_b32_e32 v3, s23
	v_mov_b32_e32 v48, s0
	;; [unrolled: 1-line block ×3, first 2 shown]
	s_waitcnt lgkmcnt(0)
	v_cmp_gt_i64_e64 s[0:1], s[12:13], v[2:3]
	v_cmp_le_i64_e32 vcc, s[14:15], v[48:49]
	v_cndmask_b32_e64 v2, 0, 1, s[0:1]
	v_cmp_ne_u32_e64 s[0:1], 1, v2
	s_cbranch_vccz .LBB191_49
; %bb.1:
	s_and_b64 vcc, exec, s[0:1]
	s_cbranch_vccnz .LBB191_50
; %bb.2:
	v_lshlrev_b32_e32 v23, 3, v1
	v_add_co_u32_e32 v9, vcc, s22, v23
	v_addc_co_u32_e64 v10, s[2:3], 0, 0, vcc
	v_mul_lo_u32 v7, s15, v9
	v_mul_lo_u32 v8, s14, v10
	v_mad_u64_u32 v[5:6], s[2:3], s14, v9, 0
	v_mov_b32_e32 v2, 0
	s_load_dword s9, s[4:5], 0x44
	v_add_u32_e32 v3, s7, v0
	v_mov_b32_e32 v4, v2
	v_add3_u32 v6, v6, v8, v7
	v_cmp_gt_i64_e64 s[2:3], s[14:15], v[3:4]
	v_lshlrev_b64 v[19:20], 1, v[3:4]
	v_lshlrev_b64 v[3:4], 1, v[5:6]
	s_add_u32 s24, s4, 64
	v_mov_b32_e32 v7, s17
	v_add_co_u32_e32 v25, vcc, s16, v3
	s_addc_u32 s25, s5, 0
	s_waitcnt lgkmcnt(0)
	s_lshl_b32 s9, s9, 3
	v_addc_co_u32_e32 v26, vcc, v7, v4, vcc
	s_mul_i32 s10, s15, s9
	s_mul_hi_u32 s11, s14, s9
	v_add_co_u32_e32 v7, vcc, 7, v9
	s_add_i32 s11, s11, s10
	s_mul_i32 s10, s14, s9
	v_addc_co_u32_e32 v8, vcc, 0, v10, vcc
	s_lshl_b64 s[26:27], s[10:11], 1
	v_mul_lo_u32 v12, s15, v7
	v_mul_lo_u32 v13, s14, v8
	v_mad_u64_u32 v[7:8], s[10:11], s14, v7, 0
	v_mov_b32_e32 v11, s19
	v_add_co_u32_e32 v27, vcc, s18, v3
	v_add3_u32 v8, v8, v13, v12
	v_addc_co_u32_e32 v28, vcc, v11, v4, vcc
	v_lshlrev_b64 v[3:4], 1, v[7:8]
	v_mov_b32_e32 v7, s17
	v_add_co_u32_e32 v29, vcc, s16, v3
	v_addc_co_u32_e32 v30, vcc, v7, v4, vcc
	v_add_co_u32_e32 v7, vcc, 6, v9
	v_addc_co_u32_e32 v8, vcc, 0, v10, vcc
	v_mul_lo_u32 v12, s15, v7
	v_mul_lo_u32 v13, s14, v8
	v_mad_u64_u32 v[7:8], s[10:11], s14, v7, 0
	v_add_co_u32_e32 v31, vcc, s18, v3
	v_add3_u32 v8, v8, v13, v12
	v_addc_co_u32_e32 v32, vcc, v11, v4, vcc
	v_lshlrev_b64 v[3:4], 1, v[7:8]
	v_mov_b32_e32 v7, s17
	v_add_co_u32_e32 v33, vcc, s16, v3
	v_addc_co_u32_e32 v34, vcc, v7, v4, vcc
	v_add_co_u32_e32 v7, vcc, 5, v9
	v_addc_co_u32_e32 v8, vcc, 0, v10, vcc
	v_mul_lo_u32 v12, s15, v7
	v_mul_lo_u32 v13, s14, v8
	v_mad_u64_u32 v[7:8], s[10:11], s14, v7, 0
	;; [unrolled: 12-line block ×5, first 2 shown]
	v_add_co_u32_e32 v47, vcc, s18, v3
	v_add3_u32 v8, v8, v10, v9
	v_addc_co_u32_e32 v48, vcc, v11, v4, vcc
	v_lshlrev_b64 v[3:4], 1, v[7:8]
	v_mov_b32_e32 v7, s17
	v_add_co_u32_e32 v50, vcc, s16, v3
	v_addc_co_u32_e32 v51, vcc, v7, v4, vcc
	v_mov_b32_e32 v7, s19
	v_add_co_u32_e32 v52, vcc, s18, v3
	v_addc_co_u32_e32 v53, vcc, v7, v4, vcc
	;; [unrolled: 3-line block ×3, first 2 shown]
	v_lshlrev_b64 v[3:4], 1, v[3:4]
	v_mov_b32_e32 v5, s17
	v_add_co_u32_e32 v54, vcc, s16, v3
	v_addc_co_u32_e32 v55, vcc, v5, v4, vcc
	v_add_co_u32_e32 v56, vcc, s18, v3
	v_mbcnt_lo_u32_b32 v3, -1, 0
	v_mbcnt_hi_u32_b32 v3, -1, v3
	v_mov_b32_e32 v5, s19
	v_lshlrev_b32_e32 v3, 2, v3
	v_mov_b32_e32 v24, v2
	s_mov_b64 s[28:29], 7
	v_addc_co_u32_e32 v57, vcc, v5, v4, vcc
	v_and_b32_e32 v58, 0x100, v3
	s_mov_b64 s[30:31], s[22:23]
	v_mov_b32_e32 v59, 0
.LBB191_3:                              ; =>This Inner Loop Header: Depth=1
	s_add_u32 s10, s22, s28
	v_mov_b32_e32 v3, s12
	s_addc_u32 s11, 0, s29
	v_mov_b32_e32 v4, s13
	v_cmp_ge_i64_e32 vcc, s[10:11], v[3:4]
	v_add_co_u32_e64 v21, s[10:11], s22, v23
	v_addc_co_u32_e64 v22, s[10:11], 0, v24, s[10:11]
	s_mov_b64 s[10:11], -1
	s_and_b64 vcc, exec, vcc
                                        ; implicit-def: $vgpr3_vgpr4_vgpr5_vgpr6_vgpr7_vgpr8_vgpr9_vgpr10
                                        ; implicit-def: $vgpr49
                                        ; implicit-def: $vgpr11_vgpr12_vgpr13_vgpr14_vgpr15_vgpr16_vgpr17_vgpr18
                                        ; implicit-def: $vgpr3
	s_cbranch_vccz .LBB191_25
; %bb.4:                                ;   in Loop: Header=BB191_3 Depth=1
	s_load_dword s10, s[24:25], 0xc
	v_mov_b32_e32 v60, 0
	s_waitcnt lgkmcnt(0)
	s_and_b32 s10, s10, 0xffff
	v_mad_u32_u24 v3, v1, s10, v0
	v_and_b32_e32 v3, 63, v3
	v_cmp_gt_u32_e32 vcc, 8, v3
	s_and_saveexec_b64 s[10:11], vcc
	s_cbranch_execz .LBB191_8
; %bb.5:                                ;   in Loop: Header=BB191_3 Depth=1
	v_add_co_u32_e32 v3, vcc, v21, v3
	v_addc_co_u32_e32 v4, vcc, 0, v22, vcc
	v_cmp_gt_i64_e32 vcc, s[12:13], v[3:4]
	v_mov_b32_e32 v60, 0
	s_and_saveexec_b64 s[34:35], vcc
	s_cbranch_execz .LBB191_7
; %bb.6:                                ;   in Loop: Header=BB191_3 Depth=1
	v_lshlrev_b64 v[3:4], 2, v[3:4]
	v_mov_b32_e32 v5, s21
	v_add_co_u32_e32 v3, vcc, s20, v3
	v_addc_co_u32_e32 v4, vcc, v5, v4, vcc
	global_load_dword v60, v[3:4], off
.LBB191_7:                              ;   in Loop: Header=BB191_3 Depth=1
	s_or_b64 exec, exec, s[34:35]
.LBB191_8:                              ;   in Loop: Header=BB191_3 Depth=1
	s_or_b64 exec, exec, s[10:11]
	v_mov_b32_e32 v9, v2
	v_cmp_gt_i64_e32 vcc, s[12:13], v[21:22]
	v_mov_b32_e32 v3, v2
	v_mov_b32_e32 v4, v2
	v_mov_b32_e32 v5, v2
	v_mov_b32_e32 v6, v2
	v_mov_b32_e32 v7, v2
	v_mov_b32_e32 v8, v2
	v_mov_b32_e32 v18, v9
	v_mov_b32_e32 v17, v8
	v_mov_b32_e32 v16, v7
	v_mov_b32_e32 v15, v6
	v_mov_b32_e32 v14, v5
	v_mov_b32_e32 v13, v4
	v_mov_b32_e32 v12, v3
	v_mov_b32_e32 v11, v2
	v_mov_b32_e32 v10, v9
	s_and_b64 s[34:35], s[2:3], vcc
	v_mov_b32_e32 v9, v8
	v_mov_b32_e32 v8, v7
	v_mov_b32_e32 v7, v6
	v_mov_b32_e32 v6, v5
	v_mov_b32_e32 v5, v4
	v_mov_b32_e32 v4, v3
	v_mov_b32_e32 v3, v2
	s_and_saveexec_b64 s[10:11], s[34:35]
	s_cbranch_execz .LBB191_10
; %bb.9:                                ;   in Loop: Header=BB191_3 Depth=1
	v_add_co_u32_e32 v3, vcc, v25, v19
	v_addc_co_u32_e32 v4, vcc, v26, v20, vcc
	global_load_ushort v11, v[3:4], off
	v_add_co_u32_e32 v3, vcc, v27, v19
	v_addc_co_u32_e32 v4, vcc, v28, v20, vcc
	global_load_ushort v18, v[3:4], off
	v_mov_b32_e32 v4, v2
	v_mov_b32_e32 v5, v2
	;; [unrolled: 1-line block ×13, first 2 shown]
	s_waitcnt vmcnt(1)
	v_lshlrev_b32_e32 v3, 16, v11
	s_waitcnt vmcnt(0)
	v_lshlrev_b32_e32 v11, 16, v18
	v_mov_b32_e32 v18, v2
.LBB191_10:                             ;   in Loop: Header=BB191_3 Depth=1
	s_or_b64 exec, exec, s[10:11]
	v_add_co_u32_e32 v61, vcc, 1, v21
	v_addc_co_u32_e32 v62, vcc, 0, v22, vcc
	v_cmp_gt_i64_e32 vcc, s[12:13], v[61:62]
	s_and_b64 s[34:35], s[2:3], vcc
	s_and_saveexec_b64 s[10:11], s[34:35]
	s_cbranch_execz .LBB191_12
; %bb.11:                               ;   in Loop: Header=BB191_3 Depth=1
	v_add_co_u32_e32 v61, vcc, v54, v19
	v_addc_co_u32_e32 v62, vcc, v55, v20, vcc
	global_load_ushort v4, v[61:62], off
	v_add_co_u32_e32 v61, vcc, v56, v19
	v_addc_co_u32_e32 v62, vcc, v57, v20, vcc
	global_load_ushort v12, v[61:62], off
	s_waitcnt vmcnt(1)
	v_lshlrev_b32_e32 v4, 16, v4
	s_waitcnt vmcnt(0)
	v_lshlrev_b32_e32 v12, 16, v12
.LBB191_12:                             ;   in Loop: Header=BB191_3 Depth=1
	s_or_b64 exec, exec, s[10:11]
	v_add_co_u32_e32 v61, vcc, 2, v21
	v_addc_co_u32_e32 v62, vcc, 0, v22, vcc
	v_cmp_gt_i64_e32 vcc, s[12:13], v[61:62]
	s_and_b64 s[34:35], s[2:3], vcc
	s_and_saveexec_b64 s[10:11], s[34:35]
	s_cbranch_execz .LBB191_14
; %bb.13:                               ;   in Loop: Header=BB191_3 Depth=1
	v_add_co_u32_e32 v61, vcc, v50, v19
	v_addc_co_u32_e32 v62, vcc, v51, v20, vcc
	global_load_ushort v5, v[61:62], off
	v_add_co_u32_e32 v61, vcc, v52, v19
	v_addc_co_u32_e32 v62, vcc, v53, v20, vcc
	global_load_ushort v13, v[61:62], off
	s_waitcnt vmcnt(1)
	v_lshlrev_b32_e32 v5, 16, v5
	s_waitcnt vmcnt(0)
	v_lshlrev_b32_e32 v13, 16, v13
.LBB191_14:                             ;   in Loop: Header=BB191_3 Depth=1
	;; [unrolled: 19-line block ×7, first 2 shown]
	s_or_b64 exec, exec, s[10:11]
	s_waitcnt vmcnt(0)
	ds_bpermute_b32 v49, v58, v60
	ds_bpermute_b32 v61, v58, v60 offset:4
	v_mul_f32_e32 v3, v11, v3
	ds_bpermute_b32 v11, v58, v60 offset:8
	v_mul_f32_e32 v4, v12, v4
	s_waitcnt lgkmcnt(2)
	v_fma_f32 v49, v3, v49, v59
	s_waitcnt lgkmcnt(1)
	v_fmac_f32_e32 v49, v4, v61
	ds_bpermute_b32 v3, v58, v60 offset:12
	v_mul_f32_e32 v4, v13, v5
	s_waitcnt lgkmcnt(1)
	v_fmac_f32_e32 v49, v4, v11
	ds_bpermute_b32 v4, v58, v60 offset:16
	v_mul_f32_e32 v5, v14, v6
	s_waitcnt lgkmcnt(1)
	v_fmac_f32_e32 v49, v5, v3
	v_mul_f32_e32 v3, v15, v7
	ds_bpermute_b32 v5, v58, v60 offset:20
	s_waitcnt lgkmcnt(1)
	v_fmac_f32_e32 v49, v3, v4
	ds_bpermute_b32 v4, v58, v60 offset:24
	ds_bpermute_b32 v3, v58, v60 offset:28
	v_mul_f32_e32 v6, v16, v8
	s_waitcnt lgkmcnt(2)
	v_fmac_f32_e32 v49, v6, v5
	v_mul_f32_e32 v5, v17, v9
	s_waitcnt lgkmcnt(1)
	v_fmac_f32_e32 v49, v5, v4
	s_mov_b64 s[10:11], 0
.LBB191_25:                             ;   in Loop: Header=BB191_3 Depth=1
	s_and_b64 vcc, exec, s[10:11]
	s_cbranch_vccz .LBB191_40
; %bb.26:                               ;   in Loop: Header=BB191_3 Depth=1
	s_load_dword s10, s[24:25], 0x0
	v_mov_b32_e32 v49, 0
	s_waitcnt lgkmcnt(0)
	s_cmp_lt_u32 s6, s10
	s_cselect_b32 s10, 12, 18
	s_add_u32 s10, s24, s10
	s_addc_u32 s11, s25, 0
	global_load_ushort v3, v2, s[10:11]
	s_waitcnt vmcnt(0)
	v_mad_u32_u24 v3, v1, v3, v0
	v_and_b32_e32 v3, 63, v3
	v_cmp_gt_u32_e32 vcc, 8, v3
	s_and_saveexec_b64 s[10:11], vcc
	s_cbranch_execz .LBB191_30
; %bb.27:                               ;   in Loop: Header=BB191_3 Depth=1
	v_add_co_u32_e32 v3, vcc, v21, v3
	v_addc_co_u32_e32 v4, vcc, 0, v22, vcc
	v_cmp_gt_i64_e32 vcc, s[12:13], v[3:4]
	v_mov_b32_e32 v49, 0
	s_and_saveexec_b64 s[34:35], vcc
	s_cbranch_execz .LBB191_29
; %bb.28:                               ;   in Loop: Header=BB191_3 Depth=1
	v_lshlrev_b64 v[3:4], 2, v[3:4]
	v_mov_b32_e32 v5, s21
	v_add_co_u32_e32 v3, vcc, s20, v3
	v_addc_co_u32_e32 v4, vcc, v5, v4, vcc
	global_load_dword v49, v[3:4], off
.LBB191_29:                             ;   in Loop: Header=BB191_3 Depth=1
	s_or_b64 exec, exec, s[34:35]
.LBB191_30:                             ;   in Loop: Header=BB191_3 Depth=1
	s_or_b64 exec, exec, s[10:11]
	v_mov_b32_e32 v9, v2
	v_mov_b32_e32 v3, v2
	;; [unrolled: 1-line block ×23, first 2 shown]
	s_and_saveexec_b64 s[10:11], s[2:3]
	s_cbranch_execnz .LBB191_42
; %bb.31:                               ;   in Loop: Header=BB191_3 Depth=1
	s_or_b64 exec, exec, s[10:11]
	s_and_saveexec_b64 s[10:11], s[2:3]
	s_cbranch_execnz .LBB191_43
.LBB191_32:                             ;   in Loop: Header=BB191_3 Depth=1
	s_or_b64 exec, exec, s[10:11]
	s_and_saveexec_b64 s[10:11], s[2:3]
	s_cbranch_execnz .LBB191_44
.LBB191_33:                             ;   in Loop: Header=BB191_3 Depth=1
	s_or_b64 exec, exec, s[10:11]
	s_and_saveexec_b64 s[10:11], s[2:3]
	s_cbranch_execnz .LBB191_45
.LBB191_34:                             ;   in Loop: Header=BB191_3 Depth=1
	s_or_b64 exec, exec, s[10:11]
	s_and_saveexec_b64 s[10:11], s[2:3]
	s_cbranch_execnz .LBB191_46
.LBB191_35:                             ;   in Loop: Header=BB191_3 Depth=1
	s_or_b64 exec, exec, s[10:11]
	s_and_saveexec_b64 s[10:11], s[2:3]
	s_cbranch_execnz .LBB191_47
.LBB191_36:                             ;   in Loop: Header=BB191_3 Depth=1
	s_or_b64 exec, exec, s[10:11]
	s_and_saveexec_b64 s[10:11], s[2:3]
	s_cbranch_execnz .LBB191_48
.LBB191_37:                             ;   in Loop: Header=BB191_3 Depth=1
	s_or_b64 exec, exec, s[10:11]
	s_and_saveexec_b64 s[10:11], s[2:3]
	s_cbranch_execz .LBB191_39
.LBB191_38:                             ;   in Loop: Header=BB191_3 Depth=1
	v_add_co_u32_e32 v21, vcc, v29, v19
	v_addc_co_u32_e32 v22, vcc, v30, v20, vcc
	global_load_ushort v10, v[21:22], off
	v_add_co_u32_e32 v21, vcc, v31, v19
	v_addc_co_u32_e32 v22, vcc, v32, v20, vcc
	global_load_ushort v18, v[21:22], off
	s_waitcnt vmcnt(1)
	v_lshlrev_b32_e32 v10, 16, v10
	s_waitcnt vmcnt(0)
	v_lshlrev_b32_e32 v18, 16, v18
.LBB191_39:                             ;   in Loop: Header=BB191_3 Depth=1
	s_or_b64 exec, exec, s[10:11]
	s_waitcnt vmcnt(0)
	ds_bpermute_b32 v21, v58, v49
	ds_bpermute_b32 v22, v58, v49 offset:4
	v_mul_f32_e32 v3, v11, v3
	ds_bpermute_b32 v11, v58, v49 offset:8
	v_mul_f32_e32 v4, v12, v4
	s_waitcnt lgkmcnt(2)
	v_fmac_f32_e32 v59, v3, v21
	s_waitcnt lgkmcnt(1)
	v_fmac_f32_e32 v59, v4, v22
	ds_bpermute_b32 v3, v58, v49 offset:12
	v_mul_f32_e32 v4, v13, v5
	s_waitcnt lgkmcnt(1)
	v_fmac_f32_e32 v59, v4, v11
	ds_bpermute_b32 v4, v58, v49 offset:16
	v_mul_f32_e32 v5, v14, v6
	s_waitcnt lgkmcnt(1)
	v_fmac_f32_e32 v59, v5, v3
	v_mul_f32_e32 v3, v15, v7
	ds_bpermute_b32 v5, v58, v49 offset:20
	s_waitcnt lgkmcnt(1)
	v_fmac_f32_e32 v59, v3, v4
	ds_bpermute_b32 v4, v58, v49 offset:24
	ds_bpermute_b32 v3, v58, v49 offset:28
	v_mul_f32_e32 v6, v16, v8
	s_waitcnt lgkmcnt(2)
	v_fmac_f32_e32 v59, v6, v5
	v_mul_f32_e32 v5, v17, v9
	s_waitcnt lgkmcnt(1)
	v_fmac_f32_e32 v59, v5, v4
	v_mov_b32_e32 v49, v59
.LBB191_40:                             ;   in Loop: Header=BB191_3 Depth=1
	v_mul_f32_e32 v4, v10, v18
	s_waitcnt lgkmcnt(0)
	v_fmac_f32_e32 v49, v4, v3
	v_mov_b32_e32 v3, s27
	v_add_co_u32_e32 v25, vcc, s26, v25
	v_addc_co_u32_e32 v26, vcc, v26, v3, vcc
	v_add_co_u32_e32 v27, vcc, s26, v27
	v_addc_co_u32_e32 v28, vcc, v28, v3, vcc
	;; [unrolled: 2-line block ×16, first 2 shown]
	s_add_u32 s30, s30, s9
	v_add_co_u32_e32 v23, vcc, s9, v23
	v_mov_b32_e32 v3, s12
	s_addc_u32 s31, s31, 0
	v_addc_co_u32_e32 v24, vcc, 0, v24, vcc
	v_mov_b32_e32 v4, s13
	v_cmp_lt_i64_e32 vcc, s[30:31], v[3:4]
	s_add_u32 s28, s28, s9
	s_addc_u32 s29, 0, s29
	s_cbranch_vccz .LBB191_50
; %bb.41:                               ;   in Loop: Header=BB191_3 Depth=1
	v_mov_b32_e32 v59, v49
	s_branch .LBB191_3
.LBB191_42:                             ;   in Loop: Header=BB191_3 Depth=1
	v_add_co_u32_e32 v3, vcc, v25, v19
	v_addc_co_u32_e32 v4, vcc, v26, v20, vcc
	global_load_ushort v11, v[3:4], off
	v_add_co_u32_e32 v3, vcc, v27, v19
	v_addc_co_u32_e32 v4, vcc, v28, v20, vcc
	global_load_ushort v18, v[3:4], off
	v_mov_b32_e32 v4, v2
	v_mov_b32_e32 v5, v2
	;; [unrolled: 1-line block ×13, first 2 shown]
	s_waitcnt vmcnt(1)
	v_lshlrev_b32_e32 v3, 16, v11
	s_waitcnt vmcnt(0)
	v_lshlrev_b32_e32 v11, 16, v18
	v_mov_b32_e32 v18, v2
	s_or_b64 exec, exec, s[10:11]
	s_and_saveexec_b64 s[10:11], s[2:3]
	s_cbranch_execz .LBB191_32
.LBB191_43:                             ;   in Loop: Header=BB191_3 Depth=1
	v_add_co_u32_e32 v21, vcc, v54, v19
	v_addc_co_u32_e32 v22, vcc, v55, v20, vcc
	global_load_ushort v4, v[21:22], off
	v_add_co_u32_e32 v21, vcc, v56, v19
	v_addc_co_u32_e32 v22, vcc, v57, v20, vcc
	global_load_ushort v12, v[21:22], off
	s_waitcnt vmcnt(1)
	v_lshlrev_b32_e32 v4, 16, v4
	s_waitcnt vmcnt(0)
	v_lshlrev_b32_e32 v12, 16, v12
	s_or_b64 exec, exec, s[10:11]
	s_and_saveexec_b64 s[10:11], s[2:3]
	s_cbranch_execz .LBB191_33
.LBB191_44:                             ;   in Loop: Header=BB191_3 Depth=1
	v_add_co_u32_e32 v21, vcc, v50, v19
	v_addc_co_u32_e32 v22, vcc, v51, v20, vcc
	global_load_ushort v5, v[21:22], off
	v_add_co_u32_e32 v21, vcc, v52, v19
	v_addc_co_u32_e32 v22, vcc, v53, v20, vcc
	global_load_ushort v13, v[21:22], off
	s_waitcnt vmcnt(1)
	v_lshlrev_b32_e32 v5, 16, v5
	s_waitcnt vmcnt(0)
	v_lshlrev_b32_e32 v13, 16, v13
	s_or_b64 exec, exec, s[10:11]
	s_and_saveexec_b64 s[10:11], s[2:3]
	s_cbranch_execz .LBB191_34
.LBB191_45:                             ;   in Loop: Header=BB191_3 Depth=1
	v_add_co_u32_e32 v21, vcc, v45, v19
	v_addc_co_u32_e32 v22, vcc, v46, v20, vcc
	global_load_ushort v6, v[21:22], off
	v_add_co_u32_e32 v21, vcc, v47, v19
	v_addc_co_u32_e32 v22, vcc, v48, v20, vcc
	global_load_ushort v14, v[21:22], off
	s_waitcnt vmcnt(1)
	v_lshlrev_b32_e32 v6, 16, v6
	s_waitcnt vmcnt(0)
	v_lshlrev_b32_e32 v14, 16, v14
	s_or_b64 exec, exec, s[10:11]
	s_and_saveexec_b64 s[10:11], s[2:3]
	s_cbranch_execz .LBB191_35
.LBB191_46:                             ;   in Loop: Header=BB191_3 Depth=1
	v_add_co_u32_e32 v21, vcc, v41, v19
	v_addc_co_u32_e32 v22, vcc, v42, v20, vcc
	global_load_ushort v7, v[21:22], off
	v_add_co_u32_e32 v21, vcc, v43, v19
	v_addc_co_u32_e32 v22, vcc, v44, v20, vcc
	global_load_ushort v15, v[21:22], off
	s_waitcnt vmcnt(1)
	v_lshlrev_b32_e32 v7, 16, v7
	s_waitcnt vmcnt(0)
	v_lshlrev_b32_e32 v15, 16, v15
	s_or_b64 exec, exec, s[10:11]
	s_and_saveexec_b64 s[10:11], s[2:3]
	s_cbranch_execz .LBB191_36
.LBB191_47:                             ;   in Loop: Header=BB191_3 Depth=1
	v_add_co_u32_e32 v21, vcc, v37, v19
	v_addc_co_u32_e32 v22, vcc, v38, v20, vcc
	global_load_ushort v8, v[21:22], off
	v_add_co_u32_e32 v21, vcc, v39, v19
	v_addc_co_u32_e32 v22, vcc, v40, v20, vcc
	global_load_ushort v16, v[21:22], off
	s_waitcnt vmcnt(1)
	v_lshlrev_b32_e32 v8, 16, v8
	s_waitcnt vmcnt(0)
	v_lshlrev_b32_e32 v16, 16, v16
	s_or_b64 exec, exec, s[10:11]
	s_and_saveexec_b64 s[10:11], s[2:3]
	s_cbranch_execz .LBB191_37
.LBB191_48:                             ;   in Loop: Header=BB191_3 Depth=1
	v_add_co_u32_e32 v21, vcc, v33, v19
	v_addc_co_u32_e32 v22, vcc, v34, v20, vcc
	global_load_ushort v9, v[21:22], off
	v_add_co_u32_e32 v21, vcc, v35, v19
	v_addc_co_u32_e32 v22, vcc, v36, v20, vcc
	global_load_ushort v17, v[21:22], off
	s_waitcnt vmcnt(1)
	v_lshlrev_b32_e32 v9, 16, v9
	s_waitcnt vmcnt(0)
	v_lshlrev_b32_e32 v17, 16, v17
	s_or_b64 exec, exec, s[10:11]
	s_and_saveexec_b64 s[10:11], s[2:3]
	s_cbranch_execnz .LBB191_38
	s_branch .LBB191_39
.LBB191_49:
                                        ; implicit-def: $vgpr49
	s_load_dwordx2 s[2:3], s[4:5], 0x30
	s_branch .LBB191_51
.LBB191_50:
	s_load_dwordx2 s[2:3], s[4:5], 0x30
	s_cbranch_execnz .LBB191_83
.LBB191_51:
	s_and_b64 vcc, exec, s[0:1]
	v_mov_b32_e32 v49, 0
	s_cbranch_vccnz .LBB191_83
; %bb.52:
	v_lshlrev_b32_e32 v52, 3, v1
	v_add_co_u32_e32 v8, vcc, s22, v52
	v_addc_co_u32_e64 v9, s[0:1], 0, 0, vcc
	v_mul_lo_u32 v4, s15, v8
	v_mul_lo_u32 v5, s14, v9
	v_mad_u64_u32 v[2:3], s[0:1], s14, v8, 0
	v_mov_b32_e32 v6, s17
	s_add_u32 s10, s4, 64
	v_add3_u32 v3, v3, v5, v4
	v_lshlrev_b64 v[4:5], 1, v[2:3]
	s_addc_u32 s11, s5, 0
	v_add_co_u32_e32 v53, vcc, s16, v4
	v_addc_co_u32_e32 v54, vcc, v6, v5, vcc
	v_mov_b32_e32 v6, s19
	v_add_co_u32_e32 v55, vcc, s18, v4
	v_addc_co_u32_e32 v56, vcc, v6, v5, vcc
	v_lshlrev_b32_e32 v4, 4, v1
	s_lshl_b64 s[0:1], s[22:23], 1
	v_mov_b32_e32 v5, s1
	v_add_co_u32_e32 v10, vcc, s0, v4
	v_addc_co_u32_e32 v11, vcc, 0, v5, vcc
	v_add_co_u32_e32 v12, vcc, 2, v10
	v_addc_co_u32_e32 v6, vcc, 0, v11, vcc
	v_mov_b32_e32 v4, s16
	v_mul_lo_u32 v14, s14, v6
	v_mov_b32_e32 v6, s18
	v_mov_b32_e32 v5, s17
	;; [unrolled: 1-line block ×3, first 2 shown]
	v_mad_u64_u32 v[19:20], s[0:1], s14, v12, v[4:5]
	v_mul_lo_u32 v15, s15, v12
	v_mad_u64_u32 v[21:22], s[0:1], s14, v12, v[6:7]
	v_add_co_u32_e32 v12, vcc, 4, v10
	v_addc_co_u32_e32 v16, vcc, 0, v11, vcc
	v_mov_b32_e32 v13, s15
	v_add_co_u32_e32 v2, vcc, s14, v2
	v_addc_co_u32_e32 v3, vcc, v3, v13, vcc
	v_mul_lo_u32 v17, s15, v12
	v_mad_u64_u32 v[23:24], s[0:1], s14, v12, v[4:5]
	v_mad_u64_u32 v[25:26], s[0:1], s14, v12, v[6:7]
	v_add_co_u32_e32 v12, vcc, 6, v10
	v_addc_co_u32_e32 v13, vcc, 0, v11, vcc
	v_add3_u32 v20, v15, v20, v14
	v_add3_u32 v22, v15, v22, v14
	v_mul_lo_u32 v13, s14, v13
	v_mul_lo_u32 v14, s15, v12
	v_mad_u64_u32 v[27:28], s[0:1], s14, v12, v[4:5]
	v_mad_u64_u32 v[29:30], s[0:1], s14, v12, v[6:7]
	v_add_co_u32_e32 v12, vcc, 8, v10
	v_mul_lo_u32 v16, s14, v16
	v_addc_co_u32_e32 v15, vcc, 0, v11, vcc
	v_mul_lo_u32 v18, s15, v12
	v_mad_u64_u32 v[31:32], s[0:1], s14, v12, v[4:5]
	v_mad_u64_u32 v[33:34], s[0:1], s14, v12, v[6:7]
	v_add_co_u32_e32 v12, vcc, 10, v10
	v_add3_u32 v28, v14, v28, v13
	v_add3_u32 v30, v14, v30, v13
	v_addc_co_u32_e32 v13, vcc, 0, v11, vcc
	v_mul_lo_u32 v14, s15, v12
	v_mad_u64_u32 v[35:36], s[0:1], s14, v12, v[4:5]
	v_mad_u64_u32 v[37:38], s[0:1], s14, v12, v[6:7]
	v_add_co_u32_e32 v12, vcc, 12, v10
	v_add3_u32 v24, v17, v24, v16
	v_add3_u32 v26, v17, v26, v16
	v_addc_co_u32_e32 v16, vcc, 0, v11, vcc
	v_add_co_u32_e32 v10, vcc, 14, v10
	v_addc_co_u32_e32 v11, vcc, 0, v11, vcc
	v_mad_u64_u32 v[39:40], s[0:1], s14, v12, v[4:5]
	v_mad_u64_u32 v[43:44], s[0:1], s14, v10, v[4:5]
	v_add_co_u32_e32 v4, vcc, 7, v8
	v_addc_co_u32_e32 v5, vcc, 0, v9, vcc
	v_mad_u64_u32 v[41:42], s[0:1], s14, v12, v[6:7]
	v_mad_u64_u32 v[45:46], s[0:1], s14, v10, v[6:7]
	v_mul_lo_u32 v6, s15, v10
	v_mul_lo_u32 v7, s14, v5
	;; [unrolled: 1-line block ×3, first 2 shown]
	v_mad_u64_u32 v[4:5], s[0:1], s14, v4, 0
	v_mul_lo_u32 v11, s14, v11
	v_mul_lo_u32 v17, s15, v12
	v_add3_u32 v5, v5, v7, v10
	v_lshlrev_b64 v[4:5], 1, v[4:5]
	v_add3_u32 v44, v6, v44, v11
	v_add3_u32 v46, v6, v46, v11
	v_mov_b32_e32 v6, s17
	v_add_co_u32_e32 v57, vcc, s16, v4
	v_addc_co_u32_e32 v58, vcc, v6, v5, vcc
	v_add_co_u32_e32 v6, vcc, 6, v8
	v_addc_co_u32_e32 v7, vcc, 0, v9, vcc
	v_mul_lo_u32 v11, s14, v7
	v_mul_lo_u32 v12, s15, v6
	v_mad_u64_u32 v[6:7], s[0:1], s14, v6, 0
	v_mov_b32_e32 v10, s19
	v_add_co_u32_e32 v59, vcc, s18, v4
	v_add3_u32 v7, v7, v11, v12
	v_addc_co_u32_e32 v60, vcc, v10, v5, vcc
	v_lshlrev_b64 v[4:5], 1, v[6:7]
	v_mov_b32_e32 v6, s17
	v_add_co_u32_e32 v61, vcc, s16, v4
	v_addc_co_u32_e32 v62, vcc, v6, v5, vcc
	v_add_co_u32_e32 v6, vcc, 5, v8
	v_addc_co_u32_e32 v7, vcc, 0, v9, vcc
	v_mul_lo_u32 v11, s14, v7
	v_mul_lo_u32 v12, s15, v6
	v_mad_u64_u32 v[6:7], s[0:1], s14, v6, 0
	v_add_co_u32_e32 v63, vcc, s18, v4
	v_add3_u32 v7, v7, v11, v12
	v_addc_co_u32_e32 v64, vcc, v10, v5, vcc
	v_lshlrev_b64 v[4:5], 1, v[6:7]
	v_mov_b32_e32 v6, s17
	v_add_co_u32_e32 v65, vcc, s16, v4
	v_addc_co_u32_e32 v66, vcc, v6, v5, vcc
	v_add_co_u32_e32 v6, vcc, 4, v8
	v_addc_co_u32_e32 v7, vcc, 0, v9, vcc
	v_mul_lo_u32 v11, s14, v7
	v_mul_lo_u32 v12, s15, v6
	v_mad_u64_u32 v[6:7], s[0:1], s14, v6, 0
	;; [unrolled: 12-line block ×4, first 2 shown]
	v_add_co_u32_e32 v75, vcc, s18, v4
	v_add3_u32 v7, v7, v8, v9
	v_addc_co_u32_e32 v76, vcc, v10, v5, vcc
	v_lshlrev_b64 v[4:5], 1, v[6:7]
	v_mov_b32_e32 v6, s17
	v_add_co_u32_e32 v77, vcc, s16, v4
	v_addc_co_u32_e32 v78, vcc, v6, v5, vcc
	v_mov_b32_e32 v6, s19
	v_add_co_u32_e32 v79, vcc, s18, v4
	v_lshlrev_b64 v[2:3], 1, v[2:3]
	v_addc_co_u32_e32 v80, vcc, v6, v5, vcc
	s_load_dword s0, s[4:5], 0x44
	v_mov_b32_e32 v4, s17
	v_add_co_u32_e32 v81, vcc, s16, v2
	v_addc_co_u32_e32 v82, vcc, v4, v3, vcc
	v_mov_b32_e32 v4, s19
	v_add_co_u32_e32 v83, vcc, s18, v2
	v_mov_b32_e32 v2, 0
	v_mul_lo_u32 v15, s14, v15
	v_mul_lo_u32 v13, s14, v13
	;; [unrolled: 1-line block ×3, first 2 shown]
	v_addc_co_u32_e32 v84, vcc, v4, v3, vcc
	v_add_u32_e32 v3, s7, v0
	v_mov_b32_e32 v4, v2
	s_waitcnt lgkmcnt(0)
	s_lshl_b32 s7, s0, 3
	v_lshlrev_b64 v[47:48], 1, v[3:4]
	v_mbcnt_lo_u32_b32 v3, -1, 0
	s_mul_i32 s0, s15, s7
	s_mul_hi_u32 s1, s14, s7
	v_mbcnt_hi_u32_b32 v3, -1, v3
	s_add_i32 s1, s1, s0
	s_mul_i32 s0, s14, s7
	v_lshlrev_b32_e32 v3, 2, v3
	v_add3_u32 v32, v18, v32, v15
	v_add3_u32 v34, v18, v34, v15
	;; [unrolled: 1-line block ×6, first 2 shown]
	s_lshl_b64 s[16:17], s[0:1], 1
	s_mov_b64 s[18:19], 7
	v_and_b32_e32 v85, 0x100, v3
	s_mov_b64 s[24:25], s[22:23]
	v_mov_b32_e32 v86, v2
	v_mov_b32_e32 v87, 0
.LBB191_53:                             ; =>This Inner Loop Header: Depth=1
	s_add_u32 s0, s22, s18
	v_mov_b32_e32 v3, s12
	s_addc_u32 s1, 0, s19
	v_mov_b32_e32 v4, s13
	v_cmp_ge_i64_e32 vcc, s[0:1], v[3:4]
	v_add_co_u32_e64 v50, s[0:1], s22, v52
	v_addc_co_u32_e64 v51, s[0:1], 0, v86, s[0:1]
	s_mov_b64 s[0:1], -1
                                        ; implicit-def: $vgpr49
	s_cbranch_vccz .LBB191_75
; %bb.54:                               ;   in Loop: Header=BB191_53 Depth=1
	s_load_dword s0, s[10:11], 0xc
	v_mov_b32_e32 v88, 0
	s_waitcnt lgkmcnt(0)
	s_and_b32 s0, s0, 0xffff
	v_mad_u32_u24 v3, v1, s0, v0
	v_and_b32_e32 v3, 63, v3
	v_cmp_gt_u32_e32 vcc, 8, v3
	s_and_saveexec_b64 s[0:1], vcc
	s_cbranch_execz .LBB191_58
; %bb.55:                               ;   in Loop: Header=BB191_53 Depth=1
	v_add_co_u32_e32 v3, vcc, v50, v3
	v_addc_co_u32_e32 v4, vcc, 0, v51, vcc
	v_cmp_gt_i64_e32 vcc, s[12:13], v[3:4]
	v_mov_b32_e32 v88, 0
	s_and_saveexec_b64 s[26:27], vcc
	s_cbranch_execz .LBB191_57
; %bb.56:                               ;   in Loop: Header=BB191_53 Depth=1
	v_lshlrev_b64 v[3:4], 2, v[3:4]
	v_mov_b32_e32 v5, s21
	v_add_co_u32_e32 v3, vcc, s20, v3
	v_addc_co_u32_e32 v4, vcc, v5, v4, vcc
	global_load_dword v88, v[3:4], off
.LBB191_57:                             ;   in Loop: Header=BB191_53 Depth=1
	s_or_b64 exec, exec, s[26:27]
.LBB191_58:                             ;   in Loop: Header=BB191_53 Depth=1
	s_or_b64 exec, exec, s[0:1]
	v_mov_b32_e32 v9, v2
	v_mov_b32_e32 v3, v2
	;; [unrolled: 1-line block ×8, first 2 shown]
	v_cmp_gt_i64_e32 vcc, s[12:13], v[50:51]
	v_mov_b32_e32 v17, v8
	v_mov_b32_e32 v16, v7
	;; [unrolled: 1-line block ×15, first 2 shown]
	s_and_saveexec_b64 s[0:1], vcc
	s_cbranch_execz .LBB191_60
; %bb.59:                               ;   in Loop: Header=BB191_53 Depth=1
	v_add_co_u32_e32 v3, vcc, v53, v47
	v_addc_co_u32_e32 v4, vcc, v54, v48, vcc
	global_load_ushort v11, v[3:4], off
	v_add_co_u32_e32 v3, vcc, v55, v47
	v_addc_co_u32_e32 v4, vcc, v56, v48, vcc
	global_load_ushort v18, v[3:4], off
	v_mov_b32_e32 v4, v2
	v_mov_b32_e32 v5, v2
	v_mov_b32_e32 v6, v2
	v_mov_b32_e32 v7, v2
	v_mov_b32_e32 v8, v2
	v_mov_b32_e32 v9, v2
	v_mov_b32_e32 v10, v2
	v_mov_b32_e32 v12, v2
	v_mov_b32_e32 v13, v2
	v_mov_b32_e32 v14, v2
	v_mov_b32_e32 v15, v2
	v_mov_b32_e32 v16, v2
	v_mov_b32_e32 v17, v2
	s_waitcnt vmcnt(1)
	v_lshlrev_b32_e32 v3, 16, v11
	s_waitcnt vmcnt(0)
	v_lshlrev_b32_e32 v11, 16, v18
	v_mov_b32_e32 v18, v2
.LBB191_60:                             ;   in Loop: Header=BB191_53 Depth=1
	s_or_b64 exec, exec, s[0:1]
	v_add_co_u32_e32 v89, vcc, 1, v50
	v_addc_co_u32_e32 v90, vcc, 0, v51, vcc
	v_cmp_gt_i64_e32 vcc, s[12:13], v[89:90]
	s_and_saveexec_b64 s[0:1], vcc
	s_cbranch_execz .LBB191_62
; %bb.61:                               ;   in Loop: Header=BB191_53 Depth=1
	v_add_co_u32_e32 v89, vcc, v81, v47
	v_addc_co_u32_e32 v90, vcc, v82, v48, vcc
	global_load_ushort v4, v[89:90], off
	v_add_co_u32_e32 v89, vcc, v83, v47
	v_addc_co_u32_e32 v90, vcc, v84, v48, vcc
	global_load_ushort v12, v[89:90], off
	s_waitcnt vmcnt(1)
	v_lshlrev_b32_e32 v4, 16, v4
	s_waitcnt vmcnt(0)
	v_lshlrev_b32_e32 v12, 16, v12
.LBB191_62:                             ;   in Loop: Header=BB191_53 Depth=1
	s_or_b64 exec, exec, s[0:1]
	v_add_co_u32_e32 v89, vcc, 2, v50
	v_addc_co_u32_e32 v90, vcc, 0, v51, vcc
	v_cmp_gt_i64_e32 vcc, s[12:13], v[89:90]
	s_and_saveexec_b64 s[0:1], vcc
	s_cbranch_execz .LBB191_64
; %bb.63:                               ;   in Loop: Header=BB191_53 Depth=1
	v_add_co_u32_e32 v89, vcc, v77, v47
	v_addc_co_u32_e32 v90, vcc, v78, v48, vcc
	global_load_ushort v5, v[89:90], off
	v_add_co_u32_e32 v89, vcc, v79, v47
	v_addc_co_u32_e32 v90, vcc, v80, v48, vcc
	global_load_ushort v13, v[89:90], off
	s_waitcnt vmcnt(1)
	v_lshlrev_b32_e32 v5, 16, v5
	s_waitcnt vmcnt(0)
	v_lshlrev_b32_e32 v13, 16, v13
.LBB191_64:                             ;   in Loop: Header=BB191_53 Depth=1
	;; [unrolled: 18-line block ×7, first 2 shown]
	s_or_b64 exec, exec, s[0:1]
	s_waitcnt vmcnt(0)
	ds_bpermute_b32 v49, v85, v88
	ds_bpermute_b32 v89, v85, v88 offset:4
	v_mul_f32_e32 v3, v11, v3
	ds_bpermute_b32 v11, v85, v88 offset:8
	v_mul_f32_e32 v4, v12, v4
	s_waitcnt lgkmcnt(2)
	v_fma_f32 v49, v3, v49, v87
	s_waitcnt lgkmcnt(1)
	v_fmac_f32_e32 v49, v4, v89
	ds_bpermute_b32 v3, v85, v88 offset:12
	v_mul_f32_e32 v4, v13, v5
	s_waitcnt lgkmcnt(1)
	v_fmac_f32_e32 v49, v4, v11
	ds_bpermute_b32 v4, v85, v88 offset:16
	v_mul_f32_e32 v5, v14, v6
	s_waitcnt lgkmcnt(1)
	v_fmac_f32_e32 v49, v5, v3
	v_mul_f32_e32 v3, v15, v7
	ds_bpermute_b32 v5, v85, v88 offset:20
	s_waitcnt lgkmcnt(1)
	v_fmac_f32_e32 v49, v3, v4
	ds_bpermute_b32 v3, v85, v88 offset:24
	ds_bpermute_b32 v6, v85, v88 offset:28
	v_mul_f32_e32 v4, v16, v8
	s_waitcnt lgkmcnt(2)
	v_fmac_f32_e32 v49, v4, v5
	v_mul_f32_e32 v4, v17, v9
	s_waitcnt lgkmcnt(1)
	v_fmac_f32_e32 v49, v4, v3
	;; [unrolled: 3-line block ×3, first 2 shown]
	s_mov_b64 s[0:1], 0
.LBB191_75:                             ;   in Loop: Header=BB191_53 Depth=1
	s_and_b64 vcc, exec, s[0:1]
	s_cbranch_vccz .LBB191_81
; %bb.76:                               ;   in Loop: Header=BB191_53 Depth=1
	s_load_dword s0, s[10:11], 0x0
	v_mov_b32_e32 v5, 0
	s_waitcnt lgkmcnt(0)
	s_cmp_lt_u32 s6, s0
	s_cselect_b32 s0, 12, 18
	s_add_u32 s0, s10, s0
	s_addc_u32 s1, s11, 0
	global_load_ushort v3, v2, s[0:1]
	s_waitcnt vmcnt(0)
	v_mad_u32_u24 v3, v1, v3, v0
	v_and_b32_e32 v3, 63, v3
	v_cmp_gt_u32_e32 vcc, 8, v3
	s_and_saveexec_b64 s[0:1], vcc
	s_cbranch_execz .LBB191_80
; %bb.77:                               ;   in Loop: Header=BB191_53 Depth=1
	v_add_co_u32_e32 v3, vcc, v50, v3
	v_addc_co_u32_e32 v4, vcc, 0, v51, vcc
	v_cmp_gt_i64_e32 vcc, s[12:13], v[3:4]
	v_mov_b32_e32 v5, 0
	s_and_saveexec_b64 s[26:27], vcc
	s_cbranch_execz .LBB191_79
; %bb.78:                               ;   in Loop: Header=BB191_53 Depth=1
	v_lshlrev_b64 v[3:4], 2, v[3:4]
	v_mov_b32_e32 v5, s21
	v_add_co_u32_e32 v3, vcc, s20, v3
	v_addc_co_u32_e32 v4, vcc, v5, v4, vcc
	global_load_dword v5, v[3:4], off
.LBB191_79:                             ;   in Loop: Header=BB191_53 Depth=1
	s_or_b64 exec, exec, s[26:27]
.LBB191_80:                             ;   in Loop: Header=BB191_53 Depth=1
	s_or_b64 exec, exec, s[0:1]
	v_add_co_u32_e32 v3, vcc, v53, v47
	v_addc_co_u32_e32 v4, vcc, v54, v48, vcc
	v_add_co_u32_e32 v6, vcc, v55, v47
	v_addc_co_u32_e32 v7, vcc, v56, v48, vcc
	global_load_ushort v8, v[3:4], off
	global_load_ushort v9, v[6:7], off
	v_add_co_u32_e32 v3, vcc, v19, v47
	v_addc_co_u32_e32 v4, vcc, v20, v48, vcc
	v_add_co_u32_e32 v6, vcc, v21, v47
	v_addc_co_u32_e32 v7, vcc, v22, v48, vcc
	global_load_ushort v10, v[3:4], off
	global_load_ushort v11, v[6:7], off
	v_add_co_u32_e32 v3, vcc, v23, v47
	v_addc_co_u32_e32 v4, vcc, v24, v48, vcc
	v_add_co_u32_e32 v6, vcc, v25, v47
	v_addc_co_u32_e32 v7, vcc, v26, v48, vcc
	global_load_ushort v12, v[3:4], off
	global_load_ushort v13, v[6:7], off
	v_add_co_u32_e32 v3, vcc, v27, v47
	v_addc_co_u32_e32 v4, vcc, v28, v48, vcc
	v_add_co_u32_e32 v6, vcc, v29, v47
	v_addc_co_u32_e32 v7, vcc, v30, v48, vcc
	global_load_ushort v14, v[3:4], off
	global_load_ushort v15, v[6:7], off
	v_add_co_u32_e32 v3, vcc, v31, v47
	v_addc_co_u32_e32 v4, vcc, v32, v48, vcc
	v_add_co_u32_e32 v6, vcc, v33, v47
	v_addc_co_u32_e32 v7, vcc, v34, v48, vcc
	global_load_ushort v16, v[3:4], off
	global_load_ushort v17, v[6:7], off
	v_add_co_u32_e32 v3, vcc, v35, v47
	v_addc_co_u32_e32 v4, vcc, v36, v48, vcc
	v_add_co_u32_e32 v6, vcc, v37, v47
	v_addc_co_u32_e32 v7, vcc, v38, v48, vcc
	global_load_ushort v18, v[3:4], off
	global_load_ushort v49, v[6:7], off
	v_add_co_u32_e32 v3, vcc, v39, v47
	v_addc_co_u32_e32 v4, vcc, v40, v48, vcc
	v_add_co_u32_e32 v6, vcc, v41, v47
	v_addc_co_u32_e32 v7, vcc, v42, v48, vcc
	global_load_ushort v50, v[3:4], off
	global_load_ushort v51, v[6:7], off
	v_add_co_u32_e32 v3, vcc, v43, v47
	v_addc_co_u32_e32 v4, vcc, v44, v48, vcc
	v_add_co_u32_e32 v6, vcc, v45, v47
	v_addc_co_u32_e32 v7, vcc, v46, v48, vcc
	global_load_ushort v88, v[6:7], off
	global_load_ushort v89, v[3:4], off
	s_waitcnt vmcnt(15)
	v_lshlrev_b32_e32 v4, 16, v8
	s_waitcnt vmcnt(14)
	v_lshlrev_b32_e32 v3, 16, v9
	v_mul_f32_e32 v3, v4, v3
	s_waitcnt vmcnt(13)
	v_lshlrev_b32_e32 v7, 16, v10
	s_waitcnt vmcnt(12)
	v_lshlrev_b32_e32 v6, 16, v11
	v_mul_f32_e32 v4, v7, v6
	;; [unrolled: 5-line block ×3, first 2 shown]
	s_waitcnt vmcnt(9)
	v_lshlrev_b32_e32 v11, 16, v14
	s_waitcnt vmcnt(8)
	v_lshlrev_b32_e32 v10, 16, v15
	s_waitcnt vmcnt(7)
	v_lshlrev_b32_e32 v13, 16, v16
	s_waitcnt vmcnt(6)
	v_lshlrev_b32_e32 v12, 16, v17
	s_waitcnt vmcnt(5)
	v_lshlrev_b32_e32 v15, 16, v18
	ds_bpermute_b32 v18, v85, v5
	s_waitcnt vmcnt(4)
	v_lshlrev_b32_e32 v14, 16, v49
	s_waitcnt lgkmcnt(0)
	v_fmac_f32_e32 v87, v3, v18
	ds_bpermute_b32 v3, v85, v5 offset:8
	s_waitcnt vmcnt(3)
	v_lshlrev_b32_e32 v17, 16, v50
	s_waitcnt vmcnt(2)
	v_lshlrev_b32_e32 v16, 16, v51
	ds_bpermute_b32 v51, v85, v5 offset:4
	s_waitcnt lgkmcnt(0)
	v_fmac_f32_e32 v87, v4, v51
	ds_bpermute_b32 v4, v85, v5 offset:12
	v_fmac_f32_e32 v87, v6, v3
	ds_bpermute_b32 v3, v85, v5 offset:16
	v_mul_f32_e32 v6, v11, v10
	s_waitcnt vmcnt(1)
	v_lshlrev_b32_e32 v49, 16, v88
	s_waitcnt lgkmcnt(1)
	v_fmac_f32_e32 v87, v6, v4
	v_mul_f32_e32 v4, v13, v12
	ds_bpermute_b32 v6, v85, v5 offset:20
	s_waitcnt lgkmcnt(1)
	v_fmac_f32_e32 v87, v4, v3
	ds_bpermute_b32 v3, v85, v5 offset:24
	ds_bpermute_b32 v5, v85, v5 offset:28
	v_mul_f32_e32 v4, v15, v14
	s_waitcnt vmcnt(0)
	v_lshlrev_b32_e32 v50, 16, v89
	s_waitcnt lgkmcnt(2)
	v_fmac_f32_e32 v87, v4, v6
	v_mul_f32_e32 v4, v17, v16
	s_waitcnt lgkmcnt(1)
	v_fmac_f32_e32 v87, v4, v3
	v_mul_f32_e32 v3, v50, v49
	s_waitcnt lgkmcnt(0)
	v_fmac_f32_e32 v87, v3, v5
	v_mov_b32_e32 v49, v87
.LBB191_81:                             ;   in Loop: Header=BB191_53 Depth=1
	v_mov_b32_e32 v3, s17
	v_add_co_u32_e32 v53, vcc, s16, v53
	v_addc_co_u32_e32 v54, vcc, v54, v3, vcc
	v_add_co_u32_e32 v55, vcc, s16, v55
	v_addc_co_u32_e32 v56, vcc, v56, v3, vcc
	;; [unrolled: 2-line block ×30, first 2 shown]
	v_add_co_u32_e32 v83, vcc, s16, v83
	s_add_u32 s24, s24, s7
	v_addc_co_u32_e32 v84, vcc, v84, v3, vcc
	v_mov_b32_e32 v3, s12
	s_addc_u32 s25, s25, 0
	v_mov_b32_e32 v4, s13
	v_cmp_ge_i64_e32 vcc, s[24:25], v[3:4]
	s_add_u32 s18, s18, s7
	s_addc_u32 s19, 0, s19
	s_cbranch_vccnz .LBB191_83
; %bb.82:                               ;   in Loop: Header=BB191_53 Depth=1
	v_mov_b32_e32 v87, v49
	s_branch .LBB191_53
.LBB191_83:
	s_mov_b32 s7, 0
	s_lshl_b64 s[0:1], s[6:7], 6
	v_or_b32_e32 v3, s0, v0
	v_mov_b32_e32 v4, s1
	v_cmp_gt_i64_e32 vcc, s[14:15], v[3:4]
	s_waitcnt lgkmcnt(0)
	s_cmp_lg_u64 s[2:3], 0
	s_cselect_b64 s[0:1], -1, 0
	s_and_b64 s[0:1], vcc, s[0:1]
	s_and_saveexec_b64 s[6:7], s[0:1]
	s_cbranch_execz .LBB191_85
; %bb.84:
	s_load_dword s0, s[4:5], 0x4c
	v_mov_b32_e32 v2, 0
	v_mov_b32_e32 v0, s8
	v_bfe_u32 v5, v49, 16, 1
	v_mov_b32_e32 v7, 0x7fc0
	s_waitcnt lgkmcnt(0)
	s_lshr_b32 s0, s0, 16
	v_mad_u64_u32 v[0:1], s[0:1], s0, v0, v[1:2]
	s_movk_i32 s0, 0x7fff
	v_add3_u32 v2, v49, v5, s0
	v_mul_lo_u32 v5, v1, s14
	v_mul_lo_u32 v6, v0, s15
	v_mad_u64_u32 v[0:1], s[0:1], v0, s14, 0
	v_lshrrev_b32_e32 v2, 16, v2
	v_cmp_o_f32_e32 vcc, v49, v49
	v_add3_u32 v1, v1, v6, v5
	v_lshlrev_b64 v[0:1], 1, v[0:1]
	v_cndmask_b32_e32 v2, v7, v2, vcc
	v_mov_b32_e32 v5, s3
	v_add_co_u32_e32 v6, vcc, s2, v0
	v_addc_co_u32_e32 v5, vcc, v5, v1, vcc
	v_lshlrev_b64 v[0:1], 1, v[3:4]
	v_add_co_u32_e32 v0, vcc, v6, v0
	v_addc_co_u32_e32 v1, vcc, v5, v1, vcc
	global_store_short v[0:1], v2, off
.LBB191_85:
	s_endpgm
	.section	.rodata,"a",@progbits
	.p2align	6, 0x0
	.amdhsa_kernel _ZN2at6native12_GLOBAL__N_135GammaBetaBackwardCUDAKernelTemplateIN3c108BFloat16EfLj64ELj1ELj8ELb1ELb0ELb1EEEvllPKT_S7_PKT0_SA_PS5_SB_
		.amdhsa_group_segment_fixed_size 0
		.amdhsa_private_segment_fixed_size 0
		.amdhsa_kernarg_size 320
		.amdhsa_user_sgpr_count 6
		.amdhsa_user_sgpr_private_segment_buffer 1
		.amdhsa_user_sgpr_dispatch_ptr 0
		.amdhsa_user_sgpr_queue_ptr 0
		.amdhsa_user_sgpr_kernarg_segment_ptr 1
		.amdhsa_user_sgpr_dispatch_id 0
		.amdhsa_user_sgpr_flat_scratch_init 0
		.amdhsa_user_sgpr_private_segment_size 0
		.amdhsa_uses_dynamic_stack 0
		.amdhsa_system_sgpr_private_segment_wavefront_offset 0
		.amdhsa_system_sgpr_workgroup_id_x 1
		.amdhsa_system_sgpr_workgroup_id_y 1
		.amdhsa_system_sgpr_workgroup_id_z 0
		.amdhsa_system_sgpr_workgroup_info 0
		.amdhsa_system_vgpr_workitem_id 1
		.amdhsa_next_free_vgpr 91
		.amdhsa_next_free_sgpr 36
		.amdhsa_reserve_vcc 1
		.amdhsa_reserve_flat_scratch 0
		.amdhsa_float_round_mode_32 0
		.amdhsa_float_round_mode_16_64 0
		.amdhsa_float_denorm_mode_32 3
		.amdhsa_float_denorm_mode_16_64 3
		.amdhsa_dx10_clamp 1
		.amdhsa_ieee_mode 1
		.amdhsa_fp16_overflow 0
		.amdhsa_exception_fp_ieee_invalid_op 0
		.amdhsa_exception_fp_denorm_src 0
		.amdhsa_exception_fp_ieee_div_zero 0
		.amdhsa_exception_fp_ieee_overflow 0
		.amdhsa_exception_fp_ieee_underflow 0
		.amdhsa_exception_fp_ieee_inexact 0
		.amdhsa_exception_int_div_zero 0
	.end_amdhsa_kernel
	.section	.text._ZN2at6native12_GLOBAL__N_135GammaBetaBackwardCUDAKernelTemplateIN3c108BFloat16EfLj64ELj1ELj8ELb1ELb0ELb1EEEvllPKT_S7_PKT0_SA_PS5_SB_,"axG",@progbits,_ZN2at6native12_GLOBAL__N_135GammaBetaBackwardCUDAKernelTemplateIN3c108BFloat16EfLj64ELj1ELj8ELb1ELb0ELb1EEEvllPKT_S7_PKT0_SA_PS5_SB_,comdat
.Lfunc_end191:
	.size	_ZN2at6native12_GLOBAL__N_135GammaBetaBackwardCUDAKernelTemplateIN3c108BFloat16EfLj64ELj1ELj8ELb1ELb0ELb1EEEvllPKT_S7_PKT0_SA_PS5_SB_, .Lfunc_end191-_ZN2at6native12_GLOBAL__N_135GammaBetaBackwardCUDAKernelTemplateIN3c108BFloat16EfLj64ELj1ELj8ELb1ELb0ELb1EEEvllPKT_S7_PKT0_SA_PS5_SB_
                                        ; -- End function
	.set _ZN2at6native12_GLOBAL__N_135GammaBetaBackwardCUDAKernelTemplateIN3c108BFloat16EfLj64ELj1ELj8ELb1ELb0ELb1EEEvllPKT_S7_PKT0_SA_PS5_SB_.num_vgpr, 91
	.set _ZN2at6native12_GLOBAL__N_135GammaBetaBackwardCUDAKernelTemplateIN3c108BFloat16EfLj64ELj1ELj8ELb1ELb0ELb1EEEvllPKT_S7_PKT0_SA_PS5_SB_.num_agpr, 0
	.set _ZN2at6native12_GLOBAL__N_135GammaBetaBackwardCUDAKernelTemplateIN3c108BFloat16EfLj64ELj1ELj8ELb1ELb0ELb1EEEvllPKT_S7_PKT0_SA_PS5_SB_.numbered_sgpr, 36
	.set _ZN2at6native12_GLOBAL__N_135GammaBetaBackwardCUDAKernelTemplateIN3c108BFloat16EfLj64ELj1ELj8ELb1ELb0ELb1EEEvllPKT_S7_PKT0_SA_PS5_SB_.num_named_barrier, 0
	.set _ZN2at6native12_GLOBAL__N_135GammaBetaBackwardCUDAKernelTemplateIN3c108BFloat16EfLj64ELj1ELj8ELb1ELb0ELb1EEEvllPKT_S7_PKT0_SA_PS5_SB_.private_seg_size, 0
	.set _ZN2at6native12_GLOBAL__N_135GammaBetaBackwardCUDAKernelTemplateIN3c108BFloat16EfLj64ELj1ELj8ELb1ELb0ELb1EEEvllPKT_S7_PKT0_SA_PS5_SB_.uses_vcc, 1
	.set _ZN2at6native12_GLOBAL__N_135GammaBetaBackwardCUDAKernelTemplateIN3c108BFloat16EfLj64ELj1ELj8ELb1ELb0ELb1EEEvllPKT_S7_PKT0_SA_PS5_SB_.uses_flat_scratch, 0
	.set _ZN2at6native12_GLOBAL__N_135GammaBetaBackwardCUDAKernelTemplateIN3c108BFloat16EfLj64ELj1ELj8ELb1ELb0ELb1EEEvllPKT_S7_PKT0_SA_PS5_SB_.has_dyn_sized_stack, 0
	.set _ZN2at6native12_GLOBAL__N_135GammaBetaBackwardCUDAKernelTemplateIN3c108BFloat16EfLj64ELj1ELj8ELb1ELb0ELb1EEEvllPKT_S7_PKT0_SA_PS5_SB_.has_recursion, 0
	.set _ZN2at6native12_GLOBAL__N_135GammaBetaBackwardCUDAKernelTemplateIN3c108BFloat16EfLj64ELj1ELj8ELb1ELb0ELb1EEEvllPKT_S7_PKT0_SA_PS5_SB_.has_indirect_call, 0
	.section	.AMDGPU.csdata,"",@progbits
; Kernel info:
; codeLenInByte = 6332
; TotalNumSgprs: 40
; NumVgprs: 91
; ScratchSize: 0
; MemoryBound: 0
; FloatMode: 240
; IeeeMode: 1
; LDSByteSize: 0 bytes/workgroup (compile time only)
; SGPRBlocks: 4
; VGPRBlocks: 22
; NumSGPRsForWavesPerEU: 40
; NumVGPRsForWavesPerEU: 91
; Occupancy: 2
; WaveLimiterHint : 0
; COMPUTE_PGM_RSRC2:SCRATCH_EN: 0
; COMPUTE_PGM_RSRC2:USER_SGPR: 6
; COMPUTE_PGM_RSRC2:TRAP_HANDLER: 0
; COMPUTE_PGM_RSRC2:TGID_X_EN: 1
; COMPUTE_PGM_RSRC2:TGID_Y_EN: 1
; COMPUTE_PGM_RSRC2:TGID_Z_EN: 0
; COMPUTE_PGM_RSRC2:TIDIG_COMP_CNT: 1
	.section	.text._ZN2at6native12_GLOBAL__N_135GammaBetaBackwardCUDAKernelTemplateIN3c108BFloat16EfLj64ELj8ELj64ELb0ELb1ELb1EEEvllPKT_S7_PKT0_SA_PS5_SB_,"axG",@progbits,_ZN2at6native12_GLOBAL__N_135GammaBetaBackwardCUDAKernelTemplateIN3c108BFloat16EfLj64ELj8ELj64ELb0ELb1ELb1EEEvllPKT_S7_PKT0_SA_PS5_SB_,comdat
	.globl	_ZN2at6native12_GLOBAL__N_135GammaBetaBackwardCUDAKernelTemplateIN3c108BFloat16EfLj64ELj8ELj64ELb0ELb1ELb1EEEvllPKT_S7_PKT0_SA_PS5_SB_ ; -- Begin function _ZN2at6native12_GLOBAL__N_135GammaBetaBackwardCUDAKernelTemplateIN3c108BFloat16EfLj64ELj8ELj64ELb0ELb1ELb1EEEvllPKT_S7_PKT0_SA_PS5_SB_
	.p2align	8
	.type	_ZN2at6native12_GLOBAL__N_135GammaBetaBackwardCUDAKernelTemplateIN3c108BFloat16EfLj64ELj8ELj64ELb0ELb1ELb1EEEvllPKT_S7_PKT0_SA_PS5_SB_,@function
_ZN2at6native12_GLOBAL__N_135GammaBetaBackwardCUDAKernelTemplateIN3c108BFloat16EfLj64ELj8ELj64ELb0ELb1ELb1EEEvllPKT_S7_PKT0_SA_PS5_SB_: ; @_ZN2at6native12_GLOBAL__N_135GammaBetaBackwardCUDAKernelTemplateIN3c108BFloat16EfLj64ELj8ELj64ELb0ELb1ELb1EEEvllPKT_S7_PKT0_SA_PS5_SB_
; %bb.0:
	s_load_dwordx4 s[8:11], s[4:5], 0x0
	s_lshl_b32 s18, s7, 6
	s_mov_b32 s19, 0
	v_mov_b32_e32 v2, s18
	v_mov_b32_e32 v3, s19
	s_waitcnt lgkmcnt(0)
	v_cmp_gt_i64_e32 vcc, s[8:9], v[2:3]
	s_cbranch_vccnz .LBB192_2
; %bb.1:
	s_mov_b64 s[0:1], 0
	s_branch .LBB192_3
.LBB192_2:
	s_mov_b64 s[0:1], -1
.LBB192_3:
	s_load_dwordx2 s[16:17], s[4:5], 0x30
	v_mov_b32_e32 v3, 0
	s_andn2_b64 vcc, exec, s[0:1]
	v_mbcnt_lo_u32_b32 v8, -1, 0
	s_cbranch_vccnz .LBB192_10
; %bb.4:
	s_load_dword s0, s[4:5], 0x4c
	s_load_dword s7, s[4:5], 0x44
	s_load_dwordx4 s[12:15], s[4:5], 0x10
	s_load_dwordx2 s[2:3], s[4:5], 0x28
	v_lshlrev_b32_e32 v4, 3, v1
	s_waitcnt lgkmcnt(0)
	s_and_b32 s0, s0, 0xffff
	v_mad_u32_u24 v2, v1, s0, v0
	v_and_b32_e32 v5, 63, v2
	v_add_co_u32_e32 v10, vcc, s18, v4
	v_addc_co_u32_e64 v11, s[20:21], 0, 0, vcc
	v_add_co_u32_e32 v4, vcc, v10, v5
	v_cmp_gt_u32_e64 s[0:1], 8, v5
	v_mbcnt_hi_u32_b32 v6, -1, v8
	v_addc_co_u32_e32 v5, vcc, 0, v11, vcc
	v_mul_lo_u32 v14, s11, v10
	v_mul_lo_u32 v15, s10, v11
	v_mad_u64_u32 v[11:12], s[20:21], s10, v10, 0
	v_lshlrev_b32_e32 v6, 2, v6
	v_and_b32_e32 v9, 0x100, v6
	v_lshlrev_b64 v[6:7], 2, v[4:5]
	v_mov_b32_e32 v3, 0
	v_lshl_add_u32 v2, s6, 6, v0
	v_mov_b32_e32 v13, s3
	v_add_co_u32_e32 v6, vcc, s2, v6
	v_add3_u32 v12, v12, v15, v14
	v_addc_co_u32_e32 v7, vcc, v13, v7, vcc
	v_lshlrev_b64 v[11:12], 1, v[11:12]
	v_lshlrev_b64 v[13:14], 1, v[2:3]
	s_lshl_b32 s4, s7, 6
	s_mul_i32 s2, s11, s4
	s_mul_hi_u32 s3, s10, s4
	s_mov_b32 s5, 0
	v_add_co_u32_e32 v2, vcc, v11, v13
	s_add_i32 s3, s3, s2
	s_mul_i32 s2, s10, s4
	v_or_b32_e32 v10, 20, v9
	v_addc_co_u32_e32 v11, vcc, v12, v14, vcc
	v_or_b32_e32 v12, 24, v9
	v_or_b32_e32 v13, 28, v9
	s_lshl_b64 s[20:21], s[4:5], 2
	s_lshl_b64 s[22:23], s[2:3], 1
	;; [unrolled: 1-line block ×3, first 2 shown]
	s_branch .LBB192_7
.LBB192_5:                              ;   in Loop: Header=BB192_7 Depth=1
	s_or_b64 exec, exec, s[24:25]
.LBB192_6:                              ;   in Loop: Header=BB192_7 Depth=1
	s_or_b64 exec, exec, s[2:3]
	v_mov_b32_e32 v16, s13
	v_add_co_u32_e32 v15, vcc, s12, v2
	v_addc_co_u32_e32 v16, vcc, v16, v11, vcc
	v_mov_b32_e32 v18, s15
	v_add_co_u32_e32 v17, vcc, s14, v2
	v_addc_co_u32_e32 v18, vcc, v18, v11, vcc
	;; [unrolled: 3-line block ×3, first 2 shown]
	global_load_ushort v22, v[17:18], off
	v_add_co_u32_e32 v17, vcc, s10, v15
	global_load_ushort v15, v[15:16], off
	v_addc_co_u32_e32 v18, vcc, v16, v21, vcc
	s_add_u32 s18, s18, s4
	s_addc_u32 s19, s19, 0
	v_add_co_u32_e64 v6, s[2:3], s20, v6
	s_waitcnt vmcnt(1)
	v_lshlrev_b32_e32 v16, 16, v22
	global_load_ushort v22, v[19:20], off
	s_waitcnt vmcnt(1)
	v_lshlrev_b32_e32 v15, 16, v15
	v_mul_f32_e32 v15, v15, v16
	ds_bpermute_b32 v16, v9, v14
	s_waitcnt lgkmcnt(0)
	v_fmac_f32_e32 v3, v15, v16
	v_add_co_u32_e32 v15, vcc, s10, v19
	v_addc_co_u32_e32 v16, vcc, v20, v21, vcc
	v_add_co_u32_e32 v19, vcc, s10, v17
	global_load_ushort v17, v[17:18], off
	v_addc_co_u32_e32 v20, vcc, v18, v21, vcc
	s_waitcnt vmcnt(1)
	v_lshlrev_b32_e32 v18, 16, v22
	global_load_ushort v22, v[15:16], off
	s_waitcnt vmcnt(1)
	v_lshlrev_b32_e32 v17, 16, v17
	v_mul_f32_e32 v17, v17, v18
	v_or_b32_e32 v18, 4, v9
	ds_bpermute_b32 v18, v18, v14
	s_waitcnt lgkmcnt(0)
	v_fmac_f32_e32 v3, v17, v18
	v_add_co_u32_e32 v17, vcc, s10, v15
	v_addc_co_u32_e32 v18, vcc, v16, v21, vcc
	v_add_co_u32_e32 v15, vcc, s10, v19
	global_load_ushort v19, v[19:20], off
	v_addc_co_u32_e32 v16, vcc, v20, v21, vcc
	s_waitcnt vmcnt(1)
	v_lshlrev_b32_e32 v20, 16, v22
	global_load_ushort v22, v[17:18], off
	s_waitcnt vmcnt(1)
	v_lshlrev_b32_e32 v19, 16, v19
	v_mul_f32_e32 v19, v19, v20
	v_or_b32_e32 v20, 8, v9
	;; [unrolled: 15-line block ×4, first 2 shown]
	ds_bpermute_b32 v18, v18, v14
	s_waitcnt lgkmcnt(0)
	v_fmac_f32_e32 v3, v17, v18
	v_add_co_u32_e32 v17, vcc, s10, v15
	v_addc_co_u32_e32 v18, vcc, v16, v21, vcc
	v_add_co_u32_e32 v15, vcc, s10, v19
	global_load_ushort v19, v[19:20], off
	v_addc_co_u32_e32 v16, vcc, v20, v21, vcc
	s_waitcnt vmcnt(1)
	v_lshlrev_b32_e32 v20, 16, v22
	global_load_ushort v22, v[17:18], off
	s_waitcnt vmcnt(1)
	v_lshlrev_b32_e32 v19, 16, v19
	v_mul_f32_e32 v19, v19, v20
	ds_bpermute_b32 v20, v10, v14
	s_waitcnt lgkmcnt(0)
	v_fmac_f32_e32 v3, v19, v20
	v_add_co_u32_e32 v19, vcc, s10, v17
	v_addc_co_u32_e32 v20, vcc, v18, v21, vcc
	v_add_co_u32_e32 v17, vcc, s10, v15
	global_load_ushort v15, v[15:16], off
	v_addc_co_u32_e32 v18, vcc, v16, v21, vcc
	s_waitcnt vmcnt(1)
	v_lshlrev_b32_e32 v16, 16, v22
	s_waitcnt vmcnt(0)
	v_lshlrev_b32_e32 v15, 16, v15
	v_mul_f32_e32 v15, v15, v16
	ds_bpermute_b32 v16, v12, v14
	ds_bpermute_b32 v14, v13, v14
	s_waitcnt lgkmcnt(1)
	v_fmac_f32_e32 v3, v15, v16
	global_load_ushort v15, v[19:20], off
	global_load_ushort v16, v[17:18], off
	s_waitcnt vmcnt(1)
	v_lshlrev_b32_e32 v15, 16, v15
	s_waitcnt vmcnt(0)
	v_lshlrev_b32_e32 v16, 16, v16
	v_mul_f32_e32 v15, v16, v15
	s_waitcnt lgkmcnt(0)
	v_fmac_f32_e32 v3, v15, v14
	v_mov_b32_e32 v15, s9
	v_mov_b32_e32 v14, s8
	v_cmp_lt_i64_e32 vcc, s[18:19], v[14:15]
	v_mov_b32_e32 v14, s21
	v_addc_co_u32_e64 v7, s[2:3], v7, v14, s[2:3]
	v_add_co_u32_e64 v2, s[2:3], s22, v2
	v_mov_b32_e32 v14, s23
	v_addc_co_u32_e64 v11, s[2:3], v11, v14, s[2:3]
	v_add_co_u32_e64 v4, s[2:3], s4, v4
	v_addc_co_u32_e64 v5, s[2:3], 0, v5, s[2:3]
	s_cbranch_vccz .LBB192_10
.LBB192_7:                              ; =>This Inner Loop Header: Depth=1
	v_mov_b32_e32 v14, 0
	s_and_saveexec_b64 s[2:3], s[0:1]
	s_cbranch_execz .LBB192_6
; %bb.8:                                ;   in Loop: Header=BB192_7 Depth=1
	v_cmp_gt_i64_e32 vcc, s[8:9], v[4:5]
	v_mov_b32_e32 v14, 0
	s_and_saveexec_b64 s[24:25], vcc
	s_cbranch_execz .LBB192_5
; %bb.9:                                ;   in Loop: Header=BB192_7 Depth=1
	global_load_dword v14, v[6:7], off
	s_branch .LBB192_5
.LBB192_10:
	s_movk_i32 s0, 0x41
	v_mad_u32_u24 v2, v1, s0, v0
	v_lshl_add_u32 v2, v2, 2, 0
	ds_write_b32 v2, v3
	v_mov_b32_e32 v3, 0
	ds_write_b32 v2, v3 offset:2080
	v_lshrrev_b32_e32 v2, 6, v0
	v_add_u32_e32 v1, v2, v1
	v_cmp_gt_u32_e32 vcc, 64, v1
	s_waitcnt lgkmcnt(0)
	s_barrier
	s_and_saveexec_b64 s[0:1], vcc
	s_cbranch_execz .LBB192_50
; %bb.11:
	v_and_b32_e32 v2, 63, v0
	v_cmp_gt_u32_e64 s[0:1], 8, v2
	v_mul_u32_u24_e32 v3, 0x41, v2
                                        ; implicit-def: $vgpr2
	s_and_saveexec_b64 s[2:3], s[0:1]
; %bb.12:
	v_lshlrev_b32_e32 v2, 2, v1
	v_lshlrev_b32_e32 v4, 2, v3
	v_add3_u32 v2, 0, v2, v4
	ds_read_b32 v2, v2
; %bb.13:
	s_or_b64 exec, exec, s[2:3]
	v_mbcnt_hi_u32_b32 v6, -1, v8
	v_and_b32_e32 v4, 64, v6
	v_add_u32_e32 v7, 64, v4
	v_xor_b32_e32 v4, 4, v6
	v_cmp_lt_i32_e32 vcc, v4, v7
	v_cndmask_b32_e32 v4, v6, v4, vcc
	v_lshlrev_b32_e32 v4, 2, v4
	s_waitcnt lgkmcnt(0)
	ds_bpermute_b32 v5, v4, v2
	v_xor_b32_e32 v8, 2, v6
	v_cmp_lt_i32_e32 vcc, v8, v7
	s_cmp_lg_u64 s[16:17], 0
	s_mov_b32 s7, 0
	s_waitcnt lgkmcnt(0)
	v_add_f32_e32 v2, v2, v5
	v_cndmask_b32_e32 v5, v6, v8, vcc
	v_lshlrev_b32_e32 v5, 2, v5
	ds_bpermute_b32 v8, v5, v2
	v_cmp_eq_u32_e32 vcc, 0, v0
	v_xor_b32_e32 v0, 1, v6
	v_cmp_lt_i32_e64 s[2:3], v0, v7
	v_cndmask_b32_e64 v0, v6, v0, s[2:3]
	s_waitcnt lgkmcnt(0)
	v_add_f32_e32 v2, v2, v8
	v_lshlrev_b32_e32 v0, 2, v0
	ds_bpermute_b32 v6, v0, v2
	s_cselect_b64 s[4:5], -1, 0
	s_and_b64 s[2:3], vcc, s[4:5]
	s_lshl_b64 s[4:5], s[6:7], 7
	s_add_u32 s6, s16, s4
	s_addc_u32 s7, s17, s5
	s_waitcnt lgkmcnt(0)
	v_add_f32_e32 v6, v2, v6
	s_and_saveexec_b64 s[4:5], s[2:3]
	s_cbranch_execz .LBB192_15
; %bb.14:
	v_bfe_u32 v7, v6, 16, 1
	s_movk_i32 s8, 0x7fff
	v_mov_b32_e32 v2, 0
	v_add3_u32 v7, v6, v7, s8
	v_cmp_o_f32_e32 vcc, v6, v6
	v_mov_b32_e32 v8, 0x7fc0
	v_cndmask_b32_sdwa v9, v8, v7, vcc dst_sel:DWORD dst_unused:UNUSED_PAD src0_sel:DWORD src1_sel:WORD_1
	v_lshlrev_b64 v[7:8], 1, v[1:2]
	v_mov_b32_e32 v2, s7
	v_add_co_u32_e32 v7, vcc, s6, v7
	v_addc_co_u32_e32 v8, vcc, v2, v8, vcc
	global_store_short v[7:8], v9, off
.LBB192_15:
	s_or_b64 exec, exec, s[4:5]
	v_cmp_gt_u32_e32 vcc, 56, v1
	s_and_b64 exec, exec, vcc
	s_cbranch_execz .LBB192_50
; %bb.16:
	s_and_saveexec_b64 s[4:5], s[0:1]
; %bb.17:
	v_lshlrev_b32_e32 v2, 2, v1
	v_lshlrev_b32_e32 v6, 2, v3
	v_add3_u32 v2, 0, v2, v6
	ds_read_b32 v6, v2 offset:32
; %bb.18:
	s_or_b64 exec, exec, s[4:5]
	s_waitcnt lgkmcnt(0)
	ds_bpermute_b32 v2, v4, v6
	s_waitcnt lgkmcnt(0)
	v_add_f32_e32 v2, v6, v2
	ds_bpermute_b32 v6, v5, v2
	s_waitcnt lgkmcnt(0)
	v_add_f32_e32 v2, v2, v6
	ds_bpermute_b32 v6, v0, v2
	s_waitcnt lgkmcnt(0)
	v_add_f32_e32 v6, v2, v6
	s_and_saveexec_b64 s[4:5], s[2:3]
	s_cbranch_execz .LBB192_20
; %bb.19:
	v_bfe_u32 v2, v6, 16, 1
	s_movk_i32 s8, 0x7fff
	v_add3_u32 v2, v6, v2, s8
	v_cmp_o_f32_e32 vcc, v6, v6
	v_mov_b32_e32 v7, 0x7fc0
	v_cndmask_b32_sdwa v9, v7, v2, vcc dst_sel:DWORD dst_unused:UNUSED_PAD src0_sel:DWORD src1_sel:WORD_1
	v_mov_b32_e32 v2, 0
	v_lshlrev_b64 v[7:8], 1, v[1:2]
	v_mov_b32_e32 v2, s7
	v_add_co_u32_e32 v7, vcc, s6, v7
	v_addc_co_u32_e32 v8, vcc, v2, v8, vcc
	global_store_short v[7:8], v9, off offset:16
.LBB192_20:
	s_or_b64 exec, exec, s[4:5]
	v_cmp_gt_u32_e32 vcc, 48, v1
	s_and_b64 exec, exec, vcc
	s_cbranch_execz .LBB192_50
; %bb.21:
	s_and_saveexec_b64 s[4:5], s[0:1]
; %bb.22:
	v_lshlrev_b32_e32 v2, 2, v1
	v_lshlrev_b32_e32 v6, 2, v3
	v_add3_u32 v2, 0, v2, v6
	ds_read_b32 v6, v2 offset:64
; %bb.23:
	s_or_b64 exec, exec, s[4:5]
	s_waitcnt lgkmcnt(0)
	ds_bpermute_b32 v2, v4, v6
	s_waitcnt lgkmcnt(0)
	v_add_f32_e32 v2, v6, v2
	ds_bpermute_b32 v6, v5, v2
	s_waitcnt lgkmcnt(0)
	v_add_f32_e32 v2, v2, v6
	ds_bpermute_b32 v6, v0, v2
	s_waitcnt lgkmcnt(0)
	v_add_f32_e32 v6, v2, v6
	s_and_saveexec_b64 s[4:5], s[2:3]
	s_cbranch_execz .LBB192_25
; %bb.24:
	v_bfe_u32 v2, v6, 16, 1
	s_movk_i32 s8, 0x7fff
	v_add3_u32 v2, v6, v2, s8
	v_cmp_o_f32_e32 vcc, v6, v6
	v_mov_b32_e32 v7, 0x7fc0
	v_cndmask_b32_sdwa v9, v7, v2, vcc dst_sel:DWORD dst_unused:UNUSED_PAD src0_sel:DWORD src1_sel:WORD_1
	v_mov_b32_e32 v2, 0
	v_lshlrev_b64 v[7:8], 1, v[1:2]
	v_mov_b32_e32 v2, s7
	v_add_co_u32_e32 v7, vcc, s6, v7
	v_addc_co_u32_e32 v8, vcc, v2, v8, vcc
	global_store_short v[7:8], v9, off offset:32
.LBB192_25:
	;; [unrolled: 39-line block ×6, first 2 shown]
	s_or_b64 exec, exec, s[4:5]
	v_cmp_gt_u32_e32 vcc, 8, v1
	s_and_b64 exec, exec, vcc
	s_cbranch_execz .LBB192_50
; %bb.46:
	s_and_saveexec_b64 s[4:5], s[0:1]
; %bb.47:
	v_lshlrev_b32_e32 v2, 2, v1
	v_lshlrev_b32_e32 v3, 2, v3
	v_add3_u32 v2, 0, v2, v3
	ds_read_b32 v6, v2 offset:224
; %bb.48:
	s_or_b64 exec, exec, s[4:5]
	s_waitcnt lgkmcnt(0)
	ds_bpermute_b32 v2, v4, v6
	s_waitcnt lgkmcnt(0)
	v_add_f32_e32 v2, v6, v2
	ds_bpermute_b32 v3, v5, v2
	s_waitcnt lgkmcnt(0)
	v_add_f32_e32 v2, v2, v3
	ds_bpermute_b32 v0, v0, v2
	s_and_saveexec_b64 s[0:1], s[2:3]
	s_xor_b64 s[0:1], exec, s[0:1]
	s_cbranch_execz .LBB192_50
; %bb.49:
	s_waitcnt lgkmcnt(0)
	v_add_f32_e32 v0, v2, v0
	v_bfe_u32 v2, v0, 16, 1
	s_movk_i32 s0, 0x7fff
	v_add3_u32 v2, v0, v2, s0
	v_cmp_o_f32_e32 vcc, v0, v0
	v_mov_b32_e32 v0, 0x7fc0
	v_cndmask_b32_sdwa v3, v0, v2, vcc dst_sel:DWORD dst_unused:UNUSED_PAD src0_sel:DWORD src1_sel:WORD_1
	v_mov_b32_e32 v2, 0
	v_lshlrev_b64 v[0:1], 1, v[1:2]
	v_mov_b32_e32 v2, s7
	v_add_co_u32_e32 v0, vcc, s6, v0
	v_addc_co_u32_e32 v1, vcc, v2, v1, vcc
	global_store_short v[0:1], v3, off offset:112
.LBB192_50:
	s_endpgm
	.section	.rodata,"a",@progbits
	.p2align	6, 0x0
	.amdhsa_kernel _ZN2at6native12_GLOBAL__N_135GammaBetaBackwardCUDAKernelTemplateIN3c108BFloat16EfLj64ELj8ELj64ELb0ELb1ELb1EEEvllPKT_S7_PKT0_SA_PS5_SB_
		.amdhsa_group_segment_fixed_size 0
		.amdhsa_private_segment_fixed_size 0
		.amdhsa_kernarg_size 320
		.amdhsa_user_sgpr_count 6
		.amdhsa_user_sgpr_private_segment_buffer 1
		.amdhsa_user_sgpr_dispatch_ptr 0
		.amdhsa_user_sgpr_queue_ptr 0
		.amdhsa_user_sgpr_kernarg_segment_ptr 1
		.amdhsa_user_sgpr_dispatch_id 0
		.amdhsa_user_sgpr_flat_scratch_init 0
		.amdhsa_user_sgpr_private_segment_size 0
		.amdhsa_uses_dynamic_stack 0
		.amdhsa_system_sgpr_private_segment_wavefront_offset 0
		.amdhsa_system_sgpr_workgroup_id_x 1
		.amdhsa_system_sgpr_workgroup_id_y 1
		.amdhsa_system_sgpr_workgroup_id_z 0
		.amdhsa_system_sgpr_workgroup_info 0
		.amdhsa_system_vgpr_workitem_id 1
		.amdhsa_next_free_vgpr 23
		.amdhsa_next_free_sgpr 26
		.amdhsa_reserve_vcc 1
		.amdhsa_reserve_flat_scratch 0
		.amdhsa_float_round_mode_32 0
		.amdhsa_float_round_mode_16_64 0
		.amdhsa_float_denorm_mode_32 3
		.amdhsa_float_denorm_mode_16_64 3
		.amdhsa_dx10_clamp 1
		.amdhsa_ieee_mode 1
		.amdhsa_fp16_overflow 0
		.amdhsa_exception_fp_ieee_invalid_op 0
		.amdhsa_exception_fp_denorm_src 0
		.amdhsa_exception_fp_ieee_div_zero 0
		.amdhsa_exception_fp_ieee_overflow 0
		.amdhsa_exception_fp_ieee_underflow 0
		.amdhsa_exception_fp_ieee_inexact 0
		.amdhsa_exception_int_div_zero 0
	.end_amdhsa_kernel
	.section	.text._ZN2at6native12_GLOBAL__N_135GammaBetaBackwardCUDAKernelTemplateIN3c108BFloat16EfLj64ELj8ELj64ELb0ELb1ELb1EEEvllPKT_S7_PKT0_SA_PS5_SB_,"axG",@progbits,_ZN2at6native12_GLOBAL__N_135GammaBetaBackwardCUDAKernelTemplateIN3c108BFloat16EfLj64ELj8ELj64ELb0ELb1ELb1EEEvllPKT_S7_PKT0_SA_PS5_SB_,comdat
.Lfunc_end192:
	.size	_ZN2at6native12_GLOBAL__N_135GammaBetaBackwardCUDAKernelTemplateIN3c108BFloat16EfLj64ELj8ELj64ELb0ELb1ELb1EEEvllPKT_S7_PKT0_SA_PS5_SB_, .Lfunc_end192-_ZN2at6native12_GLOBAL__N_135GammaBetaBackwardCUDAKernelTemplateIN3c108BFloat16EfLj64ELj8ELj64ELb0ELb1ELb1EEEvllPKT_S7_PKT0_SA_PS5_SB_
                                        ; -- End function
	.set _ZN2at6native12_GLOBAL__N_135GammaBetaBackwardCUDAKernelTemplateIN3c108BFloat16EfLj64ELj8ELj64ELb0ELb1ELb1EEEvllPKT_S7_PKT0_SA_PS5_SB_.num_vgpr, 23
	.set _ZN2at6native12_GLOBAL__N_135GammaBetaBackwardCUDAKernelTemplateIN3c108BFloat16EfLj64ELj8ELj64ELb0ELb1ELb1EEEvllPKT_S7_PKT0_SA_PS5_SB_.num_agpr, 0
	.set _ZN2at6native12_GLOBAL__N_135GammaBetaBackwardCUDAKernelTemplateIN3c108BFloat16EfLj64ELj8ELj64ELb0ELb1ELb1EEEvllPKT_S7_PKT0_SA_PS5_SB_.numbered_sgpr, 26
	.set _ZN2at6native12_GLOBAL__N_135GammaBetaBackwardCUDAKernelTemplateIN3c108BFloat16EfLj64ELj8ELj64ELb0ELb1ELb1EEEvllPKT_S7_PKT0_SA_PS5_SB_.num_named_barrier, 0
	.set _ZN2at6native12_GLOBAL__N_135GammaBetaBackwardCUDAKernelTemplateIN3c108BFloat16EfLj64ELj8ELj64ELb0ELb1ELb1EEEvllPKT_S7_PKT0_SA_PS5_SB_.private_seg_size, 0
	.set _ZN2at6native12_GLOBAL__N_135GammaBetaBackwardCUDAKernelTemplateIN3c108BFloat16EfLj64ELj8ELj64ELb0ELb1ELb1EEEvllPKT_S7_PKT0_SA_PS5_SB_.uses_vcc, 1
	.set _ZN2at6native12_GLOBAL__N_135GammaBetaBackwardCUDAKernelTemplateIN3c108BFloat16EfLj64ELj8ELj64ELb0ELb1ELb1EEEvllPKT_S7_PKT0_SA_PS5_SB_.uses_flat_scratch, 0
	.set _ZN2at6native12_GLOBAL__N_135GammaBetaBackwardCUDAKernelTemplateIN3c108BFloat16EfLj64ELj8ELj64ELb0ELb1ELb1EEEvllPKT_S7_PKT0_SA_PS5_SB_.has_dyn_sized_stack, 0
	.set _ZN2at6native12_GLOBAL__N_135GammaBetaBackwardCUDAKernelTemplateIN3c108BFloat16EfLj64ELj8ELj64ELb0ELb1ELb1EEEvllPKT_S7_PKT0_SA_PS5_SB_.has_recursion, 0
	.set _ZN2at6native12_GLOBAL__N_135GammaBetaBackwardCUDAKernelTemplateIN3c108BFloat16EfLj64ELj8ELj64ELb0ELb1ELb1EEEvllPKT_S7_PKT0_SA_PS5_SB_.has_indirect_call, 0
	.section	.AMDGPU.csdata,"",@progbits
; Kernel info:
; codeLenInByte = 2648
; TotalNumSgprs: 30
; NumVgprs: 23
; ScratchSize: 0
; MemoryBound: 0
; FloatMode: 240
; IeeeMode: 1
; LDSByteSize: 0 bytes/workgroup (compile time only)
; SGPRBlocks: 3
; VGPRBlocks: 5
; NumSGPRsForWavesPerEU: 30
; NumVGPRsForWavesPerEU: 23
; Occupancy: 10
; WaveLimiterHint : 0
; COMPUTE_PGM_RSRC2:SCRATCH_EN: 0
; COMPUTE_PGM_RSRC2:USER_SGPR: 6
; COMPUTE_PGM_RSRC2:TRAP_HANDLER: 0
; COMPUTE_PGM_RSRC2:TGID_X_EN: 1
; COMPUTE_PGM_RSRC2:TGID_Y_EN: 1
; COMPUTE_PGM_RSRC2:TGID_Z_EN: 0
; COMPUTE_PGM_RSRC2:TIDIG_COMP_CNT: 1
	.section	.text._ZN2at6native12_GLOBAL__N_135GammaBetaBackwardCUDAKernelTemplateIN3c108BFloat16EfLj64ELj8ELj64ELb0ELb0ELb1EEEvllPKT_S7_PKT0_SA_PS5_SB_,"axG",@progbits,_ZN2at6native12_GLOBAL__N_135GammaBetaBackwardCUDAKernelTemplateIN3c108BFloat16EfLj64ELj8ELj64ELb0ELb0ELb1EEEvllPKT_S7_PKT0_SA_PS5_SB_,comdat
	.globl	_ZN2at6native12_GLOBAL__N_135GammaBetaBackwardCUDAKernelTemplateIN3c108BFloat16EfLj64ELj8ELj64ELb0ELb0ELb1EEEvllPKT_S7_PKT0_SA_PS5_SB_ ; -- Begin function _ZN2at6native12_GLOBAL__N_135GammaBetaBackwardCUDAKernelTemplateIN3c108BFloat16EfLj64ELj8ELj64ELb0ELb0ELb1EEEvllPKT_S7_PKT0_SA_PS5_SB_
	.p2align	8
	.type	_ZN2at6native12_GLOBAL__N_135GammaBetaBackwardCUDAKernelTemplateIN3c108BFloat16EfLj64ELj8ELj64ELb0ELb0ELb1EEEvllPKT_S7_PKT0_SA_PS5_SB_,@function
_ZN2at6native12_GLOBAL__N_135GammaBetaBackwardCUDAKernelTemplateIN3c108BFloat16EfLj64ELj8ELj64ELb0ELb0ELb1EEEvllPKT_S7_PKT0_SA_PS5_SB_: ; @_ZN2at6native12_GLOBAL__N_135GammaBetaBackwardCUDAKernelTemplateIN3c108BFloat16EfLj64ELj8ELj64ELb0ELb0ELb1EEEvllPKT_S7_PKT0_SA_PS5_SB_
; %bb.0:
	s_load_dwordx8 s[12:19], s[4:5], 0x0
	s_load_dwordx2 s[10:11], s[4:5], 0x28
	s_lshl_b32 s20, s7, 6
	s_lshl_b32 s33, s6, 6
	s_mov_b32 s21, 0
	v_mov_b32_e32 v2, s20
	s_or_b32 s0, s33, 63
	v_mov_b32_e32 v3, s21
	v_mov_b32_e32 v48, s0
	;; [unrolled: 1-line block ×3, first 2 shown]
	s_waitcnt lgkmcnt(0)
	v_cmp_gt_i64_e64 s[0:1], s[12:13], v[2:3]
	v_cmp_le_i64_e32 vcc, s[14:15], v[48:49]
	v_cndmask_b32_e64 v2, 0, 1, s[0:1]
	v_cmp_ne_u32_e64 s[0:1], 1, v2
	s_cbranch_vccz .LBB193_49
; %bb.1:
	s_and_b64 vcc, exec, s[0:1]
	s_cbranch_vccnz .LBB193_50
; %bb.2:
	v_lshlrev_b32_e32 v21, 3, v1
	v_add_co_u32_e32 v9, vcc, s20, v21
	v_addc_co_u32_e64 v10, s[2:3], 0, 0, vcc
	v_mul_lo_u32 v7, s15, v9
	v_mul_lo_u32 v8, s14, v10
	v_mad_u64_u32 v[5:6], s[2:3], s14, v9, 0
	v_mov_b32_e32 v2, 0
	s_load_dword s7, s[4:5], 0x44
	v_add_u32_e32 v3, s33, v0
	v_mov_b32_e32 v4, v2
	v_add3_u32 v6, v6, v8, v7
	v_cmp_gt_i64_e64 s[2:3], s[14:15], v[3:4]
	v_lshlrev_b64 v[19:20], 1, v[3:4]
	v_lshlrev_b64 v[3:4], 1, v[5:6]
	s_add_u32 s22, s4, 64
	v_mov_b32_e32 v7, s17
	v_add_co_u32_e32 v22, vcc, s16, v3
	s_addc_u32 s23, s5, 0
	s_waitcnt lgkmcnt(0)
	s_lshl_b32 s7, s7, 6
	v_addc_co_u32_e32 v23, vcc, v7, v4, vcc
	s_mul_i32 s8, s15, s7
	s_mul_hi_u32 s9, s14, s7
	v_add_co_u32_e32 v7, vcc, 7, v9
	s_add_i32 s9, s9, s8
	s_mul_i32 s8, s14, s7
	v_addc_co_u32_e32 v8, vcc, 0, v10, vcc
	s_lshl_b64 s[24:25], s[8:9], 1
	v_mul_lo_u32 v12, s15, v7
	v_mul_lo_u32 v13, s14, v8
	v_mad_u64_u32 v[7:8], s[8:9], s14, v7, 0
	v_mov_b32_e32 v11, s19
	v_add_co_u32_e32 v24, vcc, s18, v3
	v_add3_u32 v8, v8, v13, v12
	v_addc_co_u32_e32 v25, vcc, v11, v4, vcc
	v_lshlrev_b64 v[3:4], 1, v[7:8]
	v_mov_b32_e32 v7, s17
	v_add_co_u32_e32 v26, vcc, s16, v3
	v_addc_co_u32_e32 v27, vcc, v7, v4, vcc
	v_add_co_u32_e32 v7, vcc, 6, v9
	v_addc_co_u32_e32 v8, vcc, 0, v10, vcc
	v_mul_lo_u32 v12, s15, v7
	v_mul_lo_u32 v13, s14, v8
	v_mad_u64_u32 v[7:8], s[8:9], s14, v7, 0
	v_add_co_u32_e32 v28, vcc, s18, v3
	v_add3_u32 v8, v8, v13, v12
	v_addc_co_u32_e32 v29, vcc, v11, v4, vcc
	v_lshlrev_b64 v[3:4], 1, v[7:8]
	v_mov_b32_e32 v7, s17
	v_add_co_u32_e32 v30, vcc, s16, v3
	v_addc_co_u32_e32 v31, vcc, v7, v4, vcc
	v_add_co_u32_e32 v7, vcc, 5, v9
	v_addc_co_u32_e32 v8, vcc, 0, v10, vcc
	v_mul_lo_u32 v12, s15, v7
	v_mul_lo_u32 v13, s14, v8
	v_mad_u64_u32 v[7:8], s[8:9], s14, v7, 0
	;; [unrolled: 12-line block ×5, first 2 shown]
	v_add_co_u32_e32 v44, vcc, s18, v3
	v_add3_u32 v8, v8, v10, v9
	v_addc_co_u32_e32 v45, vcc, v11, v4, vcc
	v_lshlrev_b64 v[3:4], 1, v[7:8]
	v_mov_b32_e32 v7, s17
	v_add_co_u32_e32 v46, vcc, s16, v3
	v_addc_co_u32_e32 v47, vcc, v7, v4, vcc
	v_mov_b32_e32 v7, s19
	v_add_co_u32_e32 v48, vcc, s18, v3
	v_addc_co_u32_e32 v50, vcc, v7, v4, vcc
	;; [unrolled: 3-line block ×3, first 2 shown]
	v_lshlrev_b64 v[3:4], 1, v[3:4]
	v_mov_b32_e32 v5, s17
	v_add_co_u32_e32 v51, vcc, s16, v3
	v_addc_co_u32_e32 v52, vcc, v5, v4, vcc
	v_add_co_u32_e32 v53, vcc, s18, v3
	v_mbcnt_lo_u32_b32 v3, -1, 0
	v_mbcnt_hi_u32_b32 v3, -1, v3
	v_mov_b32_e32 v5, s19
	s_add_u32 s26, s20, 63
	v_lshlrev_b32_e32 v3, 2, v3
	v_addc_co_u32_e32 v54, vcc, v5, v4, vcc
	s_addc_u32 s27, 0, 0
	v_and_b32_e32 v55, 0x100, v3
	s_mov_b64 s[28:29], s[20:21]
	v_mov_b32_e32 v56, 0
.LBB193_3:                              ; =>This Inner Loop Header: Depth=1
	v_mov_b32_e32 v3, s12
	v_mov_b32_e32 v4, s13
	v_cmp_ge_i64_e32 vcc, s[26:27], v[3:4]
	v_mov_b32_e32 v3, s27
	v_add_co_u32_e64 v57, s[8:9], s26, v21
	v_addc_co_u32_e64 v58, s[8:9], 0, v3, s[8:9]
	s_mov_b64 s[8:9], -1
	s_and_b64 vcc, exec, vcc
                                        ; implicit-def: $vgpr3_vgpr4_vgpr5_vgpr6_vgpr7_vgpr8_vgpr9_vgpr10
                                        ; implicit-def: $vgpr49
                                        ; implicit-def: $vgpr11_vgpr12_vgpr13_vgpr14_vgpr15_vgpr16_vgpr17_vgpr18
                                        ; implicit-def: $vgpr3
	s_cbranch_vccz .LBB193_25
; %bb.4:                                ;   in Loop: Header=BB193_3 Depth=1
	s_load_dword s8, s[22:23], 0xc
	v_mov_b32_e32 v59, 0
	s_waitcnt lgkmcnt(0)
	s_and_b32 s8, s8, 0xffff
	v_mad_u32_u24 v3, v1, s8, v0
	v_and_b32_e32 v3, 63, v3
	v_cmp_gt_u32_e32 vcc, 8, v3
	s_and_saveexec_b64 s[8:9], vcc
	s_cbranch_execz .LBB193_8
; %bb.5:                                ;   in Loop: Header=BB193_3 Depth=1
	v_add_co_u32_e32 v3, vcc, v57, v3
	v_addc_co_u32_e32 v4, vcc, 0, v58, vcc
	v_add_co_u32_e32 v3, vcc, 0xffffffc1, v3
	v_addc_co_u32_e32 v4, vcc, -1, v4, vcc
	v_cmp_gt_i64_e32 vcc, s[12:13], v[3:4]
	v_mov_b32_e32 v59, 0
	s_and_saveexec_b64 s[30:31], vcc
	s_cbranch_execz .LBB193_7
; %bb.6:                                ;   in Loop: Header=BB193_3 Depth=1
	v_lshlrev_b64 v[3:4], 2, v[3:4]
	v_mov_b32_e32 v5, s11
	v_add_co_u32_e32 v3, vcc, s10, v3
	v_addc_co_u32_e32 v4, vcc, v5, v4, vcc
	global_load_dword v59, v[3:4], off
.LBB193_7:                              ;   in Loop: Header=BB193_3 Depth=1
	s_or_b64 exec, exec, s[30:31]
.LBB193_8:                              ;   in Loop: Header=BB193_3 Depth=1
	s_or_b64 exec, exec, s[8:9]
	v_add_co_u32_e32 v3, vcc, 0xffffffc1, v57
	v_addc_co_u32_e32 v4, vcc, -1, v58, vcc
	v_mov_b32_e32 v9, v2
	v_cmp_gt_i64_e32 vcc, s[12:13], v[3:4]
	v_mov_b32_e32 v3, v2
	v_mov_b32_e32 v4, v2
	;; [unrolled: 1-line block ×15, first 2 shown]
	s_and_b64 s[30:31], s[2:3], vcc
	v_mov_b32_e32 v9, v8
	v_mov_b32_e32 v8, v7
	;; [unrolled: 1-line block ×7, first 2 shown]
	s_and_saveexec_b64 s[8:9], s[30:31]
	s_cbranch_execz .LBB193_10
; %bb.9:                                ;   in Loop: Header=BB193_3 Depth=1
	v_add_co_u32_e32 v3, vcc, v22, v19
	v_addc_co_u32_e32 v4, vcc, v23, v20, vcc
	global_load_ushort v11, v[3:4], off
	v_add_co_u32_e32 v3, vcc, v24, v19
	v_addc_co_u32_e32 v4, vcc, v25, v20, vcc
	global_load_ushort v18, v[3:4], off
	v_mov_b32_e32 v4, v2
	v_mov_b32_e32 v5, v2
	;; [unrolled: 1-line block ×13, first 2 shown]
	s_waitcnt vmcnt(1)
	v_lshlrev_b32_e32 v3, 16, v11
	s_waitcnt vmcnt(0)
	v_lshlrev_b32_e32 v11, 16, v18
	v_mov_b32_e32 v18, v2
.LBB193_10:                             ;   in Loop: Header=BB193_3 Depth=1
	s_or_b64 exec, exec, s[8:9]
	v_add_co_u32_e32 v60, vcc, 0xffffffc2, v57
	v_addc_co_u32_e32 v61, vcc, -1, v58, vcc
	v_cmp_gt_i64_e32 vcc, s[12:13], v[60:61]
	s_and_b64 s[30:31], s[2:3], vcc
	s_and_saveexec_b64 s[8:9], s[30:31]
	s_cbranch_execz .LBB193_12
; %bb.11:                               ;   in Loop: Header=BB193_3 Depth=1
	v_add_co_u32_e32 v60, vcc, v51, v19
	v_addc_co_u32_e32 v61, vcc, v52, v20, vcc
	global_load_ushort v4, v[60:61], off
	v_add_co_u32_e32 v60, vcc, v53, v19
	v_addc_co_u32_e32 v61, vcc, v54, v20, vcc
	global_load_ushort v12, v[60:61], off
	s_waitcnt vmcnt(1)
	v_lshlrev_b32_e32 v4, 16, v4
	s_waitcnt vmcnt(0)
	v_lshlrev_b32_e32 v12, 16, v12
.LBB193_12:                             ;   in Loop: Header=BB193_3 Depth=1
	s_or_b64 exec, exec, s[8:9]
	v_add_co_u32_e32 v60, vcc, 0xffffffc3, v57
	v_addc_co_u32_e32 v61, vcc, -1, v58, vcc
	v_cmp_gt_i64_e32 vcc, s[12:13], v[60:61]
	s_and_b64 s[30:31], s[2:3], vcc
	s_and_saveexec_b64 s[8:9], s[30:31]
	s_cbranch_execz .LBB193_14
; %bb.13:                               ;   in Loop: Header=BB193_3 Depth=1
	v_add_co_u32_e32 v60, vcc, v46, v19
	v_addc_co_u32_e32 v61, vcc, v47, v20, vcc
	global_load_ushort v5, v[60:61], off
	v_add_co_u32_e32 v60, vcc, v48, v19
	v_addc_co_u32_e32 v61, vcc, v50, v20, vcc
	global_load_ushort v13, v[60:61], off
	s_waitcnt vmcnt(1)
	v_lshlrev_b32_e32 v5, 16, v5
	s_waitcnt vmcnt(0)
	v_lshlrev_b32_e32 v13, 16, v13
.LBB193_14:                             ;   in Loop: Header=BB193_3 Depth=1
	;; [unrolled: 19-line block ×7, first 2 shown]
	s_or_b64 exec, exec, s[8:9]
	s_waitcnt vmcnt(0)
	ds_bpermute_b32 v49, v55, v59
	ds_bpermute_b32 v60, v55, v59 offset:4
	v_mul_f32_e32 v3, v11, v3
	ds_bpermute_b32 v11, v55, v59 offset:8
	v_mul_f32_e32 v4, v12, v4
	s_waitcnt lgkmcnt(2)
	v_fma_f32 v49, v3, v49, v56
	s_waitcnt lgkmcnt(1)
	v_fmac_f32_e32 v49, v4, v60
	ds_bpermute_b32 v3, v55, v59 offset:12
	v_mul_f32_e32 v4, v13, v5
	s_waitcnt lgkmcnt(1)
	v_fmac_f32_e32 v49, v4, v11
	ds_bpermute_b32 v4, v55, v59 offset:16
	v_mul_f32_e32 v5, v14, v6
	s_waitcnt lgkmcnt(1)
	v_fmac_f32_e32 v49, v5, v3
	v_mul_f32_e32 v3, v15, v7
	ds_bpermute_b32 v5, v55, v59 offset:20
	s_waitcnt lgkmcnt(1)
	v_fmac_f32_e32 v49, v3, v4
	ds_bpermute_b32 v4, v55, v59 offset:24
	ds_bpermute_b32 v3, v55, v59 offset:28
	v_mul_f32_e32 v6, v16, v8
	s_waitcnt lgkmcnt(2)
	v_fmac_f32_e32 v49, v6, v5
	v_mul_f32_e32 v5, v17, v9
	s_waitcnt lgkmcnt(1)
	v_fmac_f32_e32 v49, v5, v4
	s_mov_b64 s[8:9], 0
.LBB193_25:                             ;   in Loop: Header=BB193_3 Depth=1
	s_and_b64 vcc, exec, s[8:9]
	s_cbranch_vccz .LBB193_40
; %bb.26:                               ;   in Loop: Header=BB193_3 Depth=1
	s_load_dword s8, s[22:23], 0x0
	v_mov_b32_e32 v49, 0
	s_waitcnt lgkmcnt(0)
	s_cmp_lt_u32 s6, s8
	s_cselect_b32 s8, 12, 18
	s_add_u32 s8, s22, s8
	s_addc_u32 s9, s23, 0
	global_load_ushort v3, v2, s[8:9]
	s_waitcnt vmcnt(0)
	v_mad_u32_u24 v3, v1, v3, v0
	v_and_b32_e32 v3, 63, v3
	v_cmp_gt_u32_e32 vcc, 8, v3
	s_and_saveexec_b64 s[8:9], vcc
	s_cbranch_execz .LBB193_30
; %bb.27:                               ;   in Loop: Header=BB193_3 Depth=1
	v_add_co_u32_e32 v3, vcc, v57, v3
	v_addc_co_u32_e32 v4, vcc, 0, v58, vcc
	v_add_co_u32_e32 v3, vcc, 0xffffffc1, v3
	v_addc_co_u32_e32 v4, vcc, -1, v4, vcc
	v_cmp_gt_i64_e32 vcc, s[12:13], v[3:4]
	v_mov_b32_e32 v49, 0
	s_and_saveexec_b64 s[30:31], vcc
	s_cbranch_execz .LBB193_29
; %bb.28:                               ;   in Loop: Header=BB193_3 Depth=1
	v_lshlrev_b64 v[3:4], 2, v[3:4]
	v_mov_b32_e32 v5, s11
	v_add_co_u32_e32 v3, vcc, s10, v3
	v_addc_co_u32_e32 v4, vcc, v5, v4, vcc
	global_load_dword v49, v[3:4], off
.LBB193_29:                             ;   in Loop: Header=BB193_3 Depth=1
	s_or_b64 exec, exec, s[30:31]
.LBB193_30:                             ;   in Loop: Header=BB193_3 Depth=1
	s_or_b64 exec, exec, s[8:9]
	v_mov_b32_e32 v9, v2
	v_mov_b32_e32 v3, v2
	;; [unrolled: 1-line block ×23, first 2 shown]
	s_and_saveexec_b64 s[8:9], s[2:3]
	s_cbranch_execnz .LBB193_42
; %bb.31:                               ;   in Loop: Header=BB193_3 Depth=1
	s_or_b64 exec, exec, s[8:9]
	s_and_saveexec_b64 s[8:9], s[2:3]
	s_cbranch_execnz .LBB193_43
.LBB193_32:                             ;   in Loop: Header=BB193_3 Depth=1
	s_or_b64 exec, exec, s[8:9]
	s_and_saveexec_b64 s[8:9], s[2:3]
	s_cbranch_execnz .LBB193_44
.LBB193_33:                             ;   in Loop: Header=BB193_3 Depth=1
	s_or_b64 exec, exec, s[8:9]
	s_and_saveexec_b64 s[8:9], s[2:3]
	s_cbranch_execnz .LBB193_45
.LBB193_34:                             ;   in Loop: Header=BB193_3 Depth=1
	s_or_b64 exec, exec, s[8:9]
	s_and_saveexec_b64 s[8:9], s[2:3]
	s_cbranch_execnz .LBB193_46
.LBB193_35:                             ;   in Loop: Header=BB193_3 Depth=1
	s_or_b64 exec, exec, s[8:9]
	s_and_saveexec_b64 s[8:9], s[2:3]
	s_cbranch_execnz .LBB193_47
.LBB193_36:                             ;   in Loop: Header=BB193_3 Depth=1
	s_or_b64 exec, exec, s[8:9]
	s_and_saveexec_b64 s[8:9], s[2:3]
	s_cbranch_execnz .LBB193_48
.LBB193_37:                             ;   in Loop: Header=BB193_3 Depth=1
	s_or_b64 exec, exec, s[8:9]
	s_and_saveexec_b64 s[8:9], s[2:3]
	s_cbranch_execz .LBB193_39
.LBB193_38:                             ;   in Loop: Header=BB193_3 Depth=1
	v_add_co_u32_e32 v57, vcc, v26, v19
	v_addc_co_u32_e32 v58, vcc, v27, v20, vcc
	global_load_ushort v10, v[57:58], off
	v_add_co_u32_e32 v57, vcc, v28, v19
	v_addc_co_u32_e32 v58, vcc, v29, v20, vcc
	global_load_ushort v18, v[57:58], off
	s_waitcnt vmcnt(1)
	v_lshlrev_b32_e32 v10, 16, v10
	s_waitcnt vmcnt(0)
	v_lshlrev_b32_e32 v18, 16, v18
.LBB193_39:                             ;   in Loop: Header=BB193_3 Depth=1
	s_or_b64 exec, exec, s[8:9]
	s_waitcnt vmcnt(0)
	ds_bpermute_b32 v57, v55, v49
	ds_bpermute_b32 v58, v55, v49 offset:4
	v_mul_f32_e32 v3, v11, v3
	ds_bpermute_b32 v11, v55, v49 offset:8
	v_mul_f32_e32 v4, v12, v4
	s_waitcnt lgkmcnt(2)
	v_fmac_f32_e32 v56, v3, v57
	s_waitcnt lgkmcnt(1)
	v_fmac_f32_e32 v56, v4, v58
	ds_bpermute_b32 v3, v55, v49 offset:12
	v_mul_f32_e32 v4, v13, v5
	s_waitcnt lgkmcnt(1)
	v_fmac_f32_e32 v56, v4, v11
	ds_bpermute_b32 v4, v55, v49 offset:16
	v_mul_f32_e32 v5, v14, v6
	s_waitcnt lgkmcnt(1)
	v_fmac_f32_e32 v56, v5, v3
	v_mul_f32_e32 v3, v15, v7
	ds_bpermute_b32 v5, v55, v49 offset:20
	s_waitcnt lgkmcnt(1)
	v_fmac_f32_e32 v56, v3, v4
	ds_bpermute_b32 v4, v55, v49 offset:24
	ds_bpermute_b32 v3, v55, v49 offset:28
	v_mul_f32_e32 v6, v16, v8
	s_waitcnt lgkmcnt(2)
	v_fmac_f32_e32 v56, v6, v5
	v_mul_f32_e32 v5, v17, v9
	s_waitcnt lgkmcnt(1)
	v_fmac_f32_e32 v56, v5, v4
	v_mov_b32_e32 v49, v56
.LBB193_40:                             ;   in Loop: Header=BB193_3 Depth=1
	v_mul_f32_e32 v4, v10, v18
	s_waitcnt lgkmcnt(0)
	v_fmac_f32_e32 v49, v4, v3
	v_mov_b32_e32 v3, s25
	v_add_co_u32_e32 v22, vcc, s24, v22
	v_addc_co_u32_e32 v23, vcc, v23, v3, vcc
	v_add_co_u32_e32 v24, vcc, s24, v24
	v_addc_co_u32_e32 v25, vcc, v25, v3, vcc
	v_add_co_u32_e32 v26, vcc, s24, v26
	v_addc_co_u32_e32 v27, vcc, v27, v3, vcc
	v_add_co_u32_e32 v28, vcc, s24, v28
	v_addc_co_u32_e32 v29, vcc, v29, v3, vcc
	v_add_co_u32_e32 v30, vcc, s24, v30
	v_addc_co_u32_e32 v31, vcc, v31, v3, vcc
	v_add_co_u32_e32 v32, vcc, s24, v32
	v_addc_co_u32_e32 v33, vcc, v33, v3, vcc
	v_add_co_u32_e32 v34, vcc, s24, v34
	v_addc_co_u32_e32 v35, vcc, v35, v3, vcc
	v_add_co_u32_e32 v36, vcc, s24, v36
	v_addc_co_u32_e32 v37, vcc, v37, v3, vcc
	v_add_co_u32_e32 v38, vcc, s24, v38
	v_addc_co_u32_e32 v39, vcc, v39, v3, vcc
	v_add_co_u32_e32 v40, vcc, s24, v40
	v_addc_co_u32_e32 v41, vcc, v41, v3, vcc
	v_add_co_u32_e32 v42, vcc, s24, v42
	v_addc_co_u32_e32 v43, vcc, v43, v3, vcc
	v_add_co_u32_e32 v44, vcc, s24, v44
	v_addc_co_u32_e32 v45, vcc, v45, v3, vcc
	v_add_co_u32_e32 v46, vcc, s24, v46
	v_addc_co_u32_e32 v47, vcc, v47, v3, vcc
	v_add_co_u32_e32 v48, vcc, s24, v48
	v_addc_co_u32_e32 v50, vcc, v50, v3, vcc
	v_add_co_u32_e32 v51, vcc, s24, v51
	v_addc_co_u32_e32 v52, vcc, v52, v3, vcc
	v_add_co_u32_e32 v53, vcc, s24, v53
	s_add_u32 s28, s28, s7
	v_addc_co_u32_e32 v54, vcc, v54, v3, vcc
	v_mov_b32_e32 v3, s12
	s_addc_u32 s29, s29, 0
	v_mov_b32_e32 v4, s13
	v_cmp_lt_i64_e32 vcc, s[28:29], v[3:4]
	s_add_u32 s26, s26, s7
	s_addc_u32 s27, s27, 0
	s_cbranch_vccz .LBB193_50
; %bb.41:                               ;   in Loop: Header=BB193_3 Depth=1
	v_mov_b32_e32 v56, v49
	s_branch .LBB193_3
.LBB193_42:                             ;   in Loop: Header=BB193_3 Depth=1
	v_add_co_u32_e32 v3, vcc, v22, v19
	v_addc_co_u32_e32 v4, vcc, v23, v20, vcc
	global_load_ushort v11, v[3:4], off
	v_add_co_u32_e32 v3, vcc, v24, v19
	v_addc_co_u32_e32 v4, vcc, v25, v20, vcc
	global_load_ushort v18, v[3:4], off
	v_mov_b32_e32 v4, v2
	v_mov_b32_e32 v5, v2
	;; [unrolled: 1-line block ×13, first 2 shown]
	s_waitcnt vmcnt(1)
	v_lshlrev_b32_e32 v3, 16, v11
	s_waitcnt vmcnt(0)
	v_lshlrev_b32_e32 v11, 16, v18
	v_mov_b32_e32 v18, v2
	s_or_b64 exec, exec, s[8:9]
	s_and_saveexec_b64 s[8:9], s[2:3]
	s_cbranch_execz .LBB193_32
.LBB193_43:                             ;   in Loop: Header=BB193_3 Depth=1
	v_add_co_u32_e32 v57, vcc, v51, v19
	v_addc_co_u32_e32 v58, vcc, v52, v20, vcc
	global_load_ushort v4, v[57:58], off
	v_add_co_u32_e32 v57, vcc, v53, v19
	v_addc_co_u32_e32 v58, vcc, v54, v20, vcc
	global_load_ushort v12, v[57:58], off
	s_waitcnt vmcnt(1)
	v_lshlrev_b32_e32 v4, 16, v4
	s_waitcnt vmcnt(0)
	v_lshlrev_b32_e32 v12, 16, v12
	s_or_b64 exec, exec, s[8:9]
	s_and_saveexec_b64 s[8:9], s[2:3]
	s_cbranch_execz .LBB193_33
.LBB193_44:                             ;   in Loop: Header=BB193_3 Depth=1
	v_add_co_u32_e32 v57, vcc, v46, v19
	v_addc_co_u32_e32 v58, vcc, v47, v20, vcc
	global_load_ushort v5, v[57:58], off
	v_add_co_u32_e32 v57, vcc, v48, v19
	v_addc_co_u32_e32 v58, vcc, v50, v20, vcc
	global_load_ushort v13, v[57:58], off
	s_waitcnt vmcnt(1)
	v_lshlrev_b32_e32 v5, 16, v5
	s_waitcnt vmcnt(0)
	v_lshlrev_b32_e32 v13, 16, v13
	s_or_b64 exec, exec, s[8:9]
	s_and_saveexec_b64 s[8:9], s[2:3]
	s_cbranch_execz .LBB193_34
.LBB193_45:                             ;   in Loop: Header=BB193_3 Depth=1
	v_add_co_u32_e32 v57, vcc, v42, v19
	v_addc_co_u32_e32 v58, vcc, v43, v20, vcc
	global_load_ushort v6, v[57:58], off
	v_add_co_u32_e32 v57, vcc, v44, v19
	v_addc_co_u32_e32 v58, vcc, v45, v20, vcc
	global_load_ushort v14, v[57:58], off
	s_waitcnt vmcnt(1)
	v_lshlrev_b32_e32 v6, 16, v6
	s_waitcnt vmcnt(0)
	v_lshlrev_b32_e32 v14, 16, v14
	s_or_b64 exec, exec, s[8:9]
	s_and_saveexec_b64 s[8:9], s[2:3]
	s_cbranch_execz .LBB193_35
.LBB193_46:                             ;   in Loop: Header=BB193_3 Depth=1
	v_add_co_u32_e32 v57, vcc, v38, v19
	v_addc_co_u32_e32 v58, vcc, v39, v20, vcc
	global_load_ushort v7, v[57:58], off
	v_add_co_u32_e32 v57, vcc, v40, v19
	v_addc_co_u32_e32 v58, vcc, v41, v20, vcc
	global_load_ushort v15, v[57:58], off
	s_waitcnt vmcnt(1)
	v_lshlrev_b32_e32 v7, 16, v7
	s_waitcnt vmcnt(0)
	v_lshlrev_b32_e32 v15, 16, v15
	s_or_b64 exec, exec, s[8:9]
	s_and_saveexec_b64 s[8:9], s[2:3]
	s_cbranch_execz .LBB193_36
.LBB193_47:                             ;   in Loop: Header=BB193_3 Depth=1
	v_add_co_u32_e32 v57, vcc, v34, v19
	v_addc_co_u32_e32 v58, vcc, v35, v20, vcc
	global_load_ushort v8, v[57:58], off
	v_add_co_u32_e32 v57, vcc, v36, v19
	v_addc_co_u32_e32 v58, vcc, v37, v20, vcc
	global_load_ushort v16, v[57:58], off
	s_waitcnt vmcnt(1)
	v_lshlrev_b32_e32 v8, 16, v8
	s_waitcnt vmcnt(0)
	v_lshlrev_b32_e32 v16, 16, v16
	s_or_b64 exec, exec, s[8:9]
	s_and_saveexec_b64 s[8:9], s[2:3]
	s_cbranch_execz .LBB193_37
.LBB193_48:                             ;   in Loop: Header=BB193_3 Depth=1
	v_add_co_u32_e32 v57, vcc, v30, v19
	v_addc_co_u32_e32 v58, vcc, v31, v20, vcc
	global_load_ushort v9, v[57:58], off
	v_add_co_u32_e32 v57, vcc, v32, v19
	v_addc_co_u32_e32 v58, vcc, v33, v20, vcc
	global_load_ushort v17, v[57:58], off
	s_waitcnt vmcnt(1)
	v_lshlrev_b32_e32 v9, 16, v9
	s_waitcnt vmcnt(0)
	v_lshlrev_b32_e32 v17, 16, v17
	s_or_b64 exec, exec, s[8:9]
	s_and_saveexec_b64 s[8:9], s[2:3]
	s_cbranch_execnz .LBB193_38
	s_branch .LBB193_39
.LBB193_49:
                                        ; implicit-def: $vgpr49
	s_branch .LBB193_51
.LBB193_50:
	s_cbranch_execnz .LBB193_83
.LBB193_51:
	s_and_b64 vcc, exec, s[0:1]
	v_mov_b32_e32 v49, 0
	s_cbranch_vccnz .LBB193_83
; %bb.52:
	v_lshlrev_b32_e32 v50, 3, v1
	v_add_co_u32_e32 v6, vcc, s20, v50
	v_addc_co_u32_e64 v7, s[0:1], 0, 0, vcc
	s_load_dword s7, s[4:5], 0x44
	v_mul_lo_u32 v2, s15, v6
	v_mul_lo_u32 v3, s14, v7
	v_mad_u64_u32 v[4:5], s[0:1], s14, v6, 0
	s_add_u32 s2, s4, 64
	s_addc_u32 s3, s5, 0
	v_add3_u32 v5, v5, v3, v2
	s_waitcnt lgkmcnt(0)
	s_lshl_b32 s7, s7, 6
	v_lshlrev_b64 v[2:3], 1, v[4:5]
	s_mul_i32 s0, s15, s7
	s_mul_hi_u32 s1, s14, s7
	v_mov_b32_e32 v8, s17
	v_add_co_u32_e32 v51, vcc, s16, v2
	s_add_i32 s1, s1, s0
	s_mul_i32 s0, s14, s7
	v_addc_co_u32_e32 v52, vcc, v8, v3, vcc
	s_lshl_b64 s[8:9], s[0:1], 1
	v_mov_b32_e32 v8, s19
	v_add_co_u32_e32 v53, vcc, s18, v2
	s_add_u32 s22, s20, 63
	v_addc_co_u32_e32 v54, vcc, v8, v3, vcc
	s_addc_u32 s23, 0, 0
	v_lshlrev_b32_e32 v2, 4, v1
	s_lshl_b64 s[0:1], s[20:21], 1
	v_mov_b32_e32 v3, s1
	v_add_co_u32_e32 v8, vcc, s0, v2
	v_addc_co_u32_e32 v9, vcc, 0, v3, vcc
	v_add_co_u32_e32 v12, vcc, 2, v8
	v_addc_co_u32_e32 v10, vcc, 0, v9, vcc
	v_mov_b32_e32 v2, s16
	v_mul_lo_u32 v14, s14, v10
	v_mov_b32_e32 v10, s18
	v_mov_b32_e32 v3, s17
	v_mov_b32_e32 v11, s19
	v_mad_u64_u32 v[19:20], s[0:1], s14, v12, v[2:3]
	v_mul_lo_u32 v15, s15, v12
	v_mad_u64_u32 v[21:22], s[0:1], s14, v12, v[10:11]
	v_add_co_u32_e32 v12, vcc, 4, v8
	v_addc_co_u32_e32 v16, vcc, 0, v9, vcc
	v_mov_b32_e32 v13, s15
	v_add_co_u32_e32 v4, vcc, s14, v4
	v_addc_co_u32_e32 v5, vcc, v5, v13, vcc
	v_mul_lo_u32 v17, s15, v12
	v_mad_u64_u32 v[23:24], s[0:1], s14, v12, v[2:3]
	v_mad_u64_u32 v[25:26], s[0:1], s14, v12, v[10:11]
	v_add_co_u32_e32 v12, vcc, 6, v8
	v_addc_co_u32_e32 v13, vcc, 0, v9, vcc
	v_add3_u32 v20, v15, v20, v14
	v_add3_u32 v22, v15, v22, v14
	v_mul_lo_u32 v13, s14, v13
	v_mul_lo_u32 v14, s15, v12
	v_mad_u64_u32 v[27:28], s[0:1], s14, v12, v[2:3]
	v_mad_u64_u32 v[29:30], s[0:1], s14, v12, v[10:11]
	v_add_co_u32_e32 v12, vcc, 8, v8
	v_mul_lo_u32 v16, s14, v16
	v_addc_co_u32_e32 v15, vcc, 0, v9, vcc
	v_mul_lo_u32 v18, s15, v12
	v_mad_u64_u32 v[31:32], s[0:1], s14, v12, v[2:3]
	v_mad_u64_u32 v[33:34], s[0:1], s14, v12, v[10:11]
	v_add_co_u32_e32 v12, vcc, 10, v8
	v_add3_u32 v28, v14, v28, v13
	v_add3_u32 v30, v14, v30, v13
	v_addc_co_u32_e32 v13, vcc, 0, v9, vcc
	v_mul_lo_u32 v14, s15, v12
	v_mad_u64_u32 v[35:36], s[0:1], s14, v12, v[2:3]
	v_mad_u64_u32 v[37:38], s[0:1], s14, v12, v[10:11]
	v_add_co_u32_e32 v12, vcc, 12, v8
	v_add3_u32 v24, v17, v24, v16
	v_add3_u32 v26, v17, v26, v16
	v_addc_co_u32_e32 v16, vcc, 0, v9, vcc
	v_add_co_u32_e32 v8, vcc, 14, v8
	v_addc_co_u32_e32 v9, vcc, 0, v9, vcc
	v_mad_u64_u32 v[39:40], s[0:1], s14, v12, v[2:3]
	v_mad_u64_u32 v[43:44], s[0:1], s14, v8, v[2:3]
	v_add_co_u32_e32 v2, vcc, 7, v6
	v_addc_co_u32_e32 v3, vcc, 0, v7, vcc
	v_mad_u64_u32 v[41:42], s[0:1], s14, v12, v[10:11]
	v_mad_u64_u32 v[45:46], s[0:1], s14, v8, v[10:11]
	v_mul_lo_u32 v10, s14, v3
	v_mul_lo_u32 v11, s15, v2
	v_mad_u64_u32 v[2:3], s[0:1], s14, v2, 0
	v_mul_lo_u32 v9, s14, v9
	v_mul_lo_u32 v8, s15, v8
	v_add3_u32 v3, v3, v10, v11
	v_lshlrev_b64 v[2:3], 1, v[2:3]
	v_mul_lo_u32 v17, s15, v12
	v_add3_u32 v44, v8, v44, v9
	v_add3_u32 v46, v8, v46, v9
	v_mov_b32_e32 v8, s17
	v_add_co_u32_e32 v55, vcc, s16, v2
	v_addc_co_u32_e32 v56, vcc, v8, v3, vcc
	v_add_co_u32_e32 v8, vcc, 6, v6
	v_addc_co_u32_e32 v9, vcc, 0, v7, vcc
	v_mul_lo_u32 v11, s14, v9
	v_mul_lo_u32 v12, s15, v8
	v_mad_u64_u32 v[8:9], s[0:1], s14, v8, 0
	v_mov_b32_e32 v10, s19
	v_add_co_u32_e32 v57, vcc, s18, v2
	v_add3_u32 v9, v9, v11, v12
	v_addc_co_u32_e32 v58, vcc, v10, v3, vcc
	v_lshlrev_b64 v[2:3], 1, v[8:9]
	v_mov_b32_e32 v8, s17
	v_add_co_u32_e32 v59, vcc, s16, v2
	v_addc_co_u32_e32 v60, vcc, v8, v3, vcc
	v_add_co_u32_e32 v8, vcc, 5, v6
	v_addc_co_u32_e32 v9, vcc, 0, v7, vcc
	v_mul_lo_u32 v11, s14, v9
	v_mul_lo_u32 v12, s15, v8
	v_mad_u64_u32 v[8:9], s[0:1], s14, v8, 0
	v_add_co_u32_e32 v61, vcc, s18, v2
	v_add3_u32 v9, v9, v11, v12
	v_addc_co_u32_e32 v62, vcc, v10, v3, vcc
	v_lshlrev_b64 v[2:3], 1, v[8:9]
	v_mov_b32_e32 v8, s17
	v_add_co_u32_e32 v63, vcc, s16, v2
	v_addc_co_u32_e32 v64, vcc, v8, v3, vcc
	v_add_co_u32_e32 v8, vcc, 4, v6
	v_addc_co_u32_e32 v9, vcc, 0, v7, vcc
	v_mul_lo_u32 v11, s14, v9
	v_mul_lo_u32 v12, s15, v8
	v_mad_u64_u32 v[8:9], s[0:1], s14, v8, 0
	;; [unrolled: 12-line block ×4, first 2 shown]
	v_mov_b32_e32 v8, s19
	v_add_co_u32_e32 v73, vcc, s18, v2
	v_add3_u32 v7, v7, v9, v10
	v_addc_co_u32_e32 v74, vcc, v8, v3, vcc
	v_lshlrev_b64 v[2:3], 1, v[6:7]
	v_mov_b32_e32 v6, s17
	v_add_co_u32_e32 v75, vcc, s16, v2
	v_addc_co_u32_e32 v76, vcc, v6, v3, vcc
	v_mov_b32_e32 v6, s19
	v_add_co_u32_e32 v77, vcc, s18, v2
	v_addc_co_u32_e32 v78, vcc, v6, v3, vcc
	v_lshlrev_b64 v[2:3], 1, v[4:5]
	v_mov_b32_e32 v4, s17
	v_add_co_u32_e32 v79, vcc, s16, v2
	v_addc_co_u32_e32 v80, vcc, v4, v3, vcc
	v_mov_b32_e32 v4, s19
	v_add_co_u32_e32 v81, vcc, s18, v2
	v_mov_b32_e32 v2, 0
	v_mul_lo_u32 v15, s14, v15
	v_mul_lo_u32 v13, s14, v13
	;; [unrolled: 1-line block ×3, first 2 shown]
	v_addc_co_u32_e32 v82, vcc, v4, v3, vcc
	v_add_u32_e32 v3, s33, v0
	v_mov_b32_e32 v4, v2
	v_lshlrev_b64 v[47:48], 1, v[3:4]
	v_mbcnt_lo_u32_b32 v3, -1, 0
	v_mbcnt_hi_u32_b32 v3, -1, v3
	v_lshlrev_b32_e32 v3, 2, v3
	v_add3_u32 v32, v18, v32, v15
	v_add3_u32 v34, v18, v34, v15
	;; [unrolled: 1-line block ×6, first 2 shown]
	v_and_b32_e32 v83, 0x100, v3
	v_mov_b32_e32 v84, 0
.LBB193_53:                             ; =>This Inner Loop Header: Depth=1
	v_mov_b32_e32 v3, s12
	v_mov_b32_e32 v4, s13
	v_cmp_ge_i64_e32 vcc, s[22:23], v[3:4]
	v_mov_b32_e32 v3, s23
	v_add_co_u32_e64 v85, s[0:1], s22, v50
	v_addc_co_u32_e64 v86, s[0:1], 0, v3, s[0:1]
	s_mov_b64 s[0:1], -1
                                        ; implicit-def: $vgpr49
	s_cbranch_vccz .LBB193_75
; %bb.54:                               ;   in Loop: Header=BB193_53 Depth=1
	s_load_dword s0, s[2:3], 0xc
	v_mov_b32_e32 v87, 0
	s_waitcnt lgkmcnt(0)
	s_and_b32 s0, s0, 0xffff
	v_mad_u32_u24 v3, v1, s0, v0
	v_and_b32_e32 v3, 63, v3
	v_cmp_gt_u32_e32 vcc, 8, v3
	s_and_saveexec_b64 s[0:1], vcc
	s_cbranch_execz .LBB193_58
; %bb.55:                               ;   in Loop: Header=BB193_53 Depth=1
	v_add_co_u32_e32 v3, vcc, v85, v3
	v_addc_co_u32_e32 v4, vcc, 0, v86, vcc
	v_add_co_u32_e32 v3, vcc, 0xffffffc1, v3
	v_addc_co_u32_e32 v4, vcc, -1, v4, vcc
	v_cmp_gt_i64_e32 vcc, s[12:13], v[3:4]
	v_mov_b32_e32 v87, 0
	s_and_saveexec_b64 s[16:17], vcc
	s_cbranch_execz .LBB193_57
; %bb.56:                               ;   in Loop: Header=BB193_53 Depth=1
	v_lshlrev_b64 v[3:4], 2, v[3:4]
	v_mov_b32_e32 v5, s11
	v_add_co_u32_e32 v3, vcc, s10, v3
	v_addc_co_u32_e32 v4, vcc, v5, v4, vcc
	global_load_dword v87, v[3:4], off
.LBB193_57:                             ;   in Loop: Header=BB193_53 Depth=1
	s_or_b64 exec, exec, s[16:17]
.LBB193_58:                             ;   in Loop: Header=BB193_53 Depth=1
	s_or_b64 exec, exec, s[0:1]
	v_add_co_u32_e32 v3, vcc, 0xffffffc1, v85
	v_addc_co_u32_e32 v4, vcc, -1, v86, vcc
	v_mov_b32_e32 v9, v2
	v_cmp_gt_i64_e32 vcc, s[12:13], v[3:4]
	v_mov_b32_e32 v3, v2
	v_mov_b32_e32 v4, v2
	;; [unrolled: 1-line block ×22, first 2 shown]
	s_and_saveexec_b64 s[0:1], vcc
	s_cbranch_execz .LBB193_60
; %bb.59:                               ;   in Loop: Header=BB193_53 Depth=1
	v_add_co_u32_e32 v3, vcc, v51, v47
	v_addc_co_u32_e32 v4, vcc, v52, v48, vcc
	global_load_ushort v11, v[3:4], off
	v_add_co_u32_e32 v3, vcc, v53, v47
	v_addc_co_u32_e32 v4, vcc, v54, v48, vcc
	global_load_ushort v18, v[3:4], off
	v_mov_b32_e32 v4, v2
	v_mov_b32_e32 v5, v2
	;; [unrolled: 1-line block ×13, first 2 shown]
	s_waitcnt vmcnt(1)
	v_lshlrev_b32_e32 v3, 16, v11
	s_waitcnt vmcnt(0)
	v_lshlrev_b32_e32 v11, 16, v18
	v_mov_b32_e32 v18, v2
.LBB193_60:                             ;   in Loop: Header=BB193_53 Depth=1
	s_or_b64 exec, exec, s[0:1]
	v_add_co_u32_e32 v88, vcc, 0xffffffc2, v85
	v_addc_co_u32_e32 v89, vcc, -1, v86, vcc
	v_cmp_gt_i64_e32 vcc, s[12:13], v[88:89]
	s_and_saveexec_b64 s[0:1], vcc
	s_cbranch_execz .LBB193_62
; %bb.61:                               ;   in Loop: Header=BB193_53 Depth=1
	v_add_co_u32_e32 v88, vcc, v79, v47
	v_addc_co_u32_e32 v89, vcc, v80, v48, vcc
	global_load_ushort v4, v[88:89], off
	v_add_co_u32_e32 v88, vcc, v81, v47
	v_addc_co_u32_e32 v89, vcc, v82, v48, vcc
	global_load_ushort v12, v[88:89], off
	s_waitcnt vmcnt(1)
	v_lshlrev_b32_e32 v4, 16, v4
	s_waitcnt vmcnt(0)
	v_lshlrev_b32_e32 v12, 16, v12
.LBB193_62:                             ;   in Loop: Header=BB193_53 Depth=1
	s_or_b64 exec, exec, s[0:1]
	v_add_co_u32_e32 v88, vcc, 0xffffffc3, v85
	v_addc_co_u32_e32 v89, vcc, -1, v86, vcc
	v_cmp_gt_i64_e32 vcc, s[12:13], v[88:89]
	s_and_saveexec_b64 s[0:1], vcc
	s_cbranch_execz .LBB193_64
; %bb.63:                               ;   in Loop: Header=BB193_53 Depth=1
	v_add_co_u32_e32 v88, vcc, v75, v47
	v_addc_co_u32_e32 v89, vcc, v76, v48, vcc
	global_load_ushort v5, v[88:89], off
	v_add_co_u32_e32 v88, vcc, v77, v47
	v_addc_co_u32_e32 v89, vcc, v78, v48, vcc
	global_load_ushort v13, v[88:89], off
	s_waitcnt vmcnt(1)
	v_lshlrev_b32_e32 v5, 16, v5
	s_waitcnt vmcnt(0)
	v_lshlrev_b32_e32 v13, 16, v13
.LBB193_64:                             ;   in Loop: Header=BB193_53 Depth=1
	;; [unrolled: 18-line block ×7, first 2 shown]
	s_or_b64 exec, exec, s[0:1]
	s_waitcnt vmcnt(0)
	ds_bpermute_b32 v49, v83, v87
	ds_bpermute_b32 v88, v83, v87 offset:4
	v_mul_f32_e32 v3, v11, v3
	ds_bpermute_b32 v11, v83, v87 offset:8
	v_mul_f32_e32 v4, v12, v4
	s_waitcnt lgkmcnt(2)
	v_fma_f32 v49, v3, v49, v84
	s_waitcnt lgkmcnt(1)
	v_fmac_f32_e32 v49, v4, v88
	ds_bpermute_b32 v3, v83, v87 offset:12
	v_mul_f32_e32 v4, v13, v5
	s_waitcnt lgkmcnt(1)
	v_fmac_f32_e32 v49, v4, v11
	ds_bpermute_b32 v4, v83, v87 offset:16
	v_mul_f32_e32 v5, v14, v6
	s_waitcnt lgkmcnt(1)
	v_fmac_f32_e32 v49, v5, v3
	v_mul_f32_e32 v3, v15, v7
	ds_bpermute_b32 v5, v83, v87 offset:20
	s_waitcnt lgkmcnt(1)
	v_fmac_f32_e32 v49, v3, v4
	ds_bpermute_b32 v3, v83, v87 offset:24
	ds_bpermute_b32 v6, v83, v87 offset:28
	v_mul_f32_e32 v4, v16, v8
	s_waitcnt lgkmcnt(2)
	v_fmac_f32_e32 v49, v4, v5
	v_mul_f32_e32 v4, v17, v9
	s_waitcnt lgkmcnt(1)
	v_fmac_f32_e32 v49, v4, v3
	;; [unrolled: 3-line block ×3, first 2 shown]
	s_mov_b64 s[0:1], 0
.LBB193_75:                             ;   in Loop: Header=BB193_53 Depth=1
	s_and_b64 vcc, exec, s[0:1]
	s_cbranch_vccz .LBB193_81
; %bb.76:                               ;   in Loop: Header=BB193_53 Depth=1
	s_load_dword s0, s[2:3], 0x0
	v_mov_b32_e32 v5, 0
	s_waitcnt lgkmcnt(0)
	s_cmp_lt_u32 s6, s0
	s_cselect_b32 s0, 12, 18
	s_add_u32 s0, s2, s0
	s_addc_u32 s1, s3, 0
	global_load_ushort v3, v2, s[0:1]
	s_waitcnt vmcnt(0)
	v_mad_u32_u24 v3, v1, v3, v0
	v_and_b32_e32 v3, 63, v3
	v_cmp_gt_u32_e32 vcc, 8, v3
	s_and_saveexec_b64 s[0:1], vcc
	s_cbranch_execz .LBB193_80
; %bb.77:                               ;   in Loop: Header=BB193_53 Depth=1
	v_add_co_u32_e32 v3, vcc, v85, v3
	v_addc_co_u32_e32 v4, vcc, 0, v86, vcc
	v_add_co_u32_e32 v3, vcc, 0xffffffc1, v3
	v_addc_co_u32_e32 v4, vcc, -1, v4, vcc
	v_cmp_gt_i64_e32 vcc, s[12:13], v[3:4]
	v_mov_b32_e32 v5, 0
	s_and_saveexec_b64 s[16:17], vcc
	s_cbranch_execz .LBB193_79
; %bb.78:                               ;   in Loop: Header=BB193_53 Depth=1
	v_lshlrev_b64 v[3:4], 2, v[3:4]
	v_mov_b32_e32 v5, s11
	v_add_co_u32_e32 v3, vcc, s10, v3
	v_addc_co_u32_e32 v4, vcc, v5, v4, vcc
	global_load_dword v5, v[3:4], off
.LBB193_79:                             ;   in Loop: Header=BB193_53 Depth=1
	s_or_b64 exec, exec, s[16:17]
.LBB193_80:                             ;   in Loop: Header=BB193_53 Depth=1
	s_or_b64 exec, exec, s[0:1]
	v_add_co_u32_e32 v3, vcc, v51, v47
	v_addc_co_u32_e32 v4, vcc, v52, v48, vcc
	v_add_co_u32_e32 v6, vcc, v53, v47
	v_addc_co_u32_e32 v7, vcc, v54, v48, vcc
	global_load_ushort v8, v[3:4], off
	global_load_ushort v9, v[6:7], off
	v_add_co_u32_e32 v3, vcc, v19, v47
	v_addc_co_u32_e32 v4, vcc, v20, v48, vcc
	v_add_co_u32_e32 v6, vcc, v21, v47
	v_addc_co_u32_e32 v7, vcc, v22, v48, vcc
	global_load_ushort v10, v[3:4], off
	global_load_ushort v11, v[6:7], off
	;; [unrolled: 6-line block ×7, first 2 shown]
	v_add_co_u32_e32 v3, vcc, v43, v47
	v_addc_co_u32_e32 v4, vcc, v44, v48, vcc
	v_add_co_u32_e32 v6, vcc, v45, v47
	v_addc_co_u32_e32 v7, vcc, v46, v48, vcc
	global_load_ushort v6, v[6:7], off
	s_nop 0
	global_load_ushort v3, v[3:4], off
	s_waitcnt vmcnt(15)
	v_lshlrev_b32_e32 v7, 16, v8
	s_waitcnt vmcnt(14)
	v_lshlrev_b32_e32 v4, 16, v9
	v_mul_f32_e32 v4, v7, v4
	s_waitcnt vmcnt(13)
	v_lshlrev_b32_e32 v9, 16, v10
	s_waitcnt vmcnt(12)
	v_lshlrev_b32_e32 v8, 16, v11
	v_mul_f32_e32 v7, v9, v8
	;; [unrolled: 5-line block ×3, first 2 shown]
	s_waitcnt vmcnt(9)
	v_lshlrev_b32_e32 v13, 16, v14
	s_waitcnt vmcnt(8)
	v_lshlrev_b32_e32 v12, 16, v15
	;; [unrolled: 2-line block ×7, first 2 shown]
	ds_bpermute_b32 v85, v83, v5
	s_waitcnt vmcnt(2)
	v_lshlrev_b32_e32 v18, 16, v86
	ds_bpermute_b32 v86, v83, v5 offset:4
	s_waitcnt lgkmcnt(1)
	v_fmac_f32_e32 v84, v4, v85
	ds_bpermute_b32 v4, v83, v5 offset:8
	s_waitcnt lgkmcnt(1)
	v_fmac_f32_e32 v84, v7, v86
	ds_bpermute_b32 v7, v83, v5 offset:12
	s_waitcnt vmcnt(1)
	v_lshlrev_b32_e32 v6, 16, v6
	s_waitcnt vmcnt(0)
	v_lshlrev_b32_e32 v3, 16, v3
	s_waitcnt lgkmcnt(1)
	v_fmac_f32_e32 v84, v8, v4
	ds_bpermute_b32 v4, v83, v5 offset:16
	v_mul_f32_e32 v8, v13, v12
	s_waitcnt lgkmcnt(1)
	v_fmac_f32_e32 v84, v8, v7
	v_mul_f32_e32 v7, v15, v14
	ds_bpermute_b32 v8, v83, v5 offset:20
	s_waitcnt lgkmcnt(1)
	v_fmac_f32_e32 v84, v7, v4
	ds_bpermute_b32 v4, v83, v5 offset:24
	ds_bpermute_b32 v5, v83, v5 offset:28
	v_mul_f32_e32 v7, v17, v16
	s_waitcnt lgkmcnt(2)
	v_fmac_f32_e32 v84, v7, v8
	v_mul_f32_e32 v7, v49, v18
	s_waitcnt lgkmcnt(1)
	v_fmac_f32_e32 v84, v7, v4
	;; [unrolled: 3-line block ×3, first 2 shown]
	v_mov_b32_e32 v49, v84
.LBB193_81:                             ;   in Loop: Header=BB193_53 Depth=1
	v_mov_b32_e32 v5, s9
	v_add_co_u32_e32 v51, vcc, s8, v51
	v_addc_co_u32_e32 v52, vcc, v52, v5, vcc
	v_add_co_u32_e32 v53, vcc, s8, v53
	v_addc_co_u32_e32 v54, vcc, v54, v5, vcc
	;; [unrolled: 2-line block ×28, first 2 shown]
	s_add_u32 s20, s20, s7
	v_add_co_u32_e32 v79, vcc, s8, v79
	v_mov_b32_e32 v3, s12
	s_addc_u32 s21, s21, 0
	v_addc_co_u32_e32 v80, vcc, v80, v5, vcc
	v_mov_b32_e32 v4, s13
	v_cmp_ge_i64_e32 vcc, s[20:21], v[3:4]
	s_add_u32 s22, s22, s7
	v_add_co_u32_e64 v81, s[0:1], s8, v81
	s_addc_u32 s23, s23, 0
	v_addc_co_u32_e64 v82, s[0:1], v82, v5, s[0:1]
	s_cbranch_vccnz .LBB193_83
; %bb.82:                               ;   in Loop: Header=BB193_53 Depth=1
	v_mov_b32_e32 v84, v49
	s_branch .LBB193_53
.LBB193_83:
	s_movk_i32 s0, 0x41
	v_mad_u32_u24 v2, v1, s0, v0
	v_lshl_add_u32 v2, v2, 2, 0
	v_mov_b32_e32 v3, 0
	ds_write_b32 v2, v49
	ds_write_b32 v2, v3 offset:2080
	v_lshrrev_b32_e32 v2, 6, v0
	v_add_u32_e32 v2, v2, v1
	v_cmp_gt_u32_e32 vcc, 64, v2
	s_waitcnt lgkmcnt(0)
	s_barrier
	s_and_saveexec_b64 s[0:1], vcc
	s_cbranch_execz .LBB193_123
; %bb.84:
	s_load_dwordx2 s[4:5], s[4:5], 0x30
	v_and_b32_e32 v1, 63, v0
	v_cmp_gt_u32_e64 s[0:1], 8, v1
	v_mul_u32_u24_e32 v3, 0x41, v1
                                        ; implicit-def: $vgpr1
	s_and_saveexec_b64 s[2:3], s[0:1]
; %bb.85:
	v_lshlrev_b32_e32 v1, 2, v2
	v_lshlrev_b32_e32 v4, 2, v3
	v_add3_u32 v1, 0, v1, v4
	ds_read_b32 v1, v1
; %bb.86:
	s_or_b64 exec, exec, s[2:3]
	v_mbcnt_lo_u32_b32 v4, -1, 0
	v_mbcnt_hi_u32_b32 v6, -1, v4
	v_and_b32_e32 v4, 64, v6
	v_add_u32_e32 v7, 64, v4
	v_xor_b32_e32 v4, 4, v6
	v_cmp_lt_i32_e32 vcc, v4, v7
	v_cndmask_b32_e32 v4, v6, v4, vcc
	v_lshlrev_b32_e32 v4, 2, v4
	s_waitcnt lgkmcnt(0)
	ds_bpermute_b32 v5, v4, v1
	v_xor_b32_e32 v8, 2, v6
	v_cmp_lt_i32_e32 vcc, v8, v7
	v_cmp_ne_u32_e64 s[2:3], 0, v0
	v_xor_b32_e32 v0, 1, v6
	s_waitcnt lgkmcnt(0)
	v_add_f32_e32 v1, v1, v5
	v_cndmask_b32_e32 v5, v6, v8, vcc
	v_lshlrev_b32_e32 v5, 2, v5
	ds_bpermute_b32 v8, v5, v1
	v_cmp_lt_i32_e32 vcc, v0, v7
	v_cndmask_b32_e32 v0, v6, v0, vcc
	s_mov_b32 s7, 0
	v_lshlrev_b32_e32 v6, 2, v0
	s_waitcnt lgkmcnt(0)
	v_add_f32_e32 v8, v1, v8
	s_lshl_b64 s[6:7], s[6:7], 6
	ds_bpermute_b32 v7, v6, v8
	v_or_b32_e32 v0, s6, v2
	v_mov_b32_e32 v1, s7
	v_cmp_le_i64_e32 vcc, s[14:15], v[0:1]
	s_cmp_eq_u64 s[4:5], 0
	s_cselect_b64 s[8:9], -1, 0
	s_or_b64 s[10:11], s[2:3], vcc
	s_waitcnt lgkmcnt(0)
	v_add_f32_e32 v7, v8, v7
	s_nor_b64 s[12:13], s[8:9], s[10:11]
	s_and_saveexec_b64 s[10:11], s[12:13]
	s_cbranch_execz .LBB193_88
; %bb.87:
	v_bfe_u32 v8, v7, 16, 1
	s_movk_i32 s12, 0x7fff
	v_lshlrev_b64 v[0:1], 1, v[0:1]
	v_add3_u32 v8, v7, v8, s12
	v_cmp_o_f32_e32 vcc, v7, v7
	v_mov_b32_e32 v9, 0x7fc0
	v_cndmask_b32_sdwa v8, v9, v8, vcc dst_sel:DWORD dst_unused:UNUSED_PAD src0_sel:DWORD src1_sel:WORD_1
	v_mov_b32_e32 v9, s5
	v_add_co_u32_e32 v0, vcc, s4, v0
	v_addc_co_u32_e32 v1, vcc, v9, v1, vcc
	global_store_short v[0:1], v8, off
.LBB193_88:
	s_or_b64 exec, exec, s[10:11]
	v_cmp_gt_u32_e32 vcc, 56, v2
	s_and_b64 exec, exec, vcc
	s_cbranch_execz .LBB193_123
; %bb.89:
	s_and_saveexec_b64 s[10:11], s[0:1]
; %bb.90:
	v_lshlrev_b32_e32 v0, 2, v2
	v_lshlrev_b32_e32 v1, 2, v3
	v_add3_u32 v0, 0, v0, v1
	ds_read_b32 v7, v0 offset:32
; %bb.91:
	s_or_b64 exec, exec, s[10:11]
	s_waitcnt lgkmcnt(0)
	ds_bpermute_b32 v0, v4, v7
	v_mov_b32_e32 v8, s7
	s_waitcnt lgkmcnt(0)
	v_add_f32_e32 v0, v7, v0
	ds_bpermute_b32 v1, v5, v0
	v_add_u32_e32 v7, 8, v2
	s_waitcnt lgkmcnt(0)
	v_add_f32_e32 v9, v0, v1
	ds_bpermute_b32 v10, v6, v9
	v_add_co_u32_e32 v0, vcc, s6, v7
	v_addc_co_u32_e32 v1, vcc, 0, v8, vcc
	v_cmp_le_i64_e32 vcc, s[14:15], v[0:1]
	s_waitcnt lgkmcnt(0)
	v_add_f32_e32 v0, v9, v10
	s_or_b64 s[10:11], s[2:3], vcc
	s_nor_b64 s[12:13], s[8:9], s[10:11]
	s_and_saveexec_b64 s[10:11], s[12:13]
	s_cbranch_execz .LBB193_93
; %bb.92:
	v_bfe_u32 v1, v0, 16, 1
	s_movk_i32 s12, 0x7fff
	v_add3_u32 v1, v0, v1, s12
	v_cmp_o_f32_e32 vcc, v0, v0
	v_mov_b32_e32 v7, 0x7fc0
	v_cndmask_b32_sdwa v1, v7, v1, vcc dst_sel:DWORD dst_unused:UNUSED_PAD src0_sel:DWORD src1_sel:WORD_1
	v_mov_b32_e32 v8, s7
	v_add_co_u32_e32 v7, vcc, s6, v2
	v_addc_co_u32_e32 v8, vcc, 0, v8, vcc
	v_lshlrev_b64 v[7:8], 1, v[7:8]
	v_mov_b32_e32 v9, s5
	v_add_co_u32_e32 v7, vcc, s4, v7
	v_addc_co_u32_e32 v8, vcc, v9, v8, vcc
	global_store_short v[7:8], v1, off offset:16
.LBB193_93:
	s_or_b64 exec, exec, s[10:11]
	v_cmp_gt_u32_e32 vcc, 48, v2
	s_and_b64 exec, exec, vcc
	s_cbranch_execz .LBB193_123
; %bb.94:
	s_and_saveexec_b64 s[10:11], s[0:1]
; %bb.95:
	v_lshlrev_b32_e32 v0, 2, v2
	v_lshlrev_b32_e32 v1, 2, v3
	v_add3_u32 v0, 0, v0, v1
	ds_read_b32 v0, v0 offset:64
; %bb.96:
	s_or_b64 exec, exec, s[10:11]
	s_waitcnt lgkmcnt(0)
	ds_bpermute_b32 v1, v4, v0
	v_add_u32_e32 v7, 16, v2
	v_mov_b32_e32 v8, s7
	s_waitcnt lgkmcnt(0)
	v_add_f32_e32 v0, v0, v1
	ds_bpermute_b32 v1, v5, v0
	s_waitcnt lgkmcnt(0)
	v_add_f32_e32 v9, v0, v1
	ds_bpermute_b32 v10, v6, v9
	v_add_co_u32_e32 v0, vcc, s6, v7
	v_addc_co_u32_e32 v1, vcc, 0, v8, vcc
	v_cmp_le_i64_e32 vcc, s[14:15], v[0:1]
	s_waitcnt lgkmcnt(0)
	v_add_f32_e32 v0, v9, v10
	s_or_b64 s[10:11], s[2:3], vcc
	s_nor_b64 s[12:13], s[8:9], s[10:11]
	s_and_saveexec_b64 s[10:11], s[12:13]
	s_cbranch_execz .LBB193_98
; %bb.97:
	v_bfe_u32 v1, v0, 16, 1
	s_movk_i32 s12, 0x7fff
	v_add3_u32 v1, v0, v1, s12
	v_cmp_o_f32_e32 vcc, v0, v0
	v_mov_b32_e32 v7, 0x7fc0
	v_cndmask_b32_sdwa v1, v7, v1, vcc dst_sel:DWORD dst_unused:UNUSED_PAD src0_sel:DWORD src1_sel:WORD_1
	v_mov_b32_e32 v8, s7
	v_add_co_u32_e32 v7, vcc, s6, v2
	v_addc_co_u32_e32 v8, vcc, 0, v8, vcc
	v_lshlrev_b64 v[7:8], 1, v[7:8]
	v_mov_b32_e32 v9, s5
	v_add_co_u32_e32 v7, vcc, s4, v7
	v_addc_co_u32_e32 v8, vcc, v9, v8, vcc
	global_store_short v[7:8], v1, off offset:32
.LBB193_98:
	s_or_b64 exec, exec, s[10:11]
	v_cmp_gt_u32_e32 vcc, 40, v2
	s_and_b64 exec, exec, vcc
	s_cbranch_execz .LBB193_123
; %bb.99:
	s_and_saveexec_b64 s[10:11], s[0:1]
; %bb.100:
	v_lshlrev_b32_e32 v0, 2, v2
	v_lshlrev_b32_e32 v1, 2, v3
	v_add3_u32 v0, 0, v0, v1
	ds_read_b32 v0, v0 offset:96
; %bb.101:
	s_or_b64 exec, exec, s[10:11]
	s_waitcnt lgkmcnt(0)
	ds_bpermute_b32 v1, v4, v0
	v_add_u32_e32 v7, 24, v2
	v_mov_b32_e32 v8, s7
	s_waitcnt lgkmcnt(0)
	v_add_f32_e32 v0, v0, v1
	ds_bpermute_b32 v1, v5, v0
	s_waitcnt lgkmcnt(0)
	v_add_f32_e32 v9, v0, v1
	ds_bpermute_b32 v10, v6, v9
	v_add_co_u32_e32 v0, vcc, s6, v7
	v_addc_co_u32_e32 v1, vcc, 0, v8, vcc
	v_cmp_le_i64_e32 vcc, s[14:15], v[0:1]
	s_waitcnt lgkmcnt(0)
	v_add_f32_e32 v0, v9, v10
	s_or_b64 s[10:11], s[2:3], vcc
	s_nor_b64 s[12:13], s[8:9], s[10:11]
	s_and_saveexec_b64 s[10:11], s[12:13]
	s_cbranch_execz .LBB193_103
; %bb.102:
	v_bfe_u32 v1, v0, 16, 1
	s_movk_i32 s12, 0x7fff
	v_add3_u32 v1, v0, v1, s12
	v_cmp_o_f32_e32 vcc, v0, v0
	v_mov_b32_e32 v7, 0x7fc0
	v_cndmask_b32_sdwa v1, v7, v1, vcc dst_sel:DWORD dst_unused:UNUSED_PAD src0_sel:DWORD src1_sel:WORD_1
	v_mov_b32_e32 v8, s7
	v_add_co_u32_e32 v7, vcc, s6, v2
	v_addc_co_u32_e32 v8, vcc, 0, v8, vcc
	v_lshlrev_b64 v[7:8], 1, v[7:8]
	v_mov_b32_e32 v9, s5
	v_add_co_u32_e32 v7, vcc, s4, v7
	v_addc_co_u32_e32 v8, vcc, v9, v8, vcc
	global_store_short v[7:8], v1, off offset:48
.LBB193_103:
	s_or_b64 exec, exec, s[10:11]
	v_cmp_gt_u32_e32 vcc, 32, v2
	s_and_b64 exec, exec, vcc
	s_cbranch_execz .LBB193_123
; %bb.104:
	s_and_saveexec_b64 s[10:11], s[0:1]
; %bb.105:
	v_lshlrev_b32_e32 v0, 2, v2
	v_lshlrev_b32_e32 v1, 2, v3
	v_add3_u32 v0, 0, v0, v1
	ds_read_b32 v0, v0 offset:128
; %bb.106:
	s_or_b64 exec, exec, s[10:11]
	s_waitcnt lgkmcnt(0)
	ds_bpermute_b32 v1, v4, v0
	v_add_u32_e32 v8, 32, v2
	s_waitcnt lgkmcnt(0)
	v_add_f32_e32 v0, v0, v1
	ds_bpermute_b32 v7, v5, v0
	v_mov_b32_e32 v1, s7
	s_waitcnt lgkmcnt(0)
	v_add_f32_e32 v7, v0, v7
	ds_bpermute_b32 v9, v6, v7
	v_or_b32_e32 v0, s6, v8
	v_cmp_le_i64_e32 vcc, s[14:15], v[0:1]
	s_or_b64 s[10:11], s[2:3], vcc
	s_waitcnt lgkmcnt(0)
	v_add_f32_e32 v0, v7, v9
	s_nor_b64 s[12:13], s[8:9], s[10:11]
	s_and_saveexec_b64 s[10:11], s[12:13]
	s_cbranch_execz .LBB193_108
; %bb.107:
	v_bfe_u32 v1, v0, 16, 1
	s_movk_i32 s12, 0x7fff
	v_add3_u32 v1, v0, v1, s12
	v_cmp_o_f32_e32 vcc, v0, v0
	v_mov_b32_e32 v7, 0x7fc0
	v_cndmask_b32_sdwa v1, v7, v1, vcc dst_sel:DWORD dst_unused:UNUSED_PAD src0_sel:DWORD src1_sel:WORD_1
	v_mov_b32_e32 v8, s7
	v_add_co_u32_e32 v7, vcc, s6, v2
	v_addc_co_u32_e32 v8, vcc, 0, v8, vcc
	v_lshlrev_b64 v[7:8], 1, v[7:8]
	v_mov_b32_e32 v9, s5
	v_add_co_u32_e32 v7, vcc, s4, v7
	v_addc_co_u32_e32 v8, vcc, v9, v8, vcc
	global_store_short v[7:8], v1, off offset:64
.LBB193_108:
	s_or_b64 exec, exec, s[10:11]
	v_cmp_gt_u32_e32 vcc, 24, v2
	s_and_b64 exec, exec, vcc
	s_cbranch_execz .LBB193_123
; %bb.109:
	s_and_saveexec_b64 s[10:11], s[0:1]
; %bb.110:
	v_lshlrev_b32_e32 v0, 2, v2
	v_lshlrev_b32_e32 v1, 2, v3
	v_add3_u32 v0, 0, v0, v1
	ds_read_b32 v0, v0 offset:160
; %bb.111:
	s_or_b64 exec, exec, s[10:11]
	s_waitcnt lgkmcnt(0)
	ds_bpermute_b32 v1, v4, v0
	v_add_u32_e32 v7, 40, v2
	v_mov_b32_e32 v8, s7
	s_waitcnt lgkmcnt(0)
	v_add_f32_e32 v0, v0, v1
	ds_bpermute_b32 v1, v5, v0
	s_waitcnt lgkmcnt(0)
	v_add_f32_e32 v9, v0, v1
	ds_bpermute_b32 v10, v6, v9
	v_add_co_u32_e32 v0, vcc, s6, v7
	v_addc_co_u32_e32 v1, vcc, 0, v8, vcc
	v_cmp_le_i64_e32 vcc, s[14:15], v[0:1]
	s_waitcnt lgkmcnt(0)
	v_add_f32_e32 v0, v9, v10
	s_or_b64 s[10:11], s[2:3], vcc
	s_nor_b64 s[12:13], s[8:9], s[10:11]
	s_and_saveexec_b64 s[10:11], s[12:13]
	s_cbranch_execz .LBB193_113
; %bb.112:
	v_bfe_u32 v1, v0, 16, 1
	s_movk_i32 s12, 0x7fff
	v_add3_u32 v1, v0, v1, s12
	v_cmp_o_f32_e32 vcc, v0, v0
	v_mov_b32_e32 v7, 0x7fc0
	v_cndmask_b32_sdwa v1, v7, v1, vcc dst_sel:DWORD dst_unused:UNUSED_PAD src0_sel:DWORD src1_sel:WORD_1
	v_mov_b32_e32 v8, s7
	v_add_co_u32_e32 v7, vcc, s6, v2
	v_addc_co_u32_e32 v8, vcc, 0, v8, vcc
	v_lshlrev_b64 v[7:8], 1, v[7:8]
	v_mov_b32_e32 v9, s5
	v_add_co_u32_e32 v7, vcc, s4, v7
	v_addc_co_u32_e32 v8, vcc, v9, v8, vcc
	global_store_short v[7:8], v1, off offset:80
.LBB193_113:
	s_or_b64 exec, exec, s[10:11]
	v_cmp_gt_u32_e32 vcc, 16, v2
	s_and_b64 exec, exec, vcc
	s_cbranch_execz .LBB193_123
; %bb.114:
	s_and_saveexec_b64 s[10:11], s[0:1]
; %bb.115:
	v_lshlrev_b32_e32 v0, 2, v2
	v_lshlrev_b32_e32 v1, 2, v3
	v_add3_u32 v0, 0, v0, v1
	ds_read_b32 v0, v0 offset:192
; %bb.116:
	s_or_b64 exec, exec, s[10:11]
	s_waitcnt lgkmcnt(0)
	ds_bpermute_b32 v1, v4, v0
	v_add_u32_e32 v8, 48, v2
	s_waitcnt lgkmcnt(0)
	v_add_f32_e32 v0, v0, v1
	ds_bpermute_b32 v7, v5, v0
	v_mov_b32_e32 v1, s7
	s_waitcnt lgkmcnt(0)
	v_add_f32_e32 v7, v0, v7
	ds_bpermute_b32 v9, v6, v7
	v_or_b32_e32 v0, s6, v8
	v_cmp_le_i64_e32 vcc, s[14:15], v[0:1]
	s_or_b64 s[10:11], s[2:3], vcc
	s_waitcnt lgkmcnt(0)
	v_add_f32_e32 v0, v7, v9
	s_nor_b64 s[12:13], s[8:9], s[10:11]
	s_and_saveexec_b64 s[10:11], s[12:13]
	s_cbranch_execz .LBB193_118
; %bb.117:
	v_bfe_u32 v1, v0, 16, 1
	s_movk_i32 s12, 0x7fff
	v_add3_u32 v1, v0, v1, s12
	v_cmp_o_f32_e32 vcc, v0, v0
	v_mov_b32_e32 v7, 0x7fc0
	v_cndmask_b32_sdwa v1, v7, v1, vcc dst_sel:DWORD dst_unused:UNUSED_PAD src0_sel:DWORD src1_sel:WORD_1
	v_mov_b32_e32 v8, s7
	v_add_co_u32_e32 v7, vcc, s6, v2
	v_addc_co_u32_e32 v8, vcc, 0, v8, vcc
	v_lshlrev_b64 v[7:8], 1, v[7:8]
	v_mov_b32_e32 v9, s5
	v_add_co_u32_e32 v7, vcc, s4, v7
	v_addc_co_u32_e32 v8, vcc, v9, v8, vcc
	global_store_short v[7:8], v1, off offset:96
.LBB193_118:
	s_or_b64 exec, exec, s[10:11]
	v_cmp_gt_u32_e32 vcc, 8, v2
	s_and_b64 exec, exec, vcc
	s_cbranch_execz .LBB193_123
; %bb.119:
	s_and_saveexec_b64 s[10:11], s[0:1]
; %bb.120:
	v_lshlrev_b32_e32 v0, 2, v2
	v_lshlrev_b32_e32 v1, 2, v3
	v_add3_u32 v0, 0, v0, v1
	ds_read_b32 v0, v0 offset:224
; %bb.121:
	s_or_b64 exec, exec, s[10:11]
	s_waitcnt lgkmcnt(0)
	ds_bpermute_b32 v1, v4, v0
	v_add_u32_e32 v3, 56, v2
	v_or_b32_e32 v3, s6, v3
	v_mov_b32_e32 v4, s7
	v_cmp_le_i64_e32 vcc, s[14:15], v[3:4]
	s_waitcnt lgkmcnt(0)
	v_add_f32_e32 v0, v0, v1
	ds_bpermute_b32 v1, v5, v0
	s_or_b64 s[0:1], s[2:3], vcc
	s_nor_b64 s[0:1], s[8:9], s[0:1]
	s_waitcnt lgkmcnt(0)
	v_add_f32_e32 v0, v0, v1
	ds_bpermute_b32 v1, v6, v0
	s_and_saveexec_b64 s[2:3], s[0:1]
	s_xor_b64 s[2:3], exec, s[2:3]
	s_cbranch_execz .LBB193_123
; %bb.122:
	s_waitcnt lgkmcnt(0)
	v_add_f32_e32 v0, v0, v1
	v_bfe_u32 v1, v0, 16, 1
	s_movk_i32 s0, 0x7fff
	v_add3_u32 v1, v0, v1, s0
	v_cmp_o_f32_e32 vcc, v0, v0
	v_mov_b32_e32 v0, 0x7fc0
	v_cndmask_b32_sdwa v3, v0, v1, vcc dst_sel:DWORD dst_unused:UNUSED_PAD src0_sel:DWORD src1_sel:WORD_1
	v_mov_b32_e32 v1, s7
	v_add_co_u32_e32 v0, vcc, s6, v2
	v_addc_co_u32_e32 v1, vcc, 0, v1, vcc
	v_lshlrev_b64 v[0:1], 1, v[0:1]
	v_mov_b32_e32 v2, s5
	v_add_co_u32_e32 v0, vcc, s4, v0
	v_addc_co_u32_e32 v1, vcc, v2, v1, vcc
	global_store_short v[0:1], v3, off offset:112
.LBB193_123:
	s_endpgm
	.section	.rodata,"a",@progbits
	.p2align	6, 0x0
	.amdhsa_kernel _ZN2at6native12_GLOBAL__N_135GammaBetaBackwardCUDAKernelTemplateIN3c108BFloat16EfLj64ELj8ELj64ELb0ELb0ELb1EEEvllPKT_S7_PKT0_SA_PS5_SB_
		.amdhsa_group_segment_fixed_size 0
		.amdhsa_private_segment_fixed_size 0
		.amdhsa_kernarg_size 320
		.amdhsa_user_sgpr_count 6
		.amdhsa_user_sgpr_private_segment_buffer 1
		.amdhsa_user_sgpr_dispatch_ptr 0
		.amdhsa_user_sgpr_queue_ptr 0
		.amdhsa_user_sgpr_kernarg_segment_ptr 1
		.amdhsa_user_sgpr_dispatch_id 0
		.amdhsa_user_sgpr_flat_scratch_init 0
		.amdhsa_user_sgpr_private_segment_size 0
		.amdhsa_uses_dynamic_stack 0
		.amdhsa_system_sgpr_private_segment_wavefront_offset 0
		.amdhsa_system_sgpr_workgroup_id_x 1
		.amdhsa_system_sgpr_workgroup_id_y 1
		.amdhsa_system_sgpr_workgroup_id_z 0
		.amdhsa_system_sgpr_workgroup_info 0
		.amdhsa_system_vgpr_workitem_id 1
		.amdhsa_next_free_vgpr 90
		.amdhsa_next_free_sgpr 34
		.amdhsa_reserve_vcc 1
		.amdhsa_reserve_flat_scratch 0
		.amdhsa_float_round_mode_32 0
		.amdhsa_float_round_mode_16_64 0
		.amdhsa_float_denorm_mode_32 3
		.amdhsa_float_denorm_mode_16_64 3
		.amdhsa_dx10_clamp 1
		.amdhsa_ieee_mode 1
		.amdhsa_fp16_overflow 0
		.amdhsa_exception_fp_ieee_invalid_op 0
		.amdhsa_exception_fp_denorm_src 0
		.amdhsa_exception_fp_ieee_div_zero 0
		.amdhsa_exception_fp_ieee_overflow 0
		.amdhsa_exception_fp_ieee_underflow 0
		.amdhsa_exception_fp_ieee_inexact 0
		.amdhsa_exception_int_div_zero 0
	.end_amdhsa_kernel
	.section	.text._ZN2at6native12_GLOBAL__N_135GammaBetaBackwardCUDAKernelTemplateIN3c108BFloat16EfLj64ELj8ELj64ELb0ELb0ELb1EEEvllPKT_S7_PKT0_SA_PS5_SB_,"axG",@progbits,_ZN2at6native12_GLOBAL__N_135GammaBetaBackwardCUDAKernelTemplateIN3c108BFloat16EfLj64ELj8ELj64ELb0ELb0ELb1EEEvllPKT_S7_PKT0_SA_PS5_SB_,comdat
.Lfunc_end193:
	.size	_ZN2at6native12_GLOBAL__N_135GammaBetaBackwardCUDAKernelTemplateIN3c108BFloat16EfLj64ELj8ELj64ELb0ELb0ELb1EEEvllPKT_S7_PKT0_SA_PS5_SB_, .Lfunc_end193-_ZN2at6native12_GLOBAL__N_135GammaBetaBackwardCUDAKernelTemplateIN3c108BFloat16EfLj64ELj8ELj64ELb0ELb0ELb1EEEvllPKT_S7_PKT0_SA_PS5_SB_
                                        ; -- End function
	.set _ZN2at6native12_GLOBAL__N_135GammaBetaBackwardCUDAKernelTemplateIN3c108BFloat16EfLj64ELj8ELj64ELb0ELb0ELb1EEEvllPKT_S7_PKT0_SA_PS5_SB_.num_vgpr, 90
	.set _ZN2at6native12_GLOBAL__N_135GammaBetaBackwardCUDAKernelTemplateIN3c108BFloat16EfLj64ELj8ELj64ELb0ELb0ELb1EEEvllPKT_S7_PKT0_SA_PS5_SB_.num_agpr, 0
	.set _ZN2at6native12_GLOBAL__N_135GammaBetaBackwardCUDAKernelTemplateIN3c108BFloat16EfLj64ELj8ELj64ELb0ELb0ELb1EEEvllPKT_S7_PKT0_SA_PS5_SB_.numbered_sgpr, 34
	.set _ZN2at6native12_GLOBAL__N_135GammaBetaBackwardCUDAKernelTemplateIN3c108BFloat16EfLj64ELj8ELj64ELb0ELb0ELb1EEEvllPKT_S7_PKT0_SA_PS5_SB_.num_named_barrier, 0
	.set _ZN2at6native12_GLOBAL__N_135GammaBetaBackwardCUDAKernelTemplateIN3c108BFloat16EfLj64ELj8ELj64ELb0ELb0ELb1EEEvllPKT_S7_PKT0_SA_PS5_SB_.private_seg_size, 0
	.set _ZN2at6native12_GLOBAL__N_135GammaBetaBackwardCUDAKernelTemplateIN3c108BFloat16EfLj64ELj8ELj64ELb0ELb0ELb1EEEvllPKT_S7_PKT0_SA_PS5_SB_.uses_vcc, 1
	.set _ZN2at6native12_GLOBAL__N_135GammaBetaBackwardCUDAKernelTemplateIN3c108BFloat16EfLj64ELj8ELj64ELb0ELb0ELb1EEEvllPKT_S7_PKT0_SA_PS5_SB_.uses_flat_scratch, 0
	.set _ZN2at6native12_GLOBAL__N_135GammaBetaBackwardCUDAKernelTemplateIN3c108BFloat16EfLj64ELj8ELj64ELb0ELb0ELb1EEEvllPKT_S7_PKT0_SA_PS5_SB_.has_dyn_sized_stack, 0
	.set _ZN2at6native12_GLOBAL__N_135GammaBetaBackwardCUDAKernelTemplateIN3c108BFloat16EfLj64ELj8ELj64ELb0ELb0ELb1EEEvllPKT_S7_PKT0_SA_PS5_SB_.has_recursion, 0
	.set _ZN2at6native12_GLOBAL__N_135GammaBetaBackwardCUDAKernelTemplateIN3c108BFloat16EfLj64ELj8ELj64ELb0ELb0ELb1EEEvllPKT_S7_PKT0_SA_PS5_SB_.has_indirect_call, 0
	.section	.AMDGPU.csdata,"",@progbits
; Kernel info:
; codeLenInByte = 8116
; TotalNumSgprs: 38
; NumVgprs: 90
; ScratchSize: 0
; MemoryBound: 0
; FloatMode: 240
; IeeeMode: 1
; LDSByteSize: 0 bytes/workgroup (compile time only)
; SGPRBlocks: 4
; VGPRBlocks: 22
; NumSGPRsForWavesPerEU: 38
; NumVGPRsForWavesPerEU: 90
; Occupancy: 2
; WaveLimiterHint : 0
; COMPUTE_PGM_RSRC2:SCRATCH_EN: 0
; COMPUTE_PGM_RSRC2:USER_SGPR: 6
; COMPUTE_PGM_RSRC2:TRAP_HANDLER: 0
; COMPUTE_PGM_RSRC2:TGID_X_EN: 1
; COMPUTE_PGM_RSRC2:TGID_Y_EN: 1
; COMPUTE_PGM_RSRC2:TGID_Z_EN: 0
; COMPUTE_PGM_RSRC2:TIDIG_COMP_CNT: 1
	.section	.text._ZN2at6native12_GLOBAL__N_135GammaBetaBackwardCUDAKernelTemplateIN3c108BFloat16EfLj64ELj16ELj128ELb0ELb1ELb1EEEvllPKT_S7_PKT0_SA_PS5_SB_,"axG",@progbits,_ZN2at6native12_GLOBAL__N_135GammaBetaBackwardCUDAKernelTemplateIN3c108BFloat16EfLj64ELj16ELj128ELb0ELb1ELb1EEEvllPKT_S7_PKT0_SA_PS5_SB_,comdat
	.globl	_ZN2at6native12_GLOBAL__N_135GammaBetaBackwardCUDAKernelTemplateIN3c108BFloat16EfLj64ELj16ELj128ELb0ELb1ELb1EEEvllPKT_S7_PKT0_SA_PS5_SB_ ; -- Begin function _ZN2at6native12_GLOBAL__N_135GammaBetaBackwardCUDAKernelTemplateIN3c108BFloat16EfLj64ELj16ELj128ELb0ELb1ELb1EEEvllPKT_S7_PKT0_SA_PS5_SB_
	.p2align	8
	.type	_ZN2at6native12_GLOBAL__N_135GammaBetaBackwardCUDAKernelTemplateIN3c108BFloat16EfLj64ELj16ELj128ELb0ELb1ELb1EEEvllPKT_S7_PKT0_SA_PS5_SB_,@function
_ZN2at6native12_GLOBAL__N_135GammaBetaBackwardCUDAKernelTemplateIN3c108BFloat16EfLj64ELj16ELj128ELb0ELb1ELb1EEEvllPKT_S7_PKT0_SA_PS5_SB_: ; @_ZN2at6native12_GLOBAL__N_135GammaBetaBackwardCUDAKernelTemplateIN3c108BFloat16EfLj64ELj16ELj128ELb0ELb1ELb1EEEvllPKT_S7_PKT0_SA_PS5_SB_
; %bb.0:
	s_load_dwordx4 s[8:11], s[4:5], 0x0
	s_lshl_b32 s18, s7, 7
	s_mov_b32 s19, 0
	v_mov_b32_e32 v2, s18
	v_mov_b32_e32 v3, s19
	s_waitcnt lgkmcnt(0)
	v_cmp_gt_i64_e32 vcc, s[8:9], v[2:3]
	s_cbranch_vccnz .LBB194_2
; %bb.1:
	s_mov_b64 s[0:1], 0
	s_branch .LBB194_3
.LBB194_2:
	s_mov_b64 s[0:1], -1
.LBB194_3:
	s_load_dwordx2 s[16:17], s[4:5], 0x30
	v_mov_b32_e32 v3, 0
	s_andn2_b64 vcc, exec, s[0:1]
	v_mbcnt_lo_u32_b32 v8, -1, 0
	s_cbranch_vccnz .LBB194_10
; %bb.4:
	s_load_dword s0, s[4:5], 0x4c
	s_load_dword s7, s[4:5], 0x44
	s_load_dwordx4 s[12:15], s[4:5], 0x10
	s_load_dwordx2 s[2:3], s[4:5], 0x28
	v_lshlrev_b32_e32 v4, 3, v1
	s_waitcnt lgkmcnt(0)
	s_and_b32 s0, s0, 0xffff
	v_mad_u32_u24 v2, v1, s0, v0
	v_and_b32_e32 v5, 63, v2
	v_add_co_u32_e32 v10, vcc, s18, v4
	v_addc_co_u32_e64 v11, s[20:21], 0, 0, vcc
	v_add_co_u32_e32 v4, vcc, v10, v5
	v_cmp_gt_u32_e64 s[0:1], 8, v5
	v_mbcnt_hi_u32_b32 v6, -1, v8
	v_addc_co_u32_e32 v5, vcc, 0, v11, vcc
	v_mul_lo_u32 v14, s11, v10
	v_mul_lo_u32 v15, s10, v11
	v_mad_u64_u32 v[11:12], s[20:21], s10, v10, 0
	v_lshlrev_b32_e32 v6, 2, v6
	v_and_b32_e32 v9, 0x100, v6
	v_lshlrev_b64 v[6:7], 2, v[4:5]
	v_mov_b32_e32 v3, 0
	v_lshl_add_u32 v2, s6, 6, v0
	v_mov_b32_e32 v13, s3
	v_add_co_u32_e32 v6, vcc, s2, v6
	v_add3_u32 v12, v12, v15, v14
	v_addc_co_u32_e32 v7, vcc, v13, v7, vcc
	v_lshlrev_b64 v[11:12], 1, v[11:12]
	v_lshlrev_b64 v[13:14], 1, v[2:3]
	s_lshl_b32 s4, s7, 7
	s_mul_i32 s2, s11, s4
	s_mul_hi_u32 s3, s10, s4
	s_mov_b32 s5, 0
	v_add_co_u32_e32 v2, vcc, v11, v13
	s_add_i32 s3, s3, s2
	s_mul_i32 s2, s10, s4
	v_or_b32_e32 v10, 20, v9
	v_addc_co_u32_e32 v11, vcc, v12, v14, vcc
	v_or_b32_e32 v12, 24, v9
	v_or_b32_e32 v13, 28, v9
	s_lshl_b64 s[20:21], s[4:5], 2
	s_lshl_b64 s[22:23], s[2:3], 1
	;; [unrolled: 1-line block ×3, first 2 shown]
	s_branch .LBB194_7
.LBB194_5:                              ;   in Loop: Header=BB194_7 Depth=1
	s_or_b64 exec, exec, s[24:25]
.LBB194_6:                              ;   in Loop: Header=BB194_7 Depth=1
	s_or_b64 exec, exec, s[2:3]
	v_mov_b32_e32 v15, s13
	v_add_co_u32_e32 v16, vcc, s12, v2
	v_addc_co_u32_e32 v17, vcc, v15, v11, vcc
	v_mov_b32_e32 v15, s15
	v_add_co_u32_e32 v18, vcc, s14, v2
	v_addc_co_u32_e32 v19, vcc, v15, v11, vcc
	;; [unrolled: 3-line block ×3, first 2 shown]
	global_load_ushort v22, v[18:19], off
	v_add_co_u32_e32 v18, vcc, s10, v16
	global_load_ushort v16, v[16:17], off
	v_addc_co_u32_e32 v19, vcc, v17, v15, vcc
	s_add_u32 s18, s18, s4
	s_addc_u32 s19, s19, 0
	v_add_co_u32_e64 v6, s[2:3], s20, v6
	s_waitcnt vmcnt(1)
	v_lshlrev_b32_e32 v17, 16, v22
	global_load_ushort v22, v[20:21], off
	s_waitcnt vmcnt(1)
	v_lshlrev_b32_e32 v16, 16, v16
	v_mul_f32_e32 v16, v16, v17
	ds_bpermute_b32 v17, v9, v14
	s_waitcnt lgkmcnt(0)
	v_fmac_f32_e32 v3, v16, v17
	v_add_co_u32_e32 v16, vcc, s10, v20
	v_addc_co_u32_e32 v17, vcc, v21, v15, vcc
	v_add_co_u32_e32 v20, vcc, s10, v18
	global_load_ushort v18, v[18:19], off
	v_addc_co_u32_e32 v21, vcc, v19, v15, vcc
	s_waitcnt vmcnt(1)
	v_lshlrev_b32_e32 v19, 16, v22
	global_load_ushort v22, v[16:17], off
	s_waitcnt vmcnt(1)
	v_lshlrev_b32_e32 v18, 16, v18
	v_mul_f32_e32 v18, v18, v19
	v_or_b32_e32 v19, 4, v9
	ds_bpermute_b32 v19, v19, v14
	s_waitcnt lgkmcnt(0)
	v_fmac_f32_e32 v3, v18, v19
	v_add_co_u32_e32 v18, vcc, s10, v16
	v_addc_co_u32_e32 v19, vcc, v17, v15, vcc
	v_add_co_u32_e32 v16, vcc, s10, v20
	global_load_ushort v20, v[20:21], off
	v_addc_co_u32_e32 v17, vcc, v21, v15, vcc
	s_waitcnt vmcnt(1)
	v_lshlrev_b32_e32 v21, 16, v22
	global_load_ushort v22, v[18:19], off
	s_waitcnt vmcnt(1)
	v_lshlrev_b32_e32 v20, 16, v20
	v_mul_f32_e32 v20, v20, v21
	v_or_b32_e32 v21, 8, v9
	;; [unrolled: 15-line block ×4, first 2 shown]
	ds_bpermute_b32 v19, v19, v14
	s_waitcnt lgkmcnt(0)
	v_fmac_f32_e32 v3, v18, v19
	v_add_co_u32_e32 v18, vcc, s10, v16
	v_addc_co_u32_e32 v19, vcc, v17, v15, vcc
	v_add_co_u32_e32 v16, vcc, s10, v20
	global_load_ushort v20, v[20:21], off
	v_addc_co_u32_e32 v17, vcc, v21, v15, vcc
	s_waitcnt vmcnt(1)
	v_lshlrev_b32_e32 v21, 16, v22
	global_load_ushort v22, v[18:19], off
	s_waitcnt vmcnt(1)
	v_lshlrev_b32_e32 v20, 16, v20
	v_mul_f32_e32 v20, v20, v21
	ds_bpermute_b32 v21, v10, v14
	s_waitcnt lgkmcnt(0)
	v_fmac_f32_e32 v3, v20, v21
	v_add_co_u32_e32 v20, vcc, s10, v18
	v_addc_co_u32_e32 v21, vcc, v19, v15, vcc
	v_add_co_u32_e32 v18, vcc, s10, v16
	v_addc_co_u32_e32 v19, vcc, v17, v15, vcc
	global_load_ushort v15, v[16:17], off
	s_waitcnt vmcnt(1)
	v_lshlrev_b32_e32 v16, 16, v22
	s_waitcnt vmcnt(0)
	v_lshlrev_b32_e32 v15, 16, v15
	v_mul_f32_e32 v15, v15, v16
	ds_bpermute_b32 v16, v12, v14
	ds_bpermute_b32 v14, v13, v14
	s_waitcnt lgkmcnt(1)
	v_fmac_f32_e32 v3, v15, v16
	global_load_ushort v15, v[20:21], off
	global_load_ushort v16, v[18:19], off
	s_waitcnt vmcnt(1)
	v_lshlrev_b32_e32 v15, 16, v15
	s_waitcnt vmcnt(0)
	v_lshlrev_b32_e32 v16, 16, v16
	v_mul_f32_e32 v15, v16, v15
	s_waitcnt lgkmcnt(0)
	v_fmac_f32_e32 v3, v15, v14
	v_mov_b32_e32 v15, s9
	v_mov_b32_e32 v14, s8
	v_cmp_lt_i64_e32 vcc, s[18:19], v[14:15]
	v_mov_b32_e32 v14, s21
	v_addc_co_u32_e64 v7, s[2:3], v7, v14, s[2:3]
	v_add_co_u32_e64 v2, s[2:3], s22, v2
	v_mov_b32_e32 v14, s23
	v_addc_co_u32_e64 v11, s[2:3], v11, v14, s[2:3]
	v_add_co_u32_e64 v4, s[2:3], s4, v4
	v_addc_co_u32_e64 v5, s[2:3], 0, v5, s[2:3]
	s_cbranch_vccz .LBB194_10
.LBB194_7:                              ; =>This Inner Loop Header: Depth=1
	v_mov_b32_e32 v14, 0
	s_and_saveexec_b64 s[2:3], s[0:1]
	s_cbranch_execz .LBB194_6
; %bb.8:                                ;   in Loop: Header=BB194_7 Depth=1
	v_cmp_gt_i64_e32 vcc, s[8:9], v[4:5]
	v_mov_b32_e32 v14, 0
	s_and_saveexec_b64 s[24:25], vcc
	s_cbranch_execz .LBB194_5
; %bb.9:                                ;   in Loop: Header=BB194_7 Depth=1
	global_load_dword v14, v[6:7], off
	s_branch .LBB194_5
.LBB194_10:
	s_movk_i32 s0, 0x41
	v_mad_u32_u24 v2, v1, s0, v0
	v_lshl_add_u32 v2, v2, 2, 0
	ds_write_b32 v2, v3
	v_mov_b32_e32 v3, 0
	ds_write_b32 v2, v3 offset:4160
	v_lshrrev_b32_e32 v2, 6, v0
	v_add_u32_e32 v1, v2, v1
	v_cmp_gt_u32_e32 vcc, 64, v1
	s_waitcnt lgkmcnt(0)
	s_barrier
	s_and_saveexec_b64 s[0:1], vcc
	s_cbranch_execz .LBB194_30
; %bb.11:
	v_and_b32_e32 v2, 63, v0
	v_cmp_gt_u32_e64 s[0:1], 16, v2
	v_mul_u32_u24_e32 v3, 0x41, v2
                                        ; implicit-def: $vgpr2
	s_and_saveexec_b64 s[2:3], s[0:1]
; %bb.12:
	v_lshlrev_b32_e32 v2, 2, v1
	v_lshlrev_b32_e32 v4, 2, v3
	v_add3_u32 v2, 0, v2, v4
	ds_read_b32 v2, v2
; %bb.13:
	s_or_b64 exec, exec, s[2:3]
	v_mbcnt_hi_u32_b32 v7, -1, v8
	v_and_b32_e32 v4, 64, v7
	v_add_u32_e32 v8, 64, v4
	v_xor_b32_e32 v4, 8, v7
	v_cmp_lt_i32_e32 vcc, v4, v8
	v_cndmask_b32_e32 v4, v7, v4, vcc
	v_lshlrev_b32_e32 v4, 2, v4
	s_waitcnt lgkmcnt(0)
	ds_bpermute_b32 v5, v4, v2
	v_xor_b32_e32 v6, 4, v7
	v_cmp_lt_i32_e32 vcc, v6, v8
	v_xor_b32_e32 v9, 2, v7
	s_cmp_lg_u64 s[16:17], 0
	s_waitcnt lgkmcnt(0)
	v_add_f32_e32 v2, v2, v5
	v_cndmask_b32_e32 v5, v7, v6, vcc
	v_lshlrev_b32_e32 v5, 2, v5
	ds_bpermute_b32 v6, v5, v2
	v_cmp_lt_i32_e32 vcc, v9, v8
	s_mov_b32 s7, 0
	s_cselect_b64 s[4:5], -1, 0
	s_waitcnt lgkmcnt(0)
	v_add_f32_e32 v2, v2, v6
	v_cndmask_b32_e32 v6, v7, v9, vcc
	v_lshlrev_b32_e32 v6, 2, v6
	ds_bpermute_b32 v9, v6, v2
	v_cmp_eq_u32_e32 vcc, 0, v0
	v_xor_b32_e32 v0, 1, v7
	v_cmp_lt_i32_e64 s[2:3], v0, v8
	v_cndmask_b32_e64 v0, v7, v0, s[2:3]
	s_waitcnt lgkmcnt(0)
	v_add_f32_e32 v2, v2, v9
	v_lshlrev_b32_e32 v0, 2, v0
	ds_bpermute_b32 v7, v0, v2
	s_and_b64 s[2:3], vcc, s[4:5]
	s_lshl_b64 s[4:5], s[6:7], 7
	s_add_u32 s6, s16, s4
	s_addc_u32 s7, s17, s5
	s_waitcnt lgkmcnt(0)
	v_add_f32_e32 v7, v2, v7
	s_and_saveexec_b64 s[4:5], s[2:3]
	s_cbranch_execz .LBB194_15
; %bb.14:
	v_bfe_u32 v8, v7, 16, 1
	s_movk_i32 s8, 0x7fff
	v_mov_b32_e32 v2, 0
	v_add3_u32 v8, v7, v8, s8
	v_cmp_o_f32_e32 vcc, v7, v7
	v_mov_b32_e32 v9, 0x7fc0
	v_cndmask_b32_sdwa v10, v9, v8, vcc dst_sel:DWORD dst_unused:UNUSED_PAD src0_sel:DWORD src1_sel:WORD_1
	v_lshlrev_b64 v[8:9], 1, v[1:2]
	v_mov_b32_e32 v2, s7
	v_add_co_u32_e32 v8, vcc, s6, v8
	v_addc_co_u32_e32 v9, vcc, v2, v9, vcc
	global_store_short v[8:9], v10, off
.LBB194_15:
	s_or_b64 exec, exec, s[4:5]
	v_cmp_gt_u32_e32 vcc, 48, v1
	s_and_b64 exec, exec, vcc
	s_cbranch_execz .LBB194_30
; %bb.16:
	s_and_saveexec_b64 s[4:5], s[0:1]
; %bb.17:
	v_lshlrev_b32_e32 v2, 2, v1
	v_lshlrev_b32_e32 v7, 2, v3
	v_add3_u32 v2, 0, v2, v7
	ds_read_b32 v7, v2 offset:64
; %bb.18:
	s_or_b64 exec, exec, s[4:5]
	s_waitcnt lgkmcnt(0)
	ds_bpermute_b32 v2, v4, v7
	s_waitcnt lgkmcnt(0)
	v_add_f32_e32 v2, v7, v2
	ds_bpermute_b32 v7, v5, v2
	s_waitcnt lgkmcnt(0)
	v_add_f32_e32 v2, v2, v7
	;; [unrolled: 3-line block ×4, first 2 shown]
	s_and_saveexec_b64 s[4:5], s[2:3]
	s_cbranch_execz .LBB194_20
; %bb.19:
	v_bfe_u32 v2, v7, 16, 1
	s_movk_i32 s8, 0x7fff
	v_add3_u32 v2, v7, v2, s8
	v_cmp_o_f32_e32 vcc, v7, v7
	v_mov_b32_e32 v8, 0x7fc0
	v_cndmask_b32_sdwa v10, v8, v2, vcc dst_sel:DWORD dst_unused:UNUSED_PAD src0_sel:DWORD src1_sel:WORD_1
	v_mov_b32_e32 v2, 0
	v_lshlrev_b64 v[8:9], 1, v[1:2]
	v_mov_b32_e32 v2, s7
	v_add_co_u32_e32 v8, vcc, s6, v8
	v_addc_co_u32_e32 v9, vcc, v2, v9, vcc
	global_store_short v[8:9], v10, off offset:32
.LBB194_20:
	s_or_b64 exec, exec, s[4:5]
	v_cmp_gt_u32_e32 vcc, 32, v1
	s_and_b64 exec, exec, vcc
	s_cbranch_execz .LBB194_30
; %bb.21:
	s_and_saveexec_b64 s[4:5], s[0:1]
; %bb.22:
	v_lshlrev_b32_e32 v2, 2, v1
	v_lshlrev_b32_e32 v7, 2, v3
	v_add3_u32 v2, 0, v2, v7
	ds_read_b32 v7, v2 offset:128
; %bb.23:
	s_or_b64 exec, exec, s[4:5]
	s_waitcnt lgkmcnt(0)
	ds_bpermute_b32 v2, v4, v7
	s_waitcnt lgkmcnt(0)
	v_add_f32_e32 v2, v7, v2
	ds_bpermute_b32 v7, v5, v2
	s_waitcnt lgkmcnt(0)
	v_add_f32_e32 v2, v2, v7
	;; [unrolled: 3-line block ×4, first 2 shown]
	s_and_saveexec_b64 s[4:5], s[2:3]
	s_cbranch_execz .LBB194_25
; %bb.24:
	v_bfe_u32 v2, v7, 16, 1
	s_movk_i32 s8, 0x7fff
	v_add3_u32 v2, v7, v2, s8
	v_cmp_o_f32_e32 vcc, v7, v7
	v_mov_b32_e32 v8, 0x7fc0
	v_cndmask_b32_sdwa v10, v8, v2, vcc dst_sel:DWORD dst_unused:UNUSED_PAD src0_sel:DWORD src1_sel:WORD_1
	v_mov_b32_e32 v2, 0
	v_lshlrev_b64 v[8:9], 1, v[1:2]
	v_mov_b32_e32 v2, s7
	v_add_co_u32_e32 v8, vcc, s6, v8
	v_addc_co_u32_e32 v9, vcc, v2, v9, vcc
	global_store_short v[8:9], v10, off offset:64
.LBB194_25:
	s_or_b64 exec, exec, s[4:5]
	v_cmp_gt_u32_e32 vcc, 16, v1
	s_and_b64 exec, exec, vcc
	s_cbranch_execz .LBB194_30
; %bb.26:
	s_and_saveexec_b64 s[4:5], s[0:1]
; %bb.27:
	v_lshlrev_b32_e32 v2, 2, v1
	v_lshlrev_b32_e32 v3, 2, v3
	v_add3_u32 v2, 0, v2, v3
	ds_read_b32 v7, v2 offset:192
; %bb.28:
	s_or_b64 exec, exec, s[4:5]
	s_waitcnt lgkmcnt(0)
	ds_bpermute_b32 v2, v4, v7
	s_waitcnt lgkmcnt(0)
	v_add_f32_e32 v2, v7, v2
	ds_bpermute_b32 v3, v5, v2
	s_waitcnt lgkmcnt(0)
	v_add_f32_e32 v2, v2, v3
	;; [unrolled: 3-line block ×3, first 2 shown]
	ds_bpermute_b32 v0, v0, v2
	s_and_saveexec_b64 s[0:1], s[2:3]
	s_xor_b64 s[0:1], exec, s[0:1]
	s_cbranch_execz .LBB194_30
; %bb.29:
	s_waitcnt lgkmcnt(0)
	v_add_f32_e32 v0, v2, v0
	v_bfe_u32 v2, v0, 16, 1
	s_movk_i32 s0, 0x7fff
	v_add3_u32 v2, v0, v2, s0
	v_cmp_o_f32_e32 vcc, v0, v0
	v_mov_b32_e32 v0, 0x7fc0
	v_cndmask_b32_sdwa v3, v0, v2, vcc dst_sel:DWORD dst_unused:UNUSED_PAD src0_sel:DWORD src1_sel:WORD_1
	v_mov_b32_e32 v2, 0
	v_lshlrev_b64 v[0:1], 1, v[1:2]
	v_mov_b32_e32 v2, s7
	v_add_co_u32_e32 v0, vcc, s6, v0
	v_addc_co_u32_e32 v1, vcc, v2, v1, vcc
	global_store_short v[0:1], v3, off offset:96
.LBB194_30:
	s_endpgm
	.section	.rodata,"a",@progbits
	.p2align	6, 0x0
	.amdhsa_kernel _ZN2at6native12_GLOBAL__N_135GammaBetaBackwardCUDAKernelTemplateIN3c108BFloat16EfLj64ELj16ELj128ELb0ELb1ELb1EEEvllPKT_S7_PKT0_SA_PS5_SB_
		.amdhsa_group_segment_fixed_size 0
		.amdhsa_private_segment_fixed_size 0
		.amdhsa_kernarg_size 320
		.amdhsa_user_sgpr_count 6
		.amdhsa_user_sgpr_private_segment_buffer 1
		.amdhsa_user_sgpr_dispatch_ptr 0
		.amdhsa_user_sgpr_queue_ptr 0
		.amdhsa_user_sgpr_kernarg_segment_ptr 1
		.amdhsa_user_sgpr_dispatch_id 0
		.amdhsa_user_sgpr_flat_scratch_init 0
		.amdhsa_user_sgpr_private_segment_size 0
		.amdhsa_uses_dynamic_stack 0
		.amdhsa_system_sgpr_private_segment_wavefront_offset 0
		.amdhsa_system_sgpr_workgroup_id_x 1
		.amdhsa_system_sgpr_workgroup_id_y 1
		.amdhsa_system_sgpr_workgroup_id_z 0
		.amdhsa_system_sgpr_workgroup_info 0
		.amdhsa_system_vgpr_workitem_id 1
		.amdhsa_next_free_vgpr 23
		.amdhsa_next_free_sgpr 26
		.amdhsa_reserve_vcc 1
		.amdhsa_reserve_flat_scratch 0
		.amdhsa_float_round_mode_32 0
		.amdhsa_float_round_mode_16_64 0
		.amdhsa_float_denorm_mode_32 3
		.amdhsa_float_denorm_mode_16_64 3
		.amdhsa_dx10_clamp 1
		.amdhsa_ieee_mode 1
		.amdhsa_fp16_overflow 0
		.amdhsa_exception_fp_ieee_invalid_op 0
		.amdhsa_exception_fp_denorm_src 0
		.amdhsa_exception_fp_ieee_div_zero 0
		.amdhsa_exception_fp_ieee_overflow 0
		.amdhsa_exception_fp_ieee_underflow 0
		.amdhsa_exception_fp_ieee_inexact 0
		.amdhsa_exception_int_div_zero 0
	.end_amdhsa_kernel
	.section	.text._ZN2at6native12_GLOBAL__N_135GammaBetaBackwardCUDAKernelTemplateIN3c108BFloat16EfLj64ELj16ELj128ELb0ELb1ELb1EEEvllPKT_S7_PKT0_SA_PS5_SB_,"axG",@progbits,_ZN2at6native12_GLOBAL__N_135GammaBetaBackwardCUDAKernelTemplateIN3c108BFloat16EfLj64ELj16ELj128ELb0ELb1ELb1EEEvllPKT_S7_PKT0_SA_PS5_SB_,comdat
.Lfunc_end194:
	.size	_ZN2at6native12_GLOBAL__N_135GammaBetaBackwardCUDAKernelTemplateIN3c108BFloat16EfLj64ELj16ELj128ELb0ELb1ELb1EEEvllPKT_S7_PKT0_SA_PS5_SB_, .Lfunc_end194-_ZN2at6native12_GLOBAL__N_135GammaBetaBackwardCUDAKernelTemplateIN3c108BFloat16EfLj64ELj16ELj128ELb0ELb1ELb1EEEvllPKT_S7_PKT0_SA_PS5_SB_
                                        ; -- End function
	.set _ZN2at6native12_GLOBAL__N_135GammaBetaBackwardCUDAKernelTemplateIN3c108BFloat16EfLj64ELj16ELj128ELb0ELb1ELb1EEEvllPKT_S7_PKT0_SA_PS5_SB_.num_vgpr, 23
	.set _ZN2at6native12_GLOBAL__N_135GammaBetaBackwardCUDAKernelTemplateIN3c108BFloat16EfLj64ELj16ELj128ELb0ELb1ELb1EEEvllPKT_S7_PKT0_SA_PS5_SB_.num_agpr, 0
	.set _ZN2at6native12_GLOBAL__N_135GammaBetaBackwardCUDAKernelTemplateIN3c108BFloat16EfLj64ELj16ELj128ELb0ELb1ELb1EEEvllPKT_S7_PKT0_SA_PS5_SB_.numbered_sgpr, 26
	.set _ZN2at6native12_GLOBAL__N_135GammaBetaBackwardCUDAKernelTemplateIN3c108BFloat16EfLj64ELj16ELj128ELb0ELb1ELb1EEEvllPKT_S7_PKT0_SA_PS5_SB_.num_named_barrier, 0
	.set _ZN2at6native12_GLOBAL__N_135GammaBetaBackwardCUDAKernelTemplateIN3c108BFloat16EfLj64ELj16ELj128ELb0ELb1ELb1EEEvllPKT_S7_PKT0_SA_PS5_SB_.private_seg_size, 0
	.set _ZN2at6native12_GLOBAL__N_135GammaBetaBackwardCUDAKernelTemplateIN3c108BFloat16EfLj64ELj16ELj128ELb0ELb1ELb1EEEvllPKT_S7_PKT0_SA_PS5_SB_.uses_vcc, 1
	.set _ZN2at6native12_GLOBAL__N_135GammaBetaBackwardCUDAKernelTemplateIN3c108BFloat16EfLj64ELj16ELj128ELb0ELb1ELb1EEEvllPKT_S7_PKT0_SA_PS5_SB_.uses_flat_scratch, 0
	.set _ZN2at6native12_GLOBAL__N_135GammaBetaBackwardCUDAKernelTemplateIN3c108BFloat16EfLj64ELj16ELj128ELb0ELb1ELb1EEEvllPKT_S7_PKT0_SA_PS5_SB_.has_dyn_sized_stack, 0
	.set _ZN2at6native12_GLOBAL__N_135GammaBetaBackwardCUDAKernelTemplateIN3c108BFloat16EfLj64ELj16ELj128ELb0ELb1ELb1EEEvllPKT_S7_PKT0_SA_PS5_SB_.has_recursion, 0
	.set _ZN2at6native12_GLOBAL__N_135GammaBetaBackwardCUDAKernelTemplateIN3c108BFloat16EfLj64ELj16ELj128ELb0ELb1ELb1EEEvllPKT_S7_PKT0_SA_PS5_SB_.has_indirect_call, 0
	.section	.AMDGPU.csdata,"",@progbits
; Kernel info:
; codeLenInByte = 2008
; TotalNumSgprs: 30
; NumVgprs: 23
; ScratchSize: 0
; MemoryBound: 0
; FloatMode: 240
; IeeeMode: 1
; LDSByteSize: 0 bytes/workgroup (compile time only)
; SGPRBlocks: 3
; VGPRBlocks: 5
; NumSGPRsForWavesPerEU: 30
; NumVGPRsForWavesPerEU: 23
; Occupancy: 10
; WaveLimiterHint : 0
; COMPUTE_PGM_RSRC2:SCRATCH_EN: 0
; COMPUTE_PGM_RSRC2:USER_SGPR: 6
; COMPUTE_PGM_RSRC2:TRAP_HANDLER: 0
; COMPUTE_PGM_RSRC2:TGID_X_EN: 1
; COMPUTE_PGM_RSRC2:TGID_Y_EN: 1
; COMPUTE_PGM_RSRC2:TGID_Z_EN: 0
; COMPUTE_PGM_RSRC2:TIDIG_COMP_CNT: 1
	.section	.text._ZN2at6native12_GLOBAL__N_135GammaBetaBackwardCUDAKernelTemplateIN3c108BFloat16EfLj64ELj16ELj128ELb0ELb0ELb1EEEvllPKT_S7_PKT0_SA_PS5_SB_,"axG",@progbits,_ZN2at6native12_GLOBAL__N_135GammaBetaBackwardCUDAKernelTemplateIN3c108BFloat16EfLj64ELj16ELj128ELb0ELb0ELb1EEEvllPKT_S7_PKT0_SA_PS5_SB_,comdat
	.globl	_ZN2at6native12_GLOBAL__N_135GammaBetaBackwardCUDAKernelTemplateIN3c108BFloat16EfLj64ELj16ELj128ELb0ELb0ELb1EEEvllPKT_S7_PKT0_SA_PS5_SB_ ; -- Begin function _ZN2at6native12_GLOBAL__N_135GammaBetaBackwardCUDAKernelTemplateIN3c108BFloat16EfLj64ELj16ELj128ELb0ELb0ELb1EEEvllPKT_S7_PKT0_SA_PS5_SB_
	.p2align	8
	.type	_ZN2at6native12_GLOBAL__N_135GammaBetaBackwardCUDAKernelTemplateIN3c108BFloat16EfLj64ELj16ELj128ELb0ELb0ELb1EEEvllPKT_S7_PKT0_SA_PS5_SB_,@function
_ZN2at6native12_GLOBAL__N_135GammaBetaBackwardCUDAKernelTemplateIN3c108BFloat16EfLj64ELj16ELj128ELb0ELb0ELb1EEEvllPKT_S7_PKT0_SA_PS5_SB_: ; @_ZN2at6native12_GLOBAL__N_135GammaBetaBackwardCUDAKernelTemplateIN3c108BFloat16EfLj64ELj16ELj128ELb0ELb0ELb1EEEvllPKT_S7_PKT0_SA_PS5_SB_
; %bb.0:
	s_mov_b64 s[38:39], s[2:3]
	s_mov_b64 s[36:37], s[0:1]
	s_add_u32 s36, s36, s8
	s_load_dwordx8 s[12:19], s[4:5], 0x0
	s_load_dwordx2 s[10:11], s[4:5], 0x28
	s_addc_u32 s37, s37, 0
	s_lshl_b32 s20, s7, 7
	s_lshl_b32 s33, s6, 6
	s_mov_b32 s21, 0
	v_mov_b32_e32 v2, s20
	s_or_b32 s0, s33, 63
	v_mov_b32_e32 v3, s21
	v_mov_b32_e32 v48, s0
	;; [unrolled: 1-line block ×3, first 2 shown]
	s_waitcnt lgkmcnt(0)
	v_cmp_gt_i64_e64 s[0:1], s[12:13], v[2:3]
	v_cmp_le_i64_e32 vcc, s[14:15], v[48:49]
	v_mov_b32_e32 v60, v0
	v_cndmask_b32_e64 v0, 0, 1, s[0:1]
	v_cmp_ne_u32_e64 s[0:1], 1, v0
	s_cbranch_vccz .LBB195_49
; %bb.1:
	s_and_b64 vcc, exec, s[0:1]
	s_cbranch_vccnz .LBB195_50
; %bb.2:
	v_lshlrev_b32_e32 v0, 3, v1
	v_add_co_u32_e32 v5, vcc, s20, v0
	v_addc_co_u32_e64 v6, s[2:3], 0, 0, vcc
	v_mul_lo_u32 v10, s15, v5
	v_mul_lo_u32 v9, s14, v6
	v_mad_u64_u32 v[3:4], s[2:3], s14, v5, 0
	v_mov_b32_e32 v2, 0
	s_load_dword s7, s[4:5], 0x44
	v_add_u32_e32 v7, s33, v60
	v_mov_b32_e32 v8, v2
	v_add3_u32 v4, v4, v9, v10
	v_cmp_gt_i64_e64 s[2:3], s[14:15], v[7:8]
	v_lshlrev_b64 v[19:20], 1, v[7:8]
	v_lshlrev_b64 v[7:8], 1, v[3:4]
	s_add_u32 s22, s4, 64
	v_mov_b32_e32 v9, s17
	v_add_co_u32_e32 v61, vcc, s16, v7
	s_addc_u32 s23, s5, 0
	s_waitcnt lgkmcnt(0)
	s_lshl_b32 s7, s7, 7
	v_addc_co_u32_e32 v21, vcc, v9, v8, vcc
	s_mul_i32 s8, s15, s7
	s_mul_hi_u32 s9, s14, s7
	v_add_co_u32_e32 v9, vcc, 7, v5
	s_add_i32 s9, s9, s8
	s_mul_i32 s8, s14, s7
	v_addc_co_u32_e32 v10, vcc, 0, v6, vcc
	s_lshl_b64 s[24:25], s[8:9], 1
	v_mul_lo_u32 v12, s15, v9
	v_mul_lo_u32 v13, s14, v10
	v_mad_u64_u32 v[9:10], s[8:9], s14, v9, 0
	v_mov_b32_e32 v11, s19
	v_add_co_u32_e32 v22, vcc, s18, v7
	v_add3_u32 v10, v10, v13, v12
	v_addc_co_u32_e32 v23, vcc, v11, v8, vcc
	v_lshlrev_b64 v[7:8], 1, v[9:10]
	v_mov_b32_e32 v9, s17
	v_add_co_u32_e32 v24, vcc, s16, v7
	v_addc_co_u32_e32 v25, vcc, v9, v8, vcc
	v_add_co_u32_e32 v9, vcc, 6, v5
	v_addc_co_u32_e32 v10, vcc, 0, v6, vcc
	v_mul_lo_u32 v12, s15, v9
	v_mul_lo_u32 v13, s14, v10
	v_mad_u64_u32 v[9:10], s[8:9], s14, v9, 0
	v_add_co_u32_e32 v26, vcc, s18, v7
	v_add3_u32 v10, v10, v13, v12
	v_addc_co_u32_e32 v27, vcc, v11, v8, vcc
	v_lshlrev_b64 v[7:8], 1, v[9:10]
	v_mov_b32_e32 v9, s17
	v_add_co_u32_e32 v28, vcc, s16, v7
	v_addc_co_u32_e32 v29, vcc, v9, v8, vcc
	v_add_co_u32_e32 v9, vcc, 5, v5
	v_addc_co_u32_e32 v10, vcc, 0, v6, vcc
	v_mul_lo_u32 v12, s15, v9
	v_mul_lo_u32 v13, s14, v10
	v_mad_u64_u32 v[9:10], s[8:9], s14, v9, 0
	;; [unrolled: 12-line block ×5, first 2 shown]
	v_mov_b32_e32 v9, s19
	v_add_co_u32_e32 v42, vcc, s18, v7
	v_add3_u32 v6, v6, v11, v10
	v_lshlrev_b64 v[5:6], 1, v[5:6]
	v_addc_co_u32_e32 v43, vcc, v9, v8, vcc
	v_mov_b32_e32 v7, s17
	v_add_co_u32_e32 v44, vcc, s16, v5
	v_addc_co_u32_e32 v45, vcc, v7, v6, vcc
	v_mov_b32_e32 v7, s19
	v_add_co_u32_e32 v46, vcc, s18, v5
	;; [unrolled: 3-line block ×3, first 2 shown]
	v_addc_co_u32_e32 v4, vcc, v4, v5, vcc
	v_lshlrev_b64 v[3:4], 1, v[3:4]
	v_mov_b32_e32 v5, s17
	v_add_co_u32_e32 v48, vcc, s16, v3
	v_addc_co_u32_e32 v50, vcc, v5, v4, vcc
	v_add_co_u32_e32 v51, vcc, s18, v3
	v_mbcnt_lo_u32_b32 v3, -1, 0
	v_mbcnt_hi_u32_b32 v3, -1, v3
	v_mov_b32_e32 v5, s19
	s_add_u32 s26, s20, 0x7f
	v_lshlrev_b32_e32 v3, 2, v3
	v_addc_co_u32_e32 v52, vcc, v5, v4, vcc
	s_addc_u32 s27, 0, 0
	v_and_b32_e32 v53, 0x100, v3
	s_mov_b64 s[28:29], s[20:21]
	v_mov_b32_e32 v54, 0
.LBB195_3:                              ; =>This Inner Loop Header: Depth=1
	v_mov_b32_e32 v3, s12
	v_mov_b32_e32 v4, s13
	v_cmp_ge_i64_e32 vcc, s[26:27], v[3:4]
	v_mov_b32_e32 v3, s27
	v_add_co_u32_e64 v55, s[8:9], s26, v0
	v_addc_co_u32_e64 v56, s[8:9], 0, v3, s[8:9]
	s_mov_b64 s[8:9], -1
	s_and_b64 vcc, exec, vcc
                                        ; implicit-def: $vgpr3_vgpr4_vgpr5_vgpr6_vgpr7_vgpr8_vgpr9_vgpr10
                                        ; implicit-def: $vgpr49
                                        ; implicit-def: $vgpr11_vgpr12_vgpr13_vgpr14_vgpr15_vgpr16_vgpr17_vgpr18
                                        ; implicit-def: $vgpr3
	s_cbranch_vccz .LBB195_25
; %bb.4:                                ;   in Loop: Header=BB195_3 Depth=1
	s_load_dword s8, s[22:23], 0xc
	v_mov_b32_e32 v57, 0
	s_waitcnt lgkmcnt(0)
	s_and_b32 s8, s8, 0xffff
	v_mad_u32_u24 v3, v1, s8, v60
	v_and_b32_e32 v3, 63, v3
	v_cmp_gt_u32_e32 vcc, 8, v3
	s_and_saveexec_b64 s[8:9], vcc
	s_cbranch_execz .LBB195_8
; %bb.5:                                ;   in Loop: Header=BB195_3 Depth=1
	v_add_co_u32_e32 v3, vcc, v55, v3
	v_addc_co_u32_e32 v4, vcc, 0, v56, vcc
	v_add_co_u32_e32 v3, vcc, 0xffffff81, v3
	v_addc_co_u32_e32 v4, vcc, -1, v4, vcc
	v_cmp_gt_i64_e32 vcc, s[12:13], v[3:4]
	v_mov_b32_e32 v57, 0
	s_and_saveexec_b64 s[30:31], vcc
	s_cbranch_execz .LBB195_7
; %bb.6:                                ;   in Loop: Header=BB195_3 Depth=1
	v_lshlrev_b64 v[3:4], 2, v[3:4]
	v_mov_b32_e32 v5, s11
	v_add_co_u32_e32 v3, vcc, s10, v3
	v_addc_co_u32_e32 v4, vcc, v5, v4, vcc
	global_load_dword v57, v[3:4], off
.LBB195_7:                              ;   in Loop: Header=BB195_3 Depth=1
	s_or_b64 exec, exec, s[30:31]
.LBB195_8:                              ;   in Loop: Header=BB195_3 Depth=1
	s_or_b64 exec, exec, s[8:9]
	v_add_co_u32_e32 v3, vcc, 0xffffff81, v55
	v_addc_co_u32_e32 v4, vcc, -1, v56, vcc
	v_mov_b32_e32 v9, v2
	v_cmp_gt_i64_e32 vcc, s[12:13], v[3:4]
	v_mov_b32_e32 v3, v2
	v_mov_b32_e32 v4, v2
	;; [unrolled: 1-line block ×15, first 2 shown]
	s_and_b64 s[30:31], s[2:3], vcc
	v_mov_b32_e32 v9, v8
	v_mov_b32_e32 v8, v7
	;; [unrolled: 1-line block ×7, first 2 shown]
	s_and_saveexec_b64 s[8:9], s[30:31]
	s_cbranch_execz .LBB195_10
; %bb.9:                                ;   in Loop: Header=BB195_3 Depth=1
	v_add_co_u32_e32 v3, vcc, v61, v19
	v_addc_co_u32_e32 v4, vcc, v21, v20, vcc
	global_load_ushort v11, v[3:4], off
	v_add_co_u32_e32 v3, vcc, v22, v19
	v_addc_co_u32_e32 v4, vcc, v23, v20, vcc
	global_load_ushort v18, v[3:4], off
	v_mov_b32_e32 v4, v2
	v_mov_b32_e32 v5, v2
	;; [unrolled: 1-line block ×13, first 2 shown]
	s_waitcnt vmcnt(1)
	v_lshlrev_b32_e32 v3, 16, v11
	s_waitcnt vmcnt(0)
	v_lshlrev_b32_e32 v11, 16, v18
	v_mov_b32_e32 v18, v2
.LBB195_10:                             ;   in Loop: Header=BB195_3 Depth=1
	s_or_b64 exec, exec, s[8:9]
	v_add_co_u32_e32 v58, vcc, 0xffffff82, v55
	v_addc_co_u32_e32 v59, vcc, -1, v56, vcc
	v_cmp_gt_i64_e32 vcc, s[12:13], v[58:59]
	s_and_b64 s[30:31], s[2:3], vcc
	s_and_saveexec_b64 s[8:9], s[30:31]
	s_cbranch_execz .LBB195_12
; %bb.11:                               ;   in Loop: Header=BB195_3 Depth=1
	v_add_co_u32_e32 v58, vcc, v48, v19
	v_addc_co_u32_e32 v59, vcc, v50, v20, vcc
	global_load_ushort v4, v[58:59], off
	v_add_co_u32_e32 v58, vcc, v51, v19
	v_addc_co_u32_e32 v59, vcc, v52, v20, vcc
	global_load_ushort v12, v[58:59], off
	s_waitcnt vmcnt(1)
	v_lshlrev_b32_e32 v4, 16, v4
	s_waitcnt vmcnt(0)
	v_lshlrev_b32_e32 v12, 16, v12
.LBB195_12:                             ;   in Loop: Header=BB195_3 Depth=1
	s_or_b64 exec, exec, s[8:9]
	v_add_co_u32_e32 v58, vcc, 0xffffff83, v55
	v_addc_co_u32_e32 v59, vcc, -1, v56, vcc
	v_cmp_gt_i64_e32 vcc, s[12:13], v[58:59]
	s_and_b64 s[30:31], s[2:3], vcc
	s_and_saveexec_b64 s[8:9], s[30:31]
	s_cbranch_execz .LBB195_14
; %bb.13:                               ;   in Loop: Header=BB195_3 Depth=1
	v_add_co_u32_e32 v58, vcc, v44, v19
	v_addc_co_u32_e32 v59, vcc, v45, v20, vcc
	global_load_ushort v5, v[58:59], off
	v_add_co_u32_e32 v58, vcc, v46, v19
	v_addc_co_u32_e32 v59, vcc, v47, v20, vcc
	global_load_ushort v13, v[58:59], off
	s_waitcnt vmcnt(1)
	v_lshlrev_b32_e32 v5, 16, v5
	s_waitcnt vmcnt(0)
	v_lshlrev_b32_e32 v13, 16, v13
.LBB195_14:                             ;   in Loop: Header=BB195_3 Depth=1
	;; [unrolled: 19-line block ×7, first 2 shown]
	s_or_b64 exec, exec, s[8:9]
	s_waitcnt vmcnt(0)
	ds_bpermute_b32 v49, v53, v57
	ds_bpermute_b32 v58, v53, v57 offset:4
	v_mul_f32_e32 v3, v11, v3
	ds_bpermute_b32 v11, v53, v57 offset:8
	v_mul_f32_e32 v4, v12, v4
	s_waitcnt lgkmcnt(2)
	v_fma_f32 v49, v3, v49, v54
	s_waitcnt lgkmcnt(1)
	v_fmac_f32_e32 v49, v4, v58
	ds_bpermute_b32 v3, v53, v57 offset:12
	v_mul_f32_e32 v4, v13, v5
	s_waitcnt lgkmcnt(1)
	v_fmac_f32_e32 v49, v4, v11
	ds_bpermute_b32 v4, v53, v57 offset:16
	v_mul_f32_e32 v5, v14, v6
	s_waitcnt lgkmcnt(1)
	v_fmac_f32_e32 v49, v5, v3
	v_mul_f32_e32 v3, v15, v7
	ds_bpermute_b32 v5, v53, v57 offset:20
	s_waitcnt lgkmcnt(1)
	v_fmac_f32_e32 v49, v3, v4
	ds_bpermute_b32 v4, v53, v57 offset:24
	ds_bpermute_b32 v3, v53, v57 offset:28
	v_mul_f32_e32 v6, v16, v8
	s_waitcnt lgkmcnt(2)
	v_fmac_f32_e32 v49, v6, v5
	v_mul_f32_e32 v5, v17, v9
	s_waitcnt lgkmcnt(1)
	v_fmac_f32_e32 v49, v5, v4
	s_mov_b64 s[8:9], 0
.LBB195_25:                             ;   in Loop: Header=BB195_3 Depth=1
	s_and_b64 vcc, exec, s[8:9]
	s_cbranch_vccz .LBB195_40
; %bb.26:                               ;   in Loop: Header=BB195_3 Depth=1
	s_load_dword s8, s[22:23], 0x0
	v_mov_b32_e32 v49, 0
	s_waitcnt lgkmcnt(0)
	s_cmp_lt_u32 s6, s8
	s_cselect_b32 s8, 12, 18
	s_add_u32 s8, s22, s8
	s_addc_u32 s9, s23, 0
	global_load_ushort v3, v2, s[8:9]
	s_waitcnt vmcnt(0)
	v_mad_u32_u24 v3, v1, v3, v60
	v_and_b32_e32 v3, 63, v3
	v_cmp_gt_u32_e32 vcc, 8, v3
	s_and_saveexec_b64 s[8:9], vcc
	s_cbranch_execz .LBB195_30
; %bb.27:                               ;   in Loop: Header=BB195_3 Depth=1
	v_add_co_u32_e32 v3, vcc, v55, v3
	v_addc_co_u32_e32 v4, vcc, 0, v56, vcc
	v_add_co_u32_e32 v3, vcc, 0xffffff81, v3
	v_addc_co_u32_e32 v4, vcc, -1, v4, vcc
	v_cmp_gt_i64_e32 vcc, s[12:13], v[3:4]
	v_mov_b32_e32 v49, 0
	s_and_saveexec_b64 s[30:31], vcc
	s_cbranch_execz .LBB195_29
; %bb.28:                               ;   in Loop: Header=BB195_3 Depth=1
	v_lshlrev_b64 v[3:4], 2, v[3:4]
	v_mov_b32_e32 v5, s11
	v_add_co_u32_e32 v3, vcc, s10, v3
	v_addc_co_u32_e32 v4, vcc, v5, v4, vcc
	global_load_dword v49, v[3:4], off
.LBB195_29:                             ;   in Loop: Header=BB195_3 Depth=1
	s_or_b64 exec, exec, s[30:31]
.LBB195_30:                             ;   in Loop: Header=BB195_3 Depth=1
	s_or_b64 exec, exec, s[8:9]
	v_mov_b32_e32 v9, v2
	v_mov_b32_e32 v3, v2
	;; [unrolled: 1-line block ×23, first 2 shown]
	s_and_saveexec_b64 s[8:9], s[2:3]
	s_cbranch_execnz .LBB195_42
; %bb.31:                               ;   in Loop: Header=BB195_3 Depth=1
	s_or_b64 exec, exec, s[8:9]
	s_and_saveexec_b64 s[8:9], s[2:3]
	s_cbranch_execnz .LBB195_43
.LBB195_32:                             ;   in Loop: Header=BB195_3 Depth=1
	s_or_b64 exec, exec, s[8:9]
	s_and_saveexec_b64 s[8:9], s[2:3]
	s_cbranch_execnz .LBB195_44
.LBB195_33:                             ;   in Loop: Header=BB195_3 Depth=1
	s_or_b64 exec, exec, s[8:9]
	s_and_saveexec_b64 s[8:9], s[2:3]
	s_cbranch_execnz .LBB195_45
.LBB195_34:                             ;   in Loop: Header=BB195_3 Depth=1
	s_or_b64 exec, exec, s[8:9]
	s_and_saveexec_b64 s[8:9], s[2:3]
	s_cbranch_execnz .LBB195_46
.LBB195_35:                             ;   in Loop: Header=BB195_3 Depth=1
	s_or_b64 exec, exec, s[8:9]
	s_and_saveexec_b64 s[8:9], s[2:3]
	s_cbranch_execnz .LBB195_47
.LBB195_36:                             ;   in Loop: Header=BB195_3 Depth=1
	s_or_b64 exec, exec, s[8:9]
	s_and_saveexec_b64 s[8:9], s[2:3]
	s_cbranch_execnz .LBB195_48
.LBB195_37:                             ;   in Loop: Header=BB195_3 Depth=1
	s_or_b64 exec, exec, s[8:9]
	s_and_saveexec_b64 s[8:9], s[2:3]
	s_cbranch_execz .LBB195_39
.LBB195_38:                             ;   in Loop: Header=BB195_3 Depth=1
	v_add_co_u32_e32 v55, vcc, v24, v19
	v_addc_co_u32_e32 v56, vcc, v25, v20, vcc
	global_load_ushort v10, v[55:56], off
	v_add_co_u32_e32 v55, vcc, v26, v19
	v_addc_co_u32_e32 v56, vcc, v27, v20, vcc
	global_load_ushort v18, v[55:56], off
	s_waitcnt vmcnt(1)
	v_lshlrev_b32_e32 v10, 16, v10
	s_waitcnt vmcnt(0)
	v_lshlrev_b32_e32 v18, 16, v18
.LBB195_39:                             ;   in Loop: Header=BB195_3 Depth=1
	s_or_b64 exec, exec, s[8:9]
	s_waitcnt vmcnt(0)
	ds_bpermute_b32 v55, v53, v49
	ds_bpermute_b32 v56, v53, v49 offset:4
	v_mul_f32_e32 v3, v11, v3
	ds_bpermute_b32 v11, v53, v49 offset:8
	v_mul_f32_e32 v4, v12, v4
	s_waitcnt lgkmcnt(2)
	v_fmac_f32_e32 v54, v3, v55
	s_waitcnt lgkmcnt(1)
	v_fmac_f32_e32 v54, v4, v56
	ds_bpermute_b32 v3, v53, v49 offset:12
	v_mul_f32_e32 v4, v13, v5
	s_waitcnt lgkmcnt(1)
	v_fmac_f32_e32 v54, v4, v11
	ds_bpermute_b32 v4, v53, v49 offset:16
	v_mul_f32_e32 v5, v14, v6
	s_waitcnt lgkmcnt(1)
	v_fmac_f32_e32 v54, v5, v3
	v_mul_f32_e32 v3, v15, v7
	ds_bpermute_b32 v5, v53, v49 offset:20
	s_waitcnt lgkmcnt(1)
	v_fmac_f32_e32 v54, v3, v4
	ds_bpermute_b32 v4, v53, v49 offset:24
	ds_bpermute_b32 v3, v53, v49 offset:28
	v_mul_f32_e32 v6, v16, v8
	s_waitcnt lgkmcnt(2)
	v_fmac_f32_e32 v54, v6, v5
	v_mul_f32_e32 v5, v17, v9
	s_waitcnt lgkmcnt(1)
	v_fmac_f32_e32 v54, v5, v4
	v_mov_b32_e32 v49, v54
.LBB195_40:                             ;   in Loop: Header=BB195_3 Depth=1
	v_mul_f32_e32 v4, v10, v18
	s_waitcnt lgkmcnt(0)
	v_fmac_f32_e32 v49, v4, v3
	v_mov_b32_e32 v3, s25
	v_add_co_u32_e32 v61, vcc, s24, v61
	v_addc_co_u32_e32 v21, vcc, v21, v3, vcc
	v_add_co_u32_e32 v22, vcc, s24, v22
	v_addc_co_u32_e32 v23, vcc, v23, v3, vcc
	;; [unrolled: 2-line block ×15, first 2 shown]
	v_add_co_u32_e32 v51, vcc, s24, v51
	s_add_u32 s28, s28, s7
	v_addc_co_u32_e32 v52, vcc, v52, v3, vcc
	v_mov_b32_e32 v3, s12
	s_addc_u32 s29, s29, 0
	v_mov_b32_e32 v4, s13
	v_cmp_lt_i64_e32 vcc, s[28:29], v[3:4]
	s_add_u32 s26, s26, s7
	s_addc_u32 s27, s27, 0
	s_cbranch_vccz .LBB195_50
; %bb.41:                               ;   in Loop: Header=BB195_3 Depth=1
	v_mov_b32_e32 v54, v49
	s_branch .LBB195_3
.LBB195_42:                             ;   in Loop: Header=BB195_3 Depth=1
	v_add_co_u32_e32 v3, vcc, v61, v19
	v_addc_co_u32_e32 v4, vcc, v21, v20, vcc
	global_load_ushort v11, v[3:4], off
	v_add_co_u32_e32 v3, vcc, v22, v19
	v_addc_co_u32_e32 v4, vcc, v23, v20, vcc
	global_load_ushort v18, v[3:4], off
	v_mov_b32_e32 v4, v2
	v_mov_b32_e32 v5, v2
	;; [unrolled: 1-line block ×13, first 2 shown]
	s_waitcnt vmcnt(1)
	v_lshlrev_b32_e32 v3, 16, v11
	s_waitcnt vmcnt(0)
	v_lshlrev_b32_e32 v11, 16, v18
	v_mov_b32_e32 v18, v2
	s_or_b64 exec, exec, s[8:9]
	s_and_saveexec_b64 s[8:9], s[2:3]
	s_cbranch_execz .LBB195_32
.LBB195_43:                             ;   in Loop: Header=BB195_3 Depth=1
	v_add_co_u32_e32 v55, vcc, v48, v19
	v_addc_co_u32_e32 v56, vcc, v50, v20, vcc
	global_load_ushort v4, v[55:56], off
	v_add_co_u32_e32 v55, vcc, v51, v19
	v_addc_co_u32_e32 v56, vcc, v52, v20, vcc
	global_load_ushort v12, v[55:56], off
	s_waitcnt vmcnt(1)
	v_lshlrev_b32_e32 v4, 16, v4
	s_waitcnt vmcnt(0)
	v_lshlrev_b32_e32 v12, 16, v12
	s_or_b64 exec, exec, s[8:9]
	s_and_saveexec_b64 s[8:9], s[2:3]
	s_cbranch_execz .LBB195_33
.LBB195_44:                             ;   in Loop: Header=BB195_3 Depth=1
	v_add_co_u32_e32 v55, vcc, v44, v19
	v_addc_co_u32_e32 v56, vcc, v45, v20, vcc
	global_load_ushort v5, v[55:56], off
	v_add_co_u32_e32 v55, vcc, v46, v19
	v_addc_co_u32_e32 v56, vcc, v47, v20, vcc
	global_load_ushort v13, v[55:56], off
	s_waitcnt vmcnt(1)
	v_lshlrev_b32_e32 v5, 16, v5
	s_waitcnt vmcnt(0)
	v_lshlrev_b32_e32 v13, 16, v13
	s_or_b64 exec, exec, s[8:9]
	s_and_saveexec_b64 s[8:9], s[2:3]
	s_cbranch_execz .LBB195_34
.LBB195_45:                             ;   in Loop: Header=BB195_3 Depth=1
	v_add_co_u32_e32 v55, vcc, v40, v19
	v_addc_co_u32_e32 v56, vcc, v41, v20, vcc
	global_load_ushort v6, v[55:56], off
	v_add_co_u32_e32 v55, vcc, v42, v19
	v_addc_co_u32_e32 v56, vcc, v43, v20, vcc
	global_load_ushort v14, v[55:56], off
	s_waitcnt vmcnt(1)
	v_lshlrev_b32_e32 v6, 16, v6
	s_waitcnt vmcnt(0)
	v_lshlrev_b32_e32 v14, 16, v14
	s_or_b64 exec, exec, s[8:9]
	s_and_saveexec_b64 s[8:9], s[2:3]
	s_cbranch_execz .LBB195_35
.LBB195_46:                             ;   in Loop: Header=BB195_3 Depth=1
	v_add_co_u32_e32 v55, vcc, v36, v19
	v_addc_co_u32_e32 v56, vcc, v37, v20, vcc
	global_load_ushort v7, v[55:56], off
	v_add_co_u32_e32 v55, vcc, v38, v19
	v_addc_co_u32_e32 v56, vcc, v39, v20, vcc
	global_load_ushort v15, v[55:56], off
	s_waitcnt vmcnt(1)
	v_lshlrev_b32_e32 v7, 16, v7
	s_waitcnt vmcnt(0)
	v_lshlrev_b32_e32 v15, 16, v15
	s_or_b64 exec, exec, s[8:9]
	s_and_saveexec_b64 s[8:9], s[2:3]
	s_cbranch_execz .LBB195_36
.LBB195_47:                             ;   in Loop: Header=BB195_3 Depth=1
	v_add_co_u32_e32 v55, vcc, v32, v19
	v_addc_co_u32_e32 v56, vcc, v33, v20, vcc
	global_load_ushort v8, v[55:56], off
	v_add_co_u32_e32 v55, vcc, v34, v19
	v_addc_co_u32_e32 v56, vcc, v35, v20, vcc
	global_load_ushort v16, v[55:56], off
	s_waitcnt vmcnt(1)
	v_lshlrev_b32_e32 v8, 16, v8
	s_waitcnt vmcnt(0)
	v_lshlrev_b32_e32 v16, 16, v16
	s_or_b64 exec, exec, s[8:9]
	s_and_saveexec_b64 s[8:9], s[2:3]
	s_cbranch_execz .LBB195_37
.LBB195_48:                             ;   in Loop: Header=BB195_3 Depth=1
	v_add_co_u32_e32 v55, vcc, v28, v19
	v_addc_co_u32_e32 v56, vcc, v29, v20, vcc
	global_load_ushort v9, v[55:56], off
	v_add_co_u32_e32 v55, vcc, v30, v19
	v_addc_co_u32_e32 v56, vcc, v31, v20, vcc
	global_load_ushort v17, v[55:56], off
	s_waitcnt vmcnt(1)
	v_lshlrev_b32_e32 v9, 16, v9
	s_waitcnt vmcnt(0)
	v_lshlrev_b32_e32 v17, 16, v17
	s_or_b64 exec, exec, s[8:9]
	s_and_saveexec_b64 s[8:9], s[2:3]
	s_cbranch_execnz .LBB195_38
	s_branch .LBB195_39
.LBB195_49:
                                        ; implicit-def: $vgpr49
	s_branch .LBB195_51
.LBB195_50:
	s_cbranch_execnz .LBB195_84
.LBB195_51:
	s_and_b64 vcc, exec, s[0:1]
	v_mov_b32_e32 v49, 0
	s_cbranch_vccnz .LBB195_84
; %bb.52:
	v_lshlrev_b32_e32 v0, 3, v1
	buffer_store_dword v0, off, s[36:39], 0 offset:100 ; 4-byte Folded Spill
	v_add_co_u32_e32 v0, vcc, s20, v0
	v_addc_co_u32_e64 v17, s[0:1], 0, 0, vcc
	v_mul_lo_u32 v2, s15, v0
	v_mul_lo_u32 v3, s14, v17
	v_mad_u64_u32 v[4:5], s[0:1], s14, v0, 0
	s_load_dword s7, s[4:5], 0x44
	s_add_u32 s2, s4, 64
	v_add3_u32 v5, v5, v3, v2
	v_lshlrev_b64 v[2:3], 1, v[4:5]
	s_addc_u32 s3, s5, 0
	s_waitcnt lgkmcnt(0)
	s_lshl_b32 s7, s7, 7
	v_mov_b32_e32 v6, s17
	v_add_co_u32_e32 v7, vcc, s16, v2
	s_mul_i32 s0, s15, s7
	s_mul_hi_u32 s1, s14, s7
	v_addc_co_u32_e32 v6, vcc, v6, v3, vcc
	s_add_i32 s1, s1, s0
	s_mul_i32 s0, s14, s7
	buffer_store_dword v6, off, s[36:39], 0 offset:4 ; 4-byte Folded Spill
	s_lshl_b64 s[8:9], s[0:1], 1
	v_mov_b32_e32 v6, s19
	v_add_co_u32_e32 v2, vcc, s18, v2
	buffer_store_dword v2, off, s[36:39], 0 offset:8 ; 4-byte Folded Spill
	v_addc_co_u32_e32 v2, vcc, v6, v3, vcc
	s_add_u32 s22, s20, 0x7f
	buffer_store_dword v2, off, s[36:39], 0 offset:12 ; 4-byte Folded Spill
	s_addc_u32 s23, 0, 0
	v_lshlrev_b32_e32 v2, 4, v1
	s_lshl_b64 s[0:1], s[20:21], 1
	v_mov_b32_e32 v3, s1
	v_add_co_u32_e32 v6, vcc, s0, v2
	buffer_store_dword v7, off, s[36:39], 0 ; 4-byte Folded Spill
	v_addc_co_u32_e32 v7, vcc, 0, v3, vcc
	v_add_co_u32_e32 v8, vcc, 2, v6
	v_addc_co_u32_e32 v9, vcc, 0, v7, vcc
	v_mov_b32_e32 v2, s16
	v_mul_lo_u32 v12, s14, v9
	v_mov_b32_e32 v9, s18
	v_mov_b32_e32 v3, s17
	;; [unrolled: 1-line block ×3, first 2 shown]
	v_mad_u64_u32 v[19:20], s[0:1], s14, v8, v[2:3]
	v_mul_lo_u32 v13, s15, v8
	v_mad_u64_u32 v[21:22], s[0:1], s14, v8, v[9:10]
	v_add_co_u32_e32 v8, vcc, 4, v6
	v_addc_co_u32_e32 v14, vcc, 0, v7, vcc
	v_mov_b32_e32 v11, s15
	v_add_co_u32_e32 v4, vcc, s14, v4
	v_addc_co_u32_e32 v5, vcc, v5, v11, vcc
	v_mul_lo_u32 v15, s15, v8
	v_mad_u64_u32 v[23:24], s[0:1], s14, v8, v[2:3]
	v_mad_u64_u32 v[25:26], s[0:1], s14, v8, v[9:10]
	v_add_co_u32_e32 v8, vcc, 6, v6
	v_addc_co_u32_e32 v11, vcc, 0, v7, vcc
	v_add3_u32 v20, v13, v20, v12
	v_add3_u32 v22, v13, v22, v12
	v_mul_lo_u32 v11, s14, v11
	v_mul_lo_u32 v12, s15, v8
	v_mad_u64_u32 v[27:28], s[0:1], s14, v8, v[2:3]
	v_mad_u64_u32 v[29:30], s[0:1], s14, v8, v[9:10]
	v_add_co_u32_e32 v8, vcc, 8, v6
	v_mul_lo_u32 v14, s14, v14
	v_addc_co_u32_e32 v13, vcc, 0, v7, vcc
	v_mul_lo_u32 v16, s15, v8
	v_mad_u64_u32 v[31:32], s[0:1], s14, v8, v[2:3]
	v_mad_u64_u32 v[33:34], s[0:1], s14, v8, v[9:10]
	v_add_co_u32_e32 v8, vcc, 10, v6
	v_add3_u32 v28, v12, v28, v11
	v_add3_u32 v30, v12, v30, v11
	v_addc_co_u32_e32 v11, vcc, 0, v7, vcc
	v_mul_lo_u32 v12, s15, v8
	v_mad_u64_u32 v[35:36], s[0:1], s14, v8, v[2:3]
	v_mad_u64_u32 v[37:38], s[0:1], s14, v8, v[9:10]
	v_add_co_u32_e32 v8, vcc, 12, v6
	v_add3_u32 v24, v15, v24, v14
	v_add3_u32 v26, v15, v26, v14
	v_addc_co_u32_e32 v14, vcc, 0, v7, vcc
	v_add_co_u32_e32 v6, vcc, 14, v6
	v_addc_co_u32_e32 v7, vcc, 0, v7, vcc
	v_mad_u64_u32 v[39:40], s[0:1], s14, v8, v[2:3]
	v_mad_u64_u32 v[43:44], s[0:1], s14, v6, v[2:3]
	v_add_co_u32_e32 v2, vcc, 7, v0
	v_addc_co_u32_e32 v3, vcc, 0, v17, vcc
	v_mul_lo_u32 v15, s15, v8
	v_mad_u64_u32 v[41:42], s[0:1], s14, v8, v[9:10]
	v_mad_u64_u32 v[45:46], s[0:1], s14, v6, v[9:10]
	v_mul_lo_u32 v8, s14, v3
	v_mul_lo_u32 v9, s15, v2
	v_mad_u64_u32 v[2:3], s[0:1], s14, v2, 0
	v_mul_lo_u32 v7, s14, v7
	v_mul_lo_u32 v6, s15, v6
	v_add3_u32 v3, v3, v8, v9
	v_lshlrev_b64 v[2:3], 1, v[2:3]
	buffer_store_dword v1, off, s[36:39], 0 offset:96 ; 4-byte Folded Spill
	v_add3_u32 v44, v6, v44, v7
	v_add3_u32 v46, v6, v46, v7
	v_mov_b32_e32 v6, s17
	v_add_co_u32_e32 v1, vcc, s16, v2
	buffer_store_dword v1, off, s[36:39], 0 offset:16 ; 4-byte Folded Spill
	v_addc_co_u32_e32 v1, vcc, v6, v3, vcc
	v_add_co_u32_e32 v6, vcc, 6, v0
	v_addc_co_u32_e32 v7, vcc, 0, v17, vcc
	v_mul_lo_u32 v9, s14, v7
	v_mul_lo_u32 v10, s15, v6
	v_mad_u64_u32 v[6:7], s[0:1], s14, v6, 0
	buffer_store_dword v1, off, s[36:39], 0 offset:20 ; 4-byte Folded Spill
	v_mov_b32_e32 v8, s19
	v_add_co_u32_e32 v1, vcc, s18, v2
	v_add3_u32 v7, v7, v9, v10
	buffer_store_dword v1, off, s[36:39], 0 offset:24 ; 4-byte Folded Spill
	v_addc_co_u32_e32 v1, vcc, v8, v3, vcc
	v_lshlrev_b64 v[2:3], 1, v[6:7]
	buffer_store_dword v1, off, s[36:39], 0 offset:28 ; 4-byte Folded Spill
	v_mov_b32_e32 v6, s17
	v_add_co_u32_e32 v1, vcc, s16, v2
	buffer_store_dword v1, off, s[36:39], 0 offset:32 ; 4-byte Folded Spill
	v_addc_co_u32_e32 v1, vcc, v6, v3, vcc
	v_add_co_u32_e32 v6, vcc, 5, v0
	v_addc_co_u32_e32 v7, vcc, 0, v17, vcc
	v_mul_lo_u32 v9, s14, v7
	v_mul_lo_u32 v10, s15, v6
	v_mad_u64_u32 v[6:7], s[0:1], s14, v6, 0
	buffer_store_dword v1, off, s[36:39], 0 offset:36 ; 4-byte Folded Spill
	v_add_co_u32_e32 v1, vcc, s18, v2
	v_add3_u32 v7, v7, v9, v10
	buffer_store_dword v1, off, s[36:39], 0 offset:40 ; 4-byte Folded Spill
	v_addc_co_u32_e32 v1, vcc, v8, v3, vcc
	v_lshlrev_b64 v[2:3], 1, v[6:7]
	buffer_store_dword v1, off, s[36:39], 0 offset:44 ; 4-byte Folded Spill
	v_mov_b32_e32 v6, s17
	v_add_co_u32_e32 v1, vcc, s16, v2
	buffer_store_dword v1, off, s[36:39], 0 offset:48 ; 4-byte Folded Spill
	v_addc_co_u32_e32 v1, vcc, v6, v3, vcc
	v_add_co_u32_e32 v6, vcc, 4, v0
	v_addc_co_u32_e32 v7, vcc, 0, v17, vcc
	v_mul_lo_u32 v9, s14, v7
	v_mul_lo_u32 v10, s15, v6
	v_mad_u64_u32 v[6:7], s[0:1], s14, v6, 0
	buffer_store_dword v1, off, s[36:39], 0 offset:52 ; 4-byte Folded Spill
	v_add_co_u32_e32 v1, vcc, s18, v2
	v_add3_u32 v7, v7, v9, v10
	buffer_store_dword v1, off, s[36:39], 0 offset:56 ; 4-byte Folded Spill
	v_addc_co_u32_e32 v1, vcc, v8, v3, vcc
	v_lshlrev_b64 v[2:3], 1, v[6:7]
	buffer_store_dword v1, off, s[36:39], 0 offset:60 ; 4-byte Folded Spill
	v_mov_b32_e32 v6, s17
	v_add_co_u32_e32 v1, vcc, s16, v2
	buffer_store_dword v1, off, s[36:39], 0 offset:64 ; 4-byte Folded Spill
	v_addc_co_u32_e32 v1, vcc, v6, v3, vcc
	buffer_store_dword v1, off, s[36:39], 0 offset:68 ; 4-byte Folded Spill
	v_mov_b32_e32 v6, s19
	v_add_co_u32_e32 v1, vcc, s18, v2
	buffer_store_dword v1, off, s[36:39], 0 offset:72 ; 4-byte Folded Spill
	v_addc_co_u32_e32 v1, vcc, v6, v3, vcc
	v_add_co_u32_e32 v2, vcc, 3, v0
	v_addc_co_u32_e32 v3, vcc, 0, v17, vcc
	v_mul_lo_u32 v6, s14, v3
	v_mul_lo_u32 v7, s15, v2
	v_mad_u64_u32 v[2:3], s[0:1], s14, v2, 0
	buffer_store_dword v1, off, s[36:39], 0 offset:76 ; 4-byte Folded Spill
	v_mul_lo_u32 v13, s14, v13
	v_add3_u32 v3, v3, v6, v7
	v_lshlrev_b64 v[2:3], 1, v[2:3]
	v_mov_b32_e32 v6, s17
	v_add_co_u32_e32 v1, vcc, s16, v2
	buffer_store_dword v1, off, s[36:39], 0 offset:80 ; 4-byte Folded Spill
	v_addc_co_u32_e32 v1, vcc, v6, v3, vcc
	buffer_store_dword v1, off, s[36:39], 0 offset:84 ; 4-byte Folded Spill
	v_mov_b32_e32 v6, s19
	v_add_co_u32_e32 v1, vcc, s18, v2
	v_addc_co_u32_e32 v58, vcc, v6, v3, vcc
	v_add_co_u32_e32 v0, vcc, 2, v0
	buffer_store_dword v1, off, s[36:39], 0 offset:88 ; 4-byte Folded Spill
	v_addc_co_u32_e32 v1, vcc, 0, v17, vcc
	v_mul_lo_u32 v2, s14, v1
	v_mul_lo_u32 v3, s15, v0
	v_mad_u64_u32 v[0:1], s[0:1], s14, v0, 0
	v_mul_lo_u32 v11, s14, v11
	v_mul_lo_u32 v14, s14, v14
	v_add3_u32 v1, v1, v2, v3
	v_lshlrev_b64 v[0:1], 1, v[0:1]
	v_mov_b32_e32 v2, s17
	v_add_co_u32_e32 v59, vcc, s16, v0
	v_mov_b32_e32 v3, v60
	v_addc_co_u32_e32 v60, vcc, v2, v1, vcc
	v_mov_b32_e32 v2, s19
	v_add_co_u32_e32 v61, vcc, s18, v0
	v_addc_co_u32_e32 v62, vcc, v2, v1, vcc
	v_lshlrev_b64 v[0:1], 1, v[4:5]
	v_mov_b32_e32 v2, s17
	v_add_co_u32_e32 v63, vcc, s16, v0
	v_addc_co_u32_e32 v50, vcc, v2, v1, vcc
	v_mov_b32_e32 v2, s19
	v_add_co_u32_e32 v51, vcc, s18, v0
	v_addc_co_u32_e32 v1, vcc, v2, v1, vcc
	v_mov_b32_e32 v2, 0
	v_mbcnt_lo_u32_b32 v0, -1, 0
	buffer_store_dword v3, off, s[36:39], 0 offset:92 ; 4-byte Folded Spill
	v_add_u32_e32 v3, s33, v3
	v_mov_b32_e32 v4, v2
	v_mbcnt_hi_u32_b32 v0, -1, v0
	v_lshlrev_b64 v[47:48], 1, v[3:4]
	v_lshlrev_b32_e32 v0, 2, v0
	v_add3_u32 v32, v16, v32, v13
	v_add3_u32 v34, v16, v34, v13
	;; [unrolled: 1-line block ×6, first 2 shown]
	v_and_b32_e32 v0, 0x100, v0
	v_mov_b32_e32 v52, 0
.LBB195_53:                             ; =>This Inner Loop Header: Depth=1
	v_mov_b32_e32 v3, s12
	v_mov_b32_e32 v4, s13
	v_cmp_ge_i64_e32 vcc, s[22:23], v[3:4]
	buffer_load_dword v4, off, s[36:39], 0 offset:100 ; 4-byte Folded Reload
	v_mov_b32_e32 v3, s23
	s_and_b64 vcc, exec, vcc
                                        ; implicit-def: $vgpr49
	s_waitcnt vmcnt(0)
	v_add_co_u32_e64 v53, s[0:1], s22, v4
	v_addc_co_u32_e64 v54, s[0:1], 0, v3, s[0:1]
	s_mov_b64 s[0:1], -1
	s_cbranch_vccz .LBB195_75
; %bb.54:                               ;   in Loop: Header=BB195_53 Depth=1
	s_load_dword s0, s[2:3], 0xc
	buffer_load_dword v3, off, s[36:39], 0 offset:92 ; 4-byte Folded Reload
	buffer_load_dword v4, off, s[36:39], 0 offset:96 ; 4-byte Folded Reload
	v_mov_b32_e32 v55, 0
	s_waitcnt lgkmcnt(0)
	s_and_b32 s0, s0, 0xffff
	s_waitcnt vmcnt(0)
	v_mad_u32_u24 v3, v4, s0, v3
	v_and_b32_e32 v3, 63, v3
	v_cmp_gt_u32_e32 vcc, 8, v3
	s_and_saveexec_b64 s[0:1], vcc
	s_cbranch_execz .LBB195_58
; %bb.55:                               ;   in Loop: Header=BB195_53 Depth=1
	v_add_co_u32_e32 v3, vcc, v53, v3
	v_addc_co_u32_e32 v4, vcc, 0, v54, vcc
	v_add_co_u32_e32 v3, vcc, 0xffffff81, v3
	v_addc_co_u32_e32 v4, vcc, -1, v4, vcc
	v_cmp_gt_i64_e32 vcc, s[12:13], v[3:4]
	v_mov_b32_e32 v55, 0
	s_and_saveexec_b64 s[16:17], vcc
	s_cbranch_execz .LBB195_57
; %bb.56:                               ;   in Loop: Header=BB195_53 Depth=1
	v_lshlrev_b64 v[3:4], 2, v[3:4]
	v_mov_b32_e32 v5, s11
	v_add_co_u32_e32 v3, vcc, s10, v3
	v_addc_co_u32_e32 v4, vcc, v5, v4, vcc
	global_load_dword v55, v[3:4], off
.LBB195_57:                             ;   in Loop: Header=BB195_53 Depth=1
	s_or_b64 exec, exec, s[16:17]
.LBB195_58:                             ;   in Loop: Header=BB195_53 Depth=1
	s_or_b64 exec, exec, s[0:1]
	v_add_co_u32_e32 v3, vcc, 0xffffff81, v53
	v_addc_co_u32_e32 v4, vcc, -1, v54, vcc
	v_mov_b32_e32 v9, v2
	v_cmp_gt_i64_e32 vcc, s[12:13], v[3:4]
	v_mov_b32_e32 v3, v2
	v_mov_b32_e32 v4, v2
	;; [unrolled: 1-line block ×22, first 2 shown]
	s_and_saveexec_b64 s[0:1], vcc
	s_cbranch_execz .LBB195_60
; %bb.59:                               ;   in Loop: Header=BB195_53 Depth=1
	buffer_load_dword v3, off, s[36:39], 0  ; 4-byte Folded Reload
	buffer_load_dword v4, off, s[36:39], 0 offset:4 ; 4-byte Folded Reload
	v_mov_b32_e32 v5, v2
	v_mov_b32_e32 v6, v2
	;; [unrolled: 1-line block ×12, first 2 shown]
	s_waitcnt vmcnt(1)
	v_add_co_u32_e32 v3, vcc, v3, v47
	s_waitcnt vmcnt(0)
	v_addc_co_u32_e32 v4, vcc, v4, v48, vcc
	global_load_ushort v11, v[3:4], off
	s_nop 0
	buffer_load_dword v3, off, s[36:39], 0 offset:8 ; 4-byte Folded Reload
	buffer_load_dword v4, off, s[36:39], 0 offset:12 ; 4-byte Folded Reload
	s_waitcnt vmcnt(1)
	v_add_co_u32_e32 v3, vcc, v3, v47
	s_waitcnt vmcnt(0)
	v_addc_co_u32_e32 v4, vcc, v4, v48, vcc
	global_load_ushort v18, v[3:4], off
	v_mov_b32_e32 v4, v2
	v_lshlrev_b32_e32 v3, 16, v11
	s_waitcnt vmcnt(0)
	v_lshlrev_b32_e32 v11, 16, v18
	v_mov_b32_e32 v18, v2
.LBB195_60:                             ;   in Loop: Header=BB195_53 Depth=1
	s_or_b64 exec, exec, s[0:1]
	v_add_co_u32_e32 v56, vcc, 0xffffff82, v53
	v_addc_co_u32_e32 v57, vcc, -1, v54, vcc
	v_cmp_gt_i64_e32 vcc, s[12:13], v[56:57]
	s_and_saveexec_b64 s[0:1], vcc
	s_cbranch_execz .LBB195_62
; %bb.61:                               ;   in Loop: Header=BB195_53 Depth=1
	v_add_co_u32_e32 v56, vcc, v63, v47
	v_addc_co_u32_e32 v57, vcc, v50, v48, vcc
	global_load_ushort v4, v[56:57], off
	v_add_co_u32_e32 v56, vcc, v51, v47
	v_addc_co_u32_e32 v57, vcc, v1, v48, vcc
	global_load_ushort v12, v[56:57], off
	s_waitcnt vmcnt(1)
	v_lshlrev_b32_e32 v4, 16, v4
	s_waitcnt vmcnt(0)
	v_lshlrev_b32_e32 v12, 16, v12
.LBB195_62:                             ;   in Loop: Header=BB195_53 Depth=1
	s_or_b64 exec, exec, s[0:1]
	v_add_co_u32_e32 v56, vcc, 0xffffff83, v53
	v_addc_co_u32_e32 v57, vcc, -1, v54, vcc
	v_cmp_gt_i64_e32 vcc, s[12:13], v[56:57]
	s_and_saveexec_b64 s[0:1], vcc
	s_cbranch_execz .LBB195_64
; %bb.63:                               ;   in Loop: Header=BB195_53 Depth=1
	v_add_co_u32_e32 v56, vcc, v59, v47
	v_addc_co_u32_e32 v57, vcc, v60, v48, vcc
	global_load_ushort v5, v[56:57], off
	v_add_co_u32_e32 v56, vcc, v61, v47
	v_addc_co_u32_e32 v57, vcc, v62, v48, vcc
	global_load_ushort v13, v[56:57], off
	s_waitcnt vmcnt(1)
	v_lshlrev_b32_e32 v5, 16, v5
	s_waitcnt vmcnt(0)
	v_lshlrev_b32_e32 v13, 16, v13
.LBB195_64:                             ;   in Loop: Header=BB195_53 Depth=1
	s_or_b64 exec, exec, s[0:1]
	v_add_co_u32_e32 v56, vcc, 0xffffff84, v53
	v_addc_co_u32_e32 v57, vcc, -1, v54, vcc
	v_cmp_gt_i64_e32 vcc, s[12:13], v[56:57]
	s_and_saveexec_b64 s[0:1], vcc
	s_cbranch_execz .LBB195_66
; %bb.65:                               ;   in Loop: Header=BB195_53 Depth=1
	buffer_load_dword v6, off, s[36:39], 0 offset:80 ; 4-byte Folded Reload
	buffer_load_dword v14, off, s[36:39], 0 offset:88 ; 4-byte Folded Reload
	s_waitcnt vmcnt(1)
	v_add_co_u32_e32 v56, vcc, v6, v47
	buffer_load_dword v6, off, s[36:39], 0 offset:84 ; 4-byte Folded Reload
	s_waitcnt vmcnt(0)
	v_addc_co_u32_e32 v57, vcc, v6, v48, vcc
	global_load_ushort v6, v[56:57], off
	v_add_co_u32_e32 v56, vcc, v14, v47
	v_addc_co_u32_e32 v57, vcc, v58, v48, vcc
	global_load_ushort v14, v[56:57], off
	s_waitcnt vmcnt(1)
	v_lshlrev_b32_e32 v6, 16, v6
	s_waitcnt vmcnt(0)
	v_lshlrev_b32_e32 v14, 16, v14
.LBB195_66:                             ;   in Loop: Header=BB195_53 Depth=1
	s_or_b64 exec, exec, s[0:1]
	v_add_co_u32_e32 v56, vcc, 0xffffff85, v53
	v_addc_co_u32_e32 v57, vcc, -1, v54, vcc
	v_cmp_gt_i64_e32 vcc, s[12:13], v[56:57]
	s_and_saveexec_b64 s[0:1], vcc
	s_cbranch_execz .LBB195_68
; %bb.67:                               ;   in Loop: Header=BB195_53 Depth=1
	buffer_load_dword v7, off, s[36:39], 0 offset:64 ; 4-byte Folded Reload
	buffer_load_dword v15, off, s[36:39], 0 offset:72 ; 4-byte Folded Reload
	s_waitcnt vmcnt(1)
	v_add_co_u32_e32 v56, vcc, v7, v47
	buffer_load_dword v7, off, s[36:39], 0 offset:68 ; 4-byte Folded Reload
	s_waitcnt vmcnt(0)
	v_addc_co_u32_e32 v57, vcc, v7, v48, vcc
	global_load_ushort v7, v[56:57], off
	v_add_co_u32_e32 v56, vcc, v15, v47
	buffer_load_dword v15, off, s[36:39], 0 offset:76 ; 4-byte Folded Reload
	s_waitcnt vmcnt(1)
	v_lshlrev_b32_e32 v7, 16, v7
	s_waitcnt vmcnt(0)
	v_addc_co_u32_e32 v57, vcc, v15, v48, vcc
	global_load_ushort v15, v[56:57], off
	s_waitcnt vmcnt(0)
	v_lshlrev_b32_e32 v15, 16, v15
.LBB195_68:                             ;   in Loop: Header=BB195_53 Depth=1
	s_or_b64 exec, exec, s[0:1]
	v_add_co_u32_e32 v56, vcc, 0xffffff86, v53
	v_addc_co_u32_e32 v57, vcc, -1, v54, vcc
	v_cmp_gt_i64_e32 vcc, s[12:13], v[56:57]
	s_and_saveexec_b64 s[0:1], vcc
	s_cbranch_execz .LBB195_70
; %bb.69:                               ;   in Loop: Header=BB195_53 Depth=1
	buffer_load_dword v8, off, s[36:39], 0 offset:48 ; 4-byte Folded Reload
	buffer_load_dword v16, off, s[36:39], 0 offset:56 ; 4-byte Folded Reload
	s_waitcnt vmcnt(1)
	v_add_co_u32_e32 v56, vcc, v8, v47
	buffer_load_dword v8, off, s[36:39], 0 offset:52 ; 4-byte Folded Reload
	s_waitcnt vmcnt(0)
	v_addc_co_u32_e32 v57, vcc, v8, v48, vcc
	global_load_ushort v8, v[56:57], off
	v_add_co_u32_e32 v56, vcc, v16, v47
	buffer_load_dword v16, off, s[36:39], 0 offset:60 ; 4-byte Folded Reload
	s_waitcnt vmcnt(1)
	v_lshlrev_b32_e32 v8, 16, v8
	s_waitcnt vmcnt(0)
	v_addc_co_u32_e32 v57, vcc, v16, v48, vcc
	global_load_ushort v16, v[56:57], off
	s_waitcnt vmcnt(0)
	v_lshlrev_b32_e32 v16, 16, v16
.LBB195_70:                             ;   in Loop: Header=BB195_53 Depth=1
	;; [unrolled: 25-line block ×4, first 2 shown]
	s_or_b64 exec, exec, s[0:1]
	s_waitcnt vmcnt(0)
	ds_bpermute_b32 v49, v0, v55
	v_mul_f32_e32 v3, v11, v3
	v_mul_f32_e32 v4, v12, v4
	s_mov_b64 s[0:1], 0
	s_waitcnt lgkmcnt(0)
	v_fma_f32 v49, v3, v49, v52
	ds_bpermute_b32 v3, v0, v55 offset:4
	s_waitcnt lgkmcnt(0)
	v_fmac_f32_e32 v49, v4, v3
	ds_bpermute_b32 v3, v0, v55 offset:8
	v_mul_f32_e32 v4, v13, v5
	s_waitcnt lgkmcnt(0)
	v_fmac_f32_e32 v49, v4, v3
	ds_bpermute_b32 v3, v0, v55 offset:12
	v_mul_f32_e32 v4, v14, v6
	;; [unrolled: 4-line block ×6, first 2 shown]
	s_waitcnt lgkmcnt(0)
	v_fmac_f32_e32 v49, v4, v3
.LBB195_75:                             ;   in Loop: Header=BB195_53 Depth=1
	s_and_b64 vcc, exec, s[0:1]
	s_cbranch_vccz .LBB195_81
; %bb.76:                               ;   in Loop: Header=BB195_53 Depth=1
	s_load_dword s0, s[2:3], 0x0
	s_waitcnt lgkmcnt(0)
	s_cmp_lt_u32 s6, s0
	s_cselect_b32 s0, 12, 18
	s_add_u32 s0, s2, s0
	s_addc_u32 s1, s3, 0
	global_load_ushort v3, v2, s[0:1]
	buffer_load_dword v4, off, s[36:39], 0 offset:92 ; 4-byte Folded Reload
	buffer_load_dword v5, off, s[36:39], 0 offset:96 ; 4-byte Folded Reload
	s_waitcnt vmcnt(0)
	v_mad_u32_u24 v3, v5, v3, v4
	v_and_b32_e32 v3, 63, v3
	v_cmp_gt_u32_e32 vcc, 8, v3
	v_mov_b32_e32 v5, 0
	s_and_saveexec_b64 s[0:1], vcc
	s_cbranch_execz .LBB195_80
; %bb.77:                               ;   in Loop: Header=BB195_53 Depth=1
	v_add_co_u32_e32 v3, vcc, v53, v3
	v_addc_co_u32_e32 v4, vcc, 0, v54, vcc
	v_add_co_u32_e32 v3, vcc, 0xffffff81, v3
	v_addc_co_u32_e32 v4, vcc, -1, v4, vcc
	v_cmp_gt_i64_e32 vcc, s[12:13], v[3:4]
	v_mov_b32_e32 v5, 0
	s_and_saveexec_b64 s[16:17], vcc
	s_cbranch_execz .LBB195_79
; %bb.78:                               ;   in Loop: Header=BB195_53 Depth=1
	v_lshlrev_b64 v[3:4], 2, v[3:4]
	v_mov_b32_e32 v5, s11
	v_add_co_u32_e32 v3, vcc, s10, v3
	v_addc_co_u32_e32 v4, vcc, v5, v4, vcc
	global_load_dword v5, v[3:4], off
.LBB195_79:                             ;   in Loop: Header=BB195_53 Depth=1
	s_or_b64 exec, exec, s[16:17]
.LBB195_80:                             ;   in Loop: Header=BB195_53 Depth=1
	s_or_b64 exec, exec, s[0:1]
	buffer_load_dword v3, off, s[36:39], 0  ; 4-byte Folded Reload
	buffer_load_dword v4, off, s[36:39], 0 offset:4 ; 4-byte Folded Reload
	buffer_load_dword v6, off, s[36:39], 0 offset:8 ; 4-byte Folded Reload
	;; [unrolled: 1-line block ×3, first 2 shown]
	s_waitcnt vmcnt(3)
	v_add_co_u32_e32 v3, vcc, v3, v47
	s_waitcnt vmcnt(2)
	v_addc_co_u32_e32 v4, vcc, v4, v48, vcc
	s_waitcnt vmcnt(1)
	v_add_co_u32_e32 v6, vcc, v6, v47
	s_waitcnt vmcnt(0)
	v_addc_co_u32_e32 v7, vcc, v7, v48, vcc
	global_load_ushort v8, v[3:4], off
	global_load_ushort v9, v[6:7], off
	v_add_co_u32_e32 v3, vcc, v19, v47
	v_addc_co_u32_e32 v4, vcc, v20, v48, vcc
	v_add_co_u32_e32 v6, vcc, v21, v47
	v_addc_co_u32_e32 v7, vcc, v22, v48, vcc
	global_load_ushort v10, v[3:4], off
	global_load_ushort v11, v[6:7], off
	v_add_co_u32_e32 v3, vcc, v23, v47
	v_addc_co_u32_e32 v4, vcc, v24, v48, vcc
	v_add_co_u32_e32 v6, vcc, v25, v47
	;; [unrolled: 6-line block ×6, first 2 shown]
	v_addc_co_u32_e32 v7, vcc, v42, v48, vcc
	global_load_ushort v53, v[3:4], off
	s_nop 0
	global_load_ushort v6, v[6:7], off
	v_add_co_u32_e32 v3, vcc, v45, v47
	v_addc_co_u32_e32 v4, vcc, v46, v48, vcc
	global_load_ushort v7, v[3:4], off
	v_add_co_u32_e32 v3, vcc, v43, v47
	v_addc_co_u32_e32 v4, vcc, v44, v48, vcc
	global_load_ushort v3, v[3:4], off
	s_waitcnt vmcnt(15)
	v_lshlrev_b32_e32 v8, 16, v8
	s_waitcnt vmcnt(14)
	v_lshlrev_b32_e32 v4, 16, v9
	v_mul_f32_e32 v4, v8, v4
	ds_bpermute_b32 v8, v0, v5
	s_waitcnt lgkmcnt(0)
	v_fmac_f32_e32 v52, v4, v8
	ds_bpermute_b32 v4, v0, v5 offset:4
	ds_bpermute_b32 v8, v0, v5 offset:8
	s_waitcnt vmcnt(12)
	v_lshlrev_b32_e32 v9, 16, v11
	v_lshlrev_b32_e32 v10, 16, v10
	v_mul_f32_e32 v9, v10, v9
	s_waitcnt lgkmcnt(1)
	v_fmac_f32_e32 v52, v9, v4
	ds_bpermute_b32 v4, v0, v5 offset:12
	s_waitcnt vmcnt(11)
	v_lshlrev_b32_e32 v12, 16, v12
	s_waitcnt vmcnt(10)
	v_lshlrev_b32_e32 v11, 16, v13
	v_mul_f32_e32 v9, v12, v11
	s_waitcnt lgkmcnt(1)
	v_fmac_f32_e32 v52, v9, v8
	ds_bpermute_b32 v8, v0, v5 offset:16
	s_waitcnt vmcnt(9)
	v_lshlrev_b32_e32 v14, 16, v14
	s_waitcnt vmcnt(8)
	;; [unrolled: 8-line block ×3, first 2 shown]
	v_lshlrev_b32_e32 v15, 16, v17
	v_mul_f32_e32 v4, v16, v15
	s_waitcnt lgkmcnt(1)
	v_fmac_f32_e32 v52, v4, v8
	ds_bpermute_b32 v4, v0, v5 offset:24
	ds_bpermute_b32 v5, v0, v5 offset:28
	s_waitcnt vmcnt(5)
	v_lshlrev_b32_e32 v18, 16, v18
	s_waitcnt vmcnt(4)
	v_lshlrev_b32_e32 v17, 16, v49
	v_mul_f32_e32 v8, v18, v17
	s_waitcnt lgkmcnt(2)
	v_fmac_f32_e32 v52, v8, v9
	s_waitcnt vmcnt(3)
	v_lshlrev_b32_e32 v49, 16, v53
	s_waitcnt vmcnt(2)
	v_lshlrev_b32_e32 v6, 16, v6
	v_mul_f32_e32 v6, v49, v6
	s_waitcnt lgkmcnt(1)
	v_fmac_f32_e32 v52, v6, v4
	;; [unrolled: 7-line block ×3, first 2 shown]
	v_mov_b32_e32 v49, v52
.LBB195_81:                             ;   in Loop: Header=BB195_53 Depth=1
	buffer_load_dword v3, off, s[36:39], 0  ; 4-byte Folded Reload
	buffer_load_dword v4, off, s[36:39], 0 offset:4 ; 4-byte Folded Reload
	s_add_u32 s20, s20, s7
	s_addc_u32 s21, s21, 0
	s_add_u32 s22, s22, s7
	s_addc_u32 s23, s23, 0
	s_waitcnt vmcnt(1)
	v_add_co_u32_e32 v3, vcc, s8, v3
	buffer_store_dword v3, off, s[36:39], 0 ; 4-byte Folded Spill
	v_mov_b32_e32 v3, s9
	s_waitcnt vmcnt(1)
	v_addc_co_u32_e32 v4, vcc, v4, v3, vcc
	buffer_store_dword v4, off, s[36:39], 0 offset:4 ; 4-byte Folded Spill
	buffer_load_dword v4, off, s[36:39], 0 offset:8 ; 4-byte Folded Reload
	s_waitcnt vmcnt(0)
	v_add_co_u32_e32 v4, vcc, s8, v4
	buffer_store_dword v4, off, s[36:39], 0 offset:8 ; 4-byte Folded Spill
	buffer_load_dword v4, off, s[36:39], 0 offset:12 ; 4-byte Folded Reload
	s_waitcnt vmcnt(0)
	v_addc_co_u32_e32 v4, vcc, v4, v3, vcc
	buffer_store_dword v4, off, s[36:39], 0 offset:12 ; 4-byte Folded Spill
	buffer_load_dword v4, off, s[36:39], 0 offset:16 ; 4-byte Folded Reload
	v_add_co_u32_e32 v19, vcc, s8, v19
	v_addc_co_u32_e32 v20, vcc, v20, v3, vcc
	v_add_co_u32_e32 v23, vcc, s8, v23
	v_addc_co_u32_e32 v24, vcc, v24, v3, vcc
	v_add_co_u32_e32 v27, vcc, s8, v27
	v_addc_co_u32_e32 v28, vcc, v28, v3, vcc
	v_add_co_u32_e32 v31, vcc, s8, v31
	v_addc_co_u32_e32 v32, vcc, v32, v3, vcc
	v_add_co_u32_e32 v35, vcc, s8, v35
	v_addc_co_u32_e32 v36, vcc, v36, v3, vcc
	v_add_co_u32_e32 v39, vcc, s8, v39
	v_addc_co_u32_e32 v40, vcc, v40, v3, vcc
	v_add_co_u32_e32 v43, vcc, s8, v43
	v_addc_co_u32_e32 v44, vcc, v44, v3, vcc
	v_add_co_u32_e32 v21, vcc, s8, v21
	v_addc_co_u32_e32 v22, vcc, v22, v3, vcc
	v_add_co_u32_e32 v25, vcc, s8, v25
	v_addc_co_u32_e32 v26, vcc, v26, v3, vcc
	v_add_co_u32_e32 v29, vcc, s8, v29
	v_addc_co_u32_e32 v30, vcc, v30, v3, vcc
	v_add_co_u32_e32 v33, vcc, s8, v33
	v_addc_co_u32_e32 v34, vcc, v34, v3, vcc
	v_add_co_u32_e32 v37, vcc, s8, v37
	v_addc_co_u32_e32 v38, vcc, v38, v3, vcc
	v_add_co_u32_e32 v41, vcc, s8, v41
	v_addc_co_u32_e32 v42, vcc, v42, v3, vcc
	v_add_co_u32_e32 v45, vcc, s8, v45
	v_addc_co_u32_e32 v46, vcc, v46, v3, vcc
	s_waitcnt vmcnt(0)
	v_add_co_u32_e32 v4, vcc, s8, v4
	buffer_store_dword v4, off, s[36:39], 0 offset:16 ; 4-byte Folded Spill
	buffer_load_dword v4, off, s[36:39], 0 offset:20 ; 4-byte Folded Reload
	s_waitcnt vmcnt(0)
	v_addc_co_u32_e32 v4, vcc, v4, v3, vcc
	buffer_store_dword v4, off, s[36:39], 0 offset:20 ; 4-byte Folded Spill
	buffer_load_dword v4, off, s[36:39], 0 offset:24 ; 4-byte Folded Reload
	s_waitcnt vmcnt(0)
	v_add_co_u32_e32 v4, vcc, s8, v4
	buffer_store_dword v4, off, s[36:39], 0 offset:24 ; 4-byte Folded Spill
	buffer_load_dword v4, off, s[36:39], 0 offset:28 ; 4-byte Folded Reload
	s_waitcnt vmcnt(0)
	v_addc_co_u32_e32 v4, vcc, v4, v3, vcc
	buffer_store_dword v4, off, s[36:39], 0 offset:28 ; 4-byte Folded Spill
	buffer_load_dword v4, off, s[36:39], 0 offset:32 ; 4-byte Folded Reload
	;; [unrolled: 8-line block ×9, first 2 shown]
	s_waitcnt vmcnt(0)
	v_add_co_u32_e32 v4, vcc, s8, v4
	v_addc_co_u32_e32 v58, vcc, v58, v3, vcc
	v_add_co_u32_e32 v59, vcc, s8, v59
	v_addc_co_u32_e32 v60, vcc, v60, v3, vcc
	v_add_co_u32_e32 v61, vcc, s8, v61
	v_addc_co_u32_e32 v62, vcc, v62, v3, vcc
	v_add_co_u32_e32 v63, vcc, s8, v63
	v_addc_co_u32_e32 v50, vcc, v50, v3, vcc
	v_add_co_u32_e32 v51, vcc, s8, v51
	buffer_store_dword v4, off, s[36:39], 0 offset:88 ; 4-byte Folded Spill
	v_addc_co_u32_e32 v1, vcc, v1, v3, vcc
	v_mov_b32_e32 v3, s12
	v_mov_b32_e32 v4, s13
	v_cmp_ge_i64_e32 vcc, s[20:21], v[3:4]
	s_cbranch_vccnz .LBB195_83
; %bb.82:                               ;   in Loop: Header=BB195_53 Depth=1
	v_mov_b32_e32 v52, v49
	s_branch .LBB195_53
.LBB195_83:
	buffer_load_dword v60, off, s[36:39], 0 offset:92 ; 4-byte Folded Reload
	buffer_load_dword v1, off, s[36:39], 0 offset:96 ; 4-byte Folded Reload
.LBB195_84:
	s_movk_i32 s0, 0x41
	s_waitcnt vmcnt(0)
	v_mad_u32_u24 v0, v1, s0, v60
	v_lshl_add_u32 v0, v0, 2, 0
	v_mov_b32_e32 v2, 0
	ds_write_b32 v0, v49
	ds_write_b32 v0, v2 offset:4160
	v_lshrrev_b32_e32 v0, 6, v60
	v_add_u32_e32 v2, v0, v1
	v_cmp_gt_u32_e32 vcc, 64, v2
	s_waitcnt lgkmcnt(0)
	s_barrier
	s_and_saveexec_b64 s[0:1], vcc
	s_cbranch_execz .LBB195_104
; %bb.85:
	s_load_dwordx2 s[4:5], s[4:5], 0x30
	v_and_b32_e32 v0, 63, v60
	v_cmp_gt_u32_e64 s[0:1], 16, v0
	v_mul_u32_u24_e32 v3, 0x41, v0
                                        ; implicit-def: $vgpr0
	s_and_saveexec_b64 s[2:3], s[0:1]
; %bb.86:
	v_lshlrev_b32_e32 v0, 2, v2
	v_lshlrev_b32_e32 v1, 2, v3
	v_add3_u32 v0, 0, v0, v1
	ds_read_b32 v0, v0
; %bb.87:
	s_or_b64 exec, exec, s[2:3]
	v_mbcnt_lo_u32_b32 v1, -1, 0
	v_mbcnt_hi_u32_b32 v1, -1, v1
	v_and_b32_e32 v4, 64, v1
	v_add_u32_e32 v7, 64, v4
	v_xor_b32_e32 v4, 8, v1
	v_cmp_lt_i32_e32 vcc, v4, v7
	v_cndmask_b32_e32 v4, v1, v4, vcc
	v_lshlrev_b32_e32 v4, 2, v4
	s_waitcnt lgkmcnt(0)
	ds_bpermute_b32 v5, v4, v0
	v_xor_b32_e32 v6, 4, v1
	v_cmp_lt_i32_e32 vcc, v6, v7
	v_xor_b32_e32 v8, 2, v1
	s_mov_b32 s7, 0
	s_waitcnt lgkmcnt(0)
	v_add_f32_e32 v0, v0, v5
	v_cndmask_b32_e32 v5, v1, v6, vcc
	v_lshlrev_b32_e32 v5, 2, v5
	ds_bpermute_b32 v6, v5, v0
	v_cmp_lt_i32_e32 vcc, v8, v7
	s_lshl_b64 s[6:7], s[6:7], 6
	v_cmp_ne_u32_e64 s[2:3], 0, v60
	s_cmp_eq_u64 s[4:5], 0
	s_waitcnt lgkmcnt(0)
	v_add_f32_e32 v0, v0, v6
	v_cndmask_b32_e32 v6, v1, v8, vcc
	v_lshlrev_b32_e32 v6, 2, v6
	ds_bpermute_b32 v8, v6, v0
	s_cselect_b64 s[8:9], -1, 0
	s_waitcnt lgkmcnt(0)
	v_add_f32_e32 v8, v0, v8
	v_xor_b32_e32 v0, 1, v1
	v_cmp_lt_i32_e32 vcc, v0, v7
	v_cndmask_b32_e32 v0, v1, v0, vcc
	v_lshlrev_b32_e32 v7, 2, v0
	ds_bpermute_b32 v9, v7, v8
	v_or_b32_e32 v0, s6, v2
	v_mov_b32_e32 v1, s7
	v_cmp_le_i64_e32 vcc, s[14:15], v[0:1]
	s_or_b64 s[10:11], s[2:3], vcc
	s_waitcnt lgkmcnt(0)
	v_add_f32_e32 v8, v8, v9
	s_nor_b64 s[12:13], s[8:9], s[10:11]
	s_and_saveexec_b64 s[10:11], s[12:13]
	s_cbranch_execz .LBB195_89
; %bb.88:
	v_bfe_u32 v9, v8, 16, 1
	s_movk_i32 s12, 0x7fff
	v_lshlrev_b64 v[0:1], 1, v[0:1]
	v_add3_u32 v9, v8, v9, s12
	v_cmp_o_f32_e32 vcc, v8, v8
	v_mov_b32_e32 v10, 0x7fc0
	v_cndmask_b32_sdwa v9, v10, v9, vcc dst_sel:DWORD dst_unused:UNUSED_PAD src0_sel:DWORD src1_sel:WORD_1
	v_mov_b32_e32 v10, s5
	v_add_co_u32_e32 v0, vcc, s4, v0
	v_addc_co_u32_e32 v1, vcc, v10, v1, vcc
	global_store_short v[0:1], v9, off
.LBB195_89:
	s_or_b64 exec, exec, s[10:11]
	v_cmp_gt_u32_e32 vcc, 48, v2
	s_and_b64 exec, exec, vcc
	s_cbranch_execz .LBB195_104
; %bb.90:
	s_and_saveexec_b64 s[10:11], s[0:1]
; %bb.91:
	v_lshlrev_b32_e32 v0, 2, v2
	v_lshlrev_b32_e32 v1, 2, v3
	v_add3_u32 v0, 0, v0, v1
	ds_read_b32 v8, v0 offset:64
; %bb.92:
	s_or_b64 exec, exec, s[10:11]
	s_waitcnt lgkmcnt(0)
	ds_bpermute_b32 v0, v4, v8
	v_mov_b32_e32 v9, s7
	s_waitcnt lgkmcnt(0)
	v_add_f32_e32 v0, v8, v0
	ds_bpermute_b32 v1, v5, v0
	v_add_u32_e32 v8, 16, v2
	s_waitcnt lgkmcnt(0)
	v_add_f32_e32 v0, v0, v1
	ds_bpermute_b32 v1, v6, v0
	s_waitcnt lgkmcnt(0)
	v_add_f32_e32 v10, v0, v1
	ds_bpermute_b32 v11, v7, v10
	v_add_co_u32_e32 v0, vcc, s6, v8
	v_addc_co_u32_e32 v1, vcc, 0, v9, vcc
	v_cmp_le_i64_e32 vcc, s[14:15], v[0:1]
	s_waitcnt lgkmcnt(0)
	v_add_f32_e32 v0, v10, v11
	s_or_b64 s[10:11], s[2:3], vcc
	s_nor_b64 s[12:13], s[8:9], s[10:11]
	s_and_saveexec_b64 s[10:11], s[12:13]
	s_cbranch_execz .LBB195_94
; %bb.93:
	v_bfe_u32 v1, v0, 16, 1
	s_movk_i32 s12, 0x7fff
	v_add3_u32 v1, v0, v1, s12
	v_cmp_o_f32_e32 vcc, v0, v0
	v_mov_b32_e32 v8, 0x7fc0
	v_cndmask_b32_sdwa v1, v8, v1, vcc dst_sel:DWORD dst_unused:UNUSED_PAD src0_sel:DWORD src1_sel:WORD_1
	v_mov_b32_e32 v9, s7
	v_add_co_u32_e32 v8, vcc, s6, v2
	v_addc_co_u32_e32 v9, vcc, 0, v9, vcc
	v_lshlrev_b64 v[8:9], 1, v[8:9]
	v_mov_b32_e32 v10, s5
	v_add_co_u32_e32 v8, vcc, s4, v8
	v_addc_co_u32_e32 v9, vcc, v10, v9, vcc
	global_store_short v[8:9], v1, off offset:32
.LBB195_94:
	s_or_b64 exec, exec, s[10:11]
	v_cmp_gt_u32_e32 vcc, 32, v2
	s_and_b64 exec, exec, vcc
	s_cbranch_execz .LBB195_104
; %bb.95:
	s_and_saveexec_b64 s[10:11], s[0:1]
; %bb.96:
	v_lshlrev_b32_e32 v0, 2, v2
	v_lshlrev_b32_e32 v1, 2, v3
	v_add3_u32 v0, 0, v0, v1
	ds_read_b32 v0, v0 offset:128
; %bb.97:
	s_or_b64 exec, exec, s[10:11]
	s_waitcnt lgkmcnt(0)
	ds_bpermute_b32 v1, v4, v0
	v_add_u32_e32 v9, 32, v2
	s_waitcnt lgkmcnt(0)
	v_add_f32_e32 v0, v0, v1
	ds_bpermute_b32 v1, v5, v0
	s_waitcnt lgkmcnt(0)
	v_add_f32_e32 v0, v0, v1
	ds_bpermute_b32 v8, v6, v0
	v_mov_b32_e32 v1, s7
	s_waitcnt lgkmcnt(0)
	v_add_f32_e32 v8, v0, v8
	ds_bpermute_b32 v10, v7, v8
	v_or_b32_e32 v0, s6, v9
	v_cmp_le_i64_e32 vcc, s[14:15], v[0:1]
	s_or_b64 s[10:11], s[2:3], vcc
	s_waitcnt lgkmcnt(0)
	v_add_f32_e32 v0, v8, v10
	s_nor_b64 s[12:13], s[8:9], s[10:11]
	s_and_saveexec_b64 s[10:11], s[12:13]
	s_cbranch_execz .LBB195_99
; %bb.98:
	v_bfe_u32 v1, v0, 16, 1
	s_movk_i32 s12, 0x7fff
	v_add3_u32 v1, v0, v1, s12
	v_cmp_o_f32_e32 vcc, v0, v0
	v_mov_b32_e32 v8, 0x7fc0
	v_cndmask_b32_sdwa v1, v8, v1, vcc dst_sel:DWORD dst_unused:UNUSED_PAD src0_sel:DWORD src1_sel:WORD_1
	v_mov_b32_e32 v9, s7
	v_add_co_u32_e32 v8, vcc, s6, v2
	v_addc_co_u32_e32 v9, vcc, 0, v9, vcc
	v_lshlrev_b64 v[8:9], 1, v[8:9]
	v_mov_b32_e32 v10, s5
	v_add_co_u32_e32 v8, vcc, s4, v8
	v_addc_co_u32_e32 v9, vcc, v10, v9, vcc
	global_store_short v[8:9], v1, off offset:64
.LBB195_99:
	s_or_b64 exec, exec, s[10:11]
	v_cmp_gt_u32_e32 vcc, 16, v2
	s_and_b64 exec, exec, vcc
	s_cbranch_execz .LBB195_104
; %bb.100:
	s_and_saveexec_b64 s[10:11], s[0:1]
; %bb.101:
	v_lshlrev_b32_e32 v0, 2, v2
	v_lshlrev_b32_e32 v1, 2, v3
	v_add3_u32 v0, 0, v0, v1
	ds_read_b32 v0, v0 offset:192
; %bb.102:
	s_or_b64 exec, exec, s[10:11]
	s_waitcnt lgkmcnt(0)
	ds_bpermute_b32 v1, v4, v0
	v_add_u32_e32 v3, 48, v2
	v_or_b32_e32 v3, s6, v3
	v_mov_b32_e32 v4, s7
	v_cmp_le_i64_e32 vcc, s[14:15], v[3:4]
	s_waitcnt lgkmcnt(0)
	v_add_f32_e32 v0, v0, v1
	ds_bpermute_b32 v1, v5, v0
	s_or_b64 s[0:1], s[2:3], vcc
	s_nor_b64 s[0:1], s[8:9], s[0:1]
	s_waitcnt lgkmcnt(0)
	v_add_f32_e32 v0, v0, v1
	ds_bpermute_b32 v1, v6, v0
	s_waitcnt lgkmcnt(0)
	v_add_f32_e32 v0, v0, v1
	ds_bpermute_b32 v1, v7, v0
	s_and_saveexec_b64 s[2:3], s[0:1]
	s_xor_b64 s[2:3], exec, s[2:3]
	s_cbranch_execz .LBB195_104
; %bb.103:
	s_waitcnt lgkmcnt(0)
	v_add_f32_e32 v0, v0, v1
	v_bfe_u32 v1, v0, 16, 1
	s_movk_i32 s0, 0x7fff
	v_add3_u32 v1, v0, v1, s0
	v_cmp_o_f32_e32 vcc, v0, v0
	v_mov_b32_e32 v0, 0x7fc0
	v_cndmask_b32_sdwa v3, v0, v1, vcc dst_sel:DWORD dst_unused:UNUSED_PAD src0_sel:DWORD src1_sel:WORD_1
	v_mov_b32_e32 v1, s7
	v_add_co_u32_e32 v0, vcc, s6, v2
	v_addc_co_u32_e32 v1, vcc, 0, v1, vcc
	v_lshlrev_b64 v[0:1], 1, v[0:1]
	v_mov_b32_e32 v2, s5
	v_add_co_u32_e32 v0, vcc, s4, v0
	v_addc_co_u32_e32 v1, vcc, v2, v1, vcc
	global_store_short v[0:1], v3, off offset:96
.LBB195_104:
	s_endpgm
	.section	.rodata,"a",@progbits
	.p2align	6, 0x0
	.amdhsa_kernel _ZN2at6native12_GLOBAL__N_135GammaBetaBackwardCUDAKernelTemplateIN3c108BFloat16EfLj64ELj16ELj128ELb0ELb0ELb1EEEvllPKT_S7_PKT0_SA_PS5_SB_
		.amdhsa_group_segment_fixed_size 0
		.amdhsa_private_segment_fixed_size 108
		.amdhsa_kernarg_size 320
		.amdhsa_user_sgpr_count 6
		.amdhsa_user_sgpr_private_segment_buffer 1
		.amdhsa_user_sgpr_dispatch_ptr 0
		.amdhsa_user_sgpr_queue_ptr 0
		.amdhsa_user_sgpr_kernarg_segment_ptr 1
		.amdhsa_user_sgpr_dispatch_id 0
		.amdhsa_user_sgpr_flat_scratch_init 0
		.amdhsa_user_sgpr_private_segment_size 0
		.amdhsa_uses_dynamic_stack 0
		.amdhsa_system_sgpr_private_segment_wavefront_offset 1
		.amdhsa_system_sgpr_workgroup_id_x 1
		.amdhsa_system_sgpr_workgroup_id_y 1
		.amdhsa_system_sgpr_workgroup_id_z 0
		.amdhsa_system_sgpr_workgroup_info 0
		.amdhsa_system_vgpr_workitem_id 1
		.amdhsa_next_free_vgpr 64
		.amdhsa_next_free_sgpr 40
		.amdhsa_reserve_vcc 1
		.amdhsa_reserve_flat_scratch 0
		.amdhsa_float_round_mode_32 0
		.amdhsa_float_round_mode_16_64 0
		.amdhsa_float_denorm_mode_32 3
		.amdhsa_float_denorm_mode_16_64 3
		.amdhsa_dx10_clamp 1
		.amdhsa_ieee_mode 1
		.amdhsa_fp16_overflow 0
		.amdhsa_exception_fp_ieee_invalid_op 0
		.amdhsa_exception_fp_denorm_src 0
		.amdhsa_exception_fp_ieee_div_zero 0
		.amdhsa_exception_fp_ieee_overflow 0
		.amdhsa_exception_fp_ieee_underflow 0
		.amdhsa_exception_fp_ieee_inexact 0
		.amdhsa_exception_int_div_zero 0
	.end_amdhsa_kernel
	.section	.text._ZN2at6native12_GLOBAL__N_135GammaBetaBackwardCUDAKernelTemplateIN3c108BFloat16EfLj64ELj16ELj128ELb0ELb0ELb1EEEvllPKT_S7_PKT0_SA_PS5_SB_,"axG",@progbits,_ZN2at6native12_GLOBAL__N_135GammaBetaBackwardCUDAKernelTemplateIN3c108BFloat16EfLj64ELj16ELj128ELb0ELb0ELb1EEEvllPKT_S7_PKT0_SA_PS5_SB_,comdat
.Lfunc_end195:
	.size	_ZN2at6native12_GLOBAL__N_135GammaBetaBackwardCUDAKernelTemplateIN3c108BFloat16EfLj64ELj16ELj128ELb0ELb0ELb1EEEvllPKT_S7_PKT0_SA_PS5_SB_, .Lfunc_end195-_ZN2at6native12_GLOBAL__N_135GammaBetaBackwardCUDAKernelTemplateIN3c108BFloat16EfLj64ELj16ELj128ELb0ELb0ELb1EEEvllPKT_S7_PKT0_SA_PS5_SB_
                                        ; -- End function
	.set _ZN2at6native12_GLOBAL__N_135GammaBetaBackwardCUDAKernelTemplateIN3c108BFloat16EfLj64ELj16ELj128ELb0ELb0ELb1EEEvllPKT_S7_PKT0_SA_PS5_SB_.num_vgpr, 64
	.set _ZN2at6native12_GLOBAL__N_135GammaBetaBackwardCUDAKernelTemplateIN3c108BFloat16EfLj64ELj16ELj128ELb0ELb0ELb1EEEvllPKT_S7_PKT0_SA_PS5_SB_.num_agpr, 0
	.set _ZN2at6native12_GLOBAL__N_135GammaBetaBackwardCUDAKernelTemplateIN3c108BFloat16EfLj64ELj16ELj128ELb0ELb0ELb1EEEvllPKT_S7_PKT0_SA_PS5_SB_.numbered_sgpr, 40
	.set _ZN2at6native12_GLOBAL__N_135GammaBetaBackwardCUDAKernelTemplateIN3c108BFloat16EfLj64ELj16ELj128ELb0ELb0ELb1EEEvllPKT_S7_PKT0_SA_PS5_SB_.num_named_barrier, 0
	.set _ZN2at6native12_GLOBAL__N_135GammaBetaBackwardCUDAKernelTemplateIN3c108BFloat16EfLj64ELj16ELj128ELb0ELb0ELb1EEEvllPKT_S7_PKT0_SA_PS5_SB_.private_seg_size, 108
	.set _ZN2at6native12_GLOBAL__N_135GammaBetaBackwardCUDAKernelTemplateIN3c108BFloat16EfLj64ELj16ELj128ELb0ELb0ELb1EEEvllPKT_S7_PKT0_SA_PS5_SB_.uses_vcc, 1
	.set _ZN2at6native12_GLOBAL__N_135GammaBetaBackwardCUDAKernelTemplateIN3c108BFloat16EfLj64ELj16ELj128ELb0ELb0ELb1EEEvllPKT_S7_PKT0_SA_PS5_SB_.uses_flat_scratch, 0
	.set _ZN2at6native12_GLOBAL__N_135GammaBetaBackwardCUDAKernelTemplateIN3c108BFloat16EfLj64ELj16ELj128ELb0ELb0ELb1EEEvllPKT_S7_PKT0_SA_PS5_SB_.has_dyn_sized_stack, 0
	.set _ZN2at6native12_GLOBAL__N_135GammaBetaBackwardCUDAKernelTemplateIN3c108BFloat16EfLj64ELj16ELj128ELb0ELb0ELb1EEEvllPKT_S7_PKT0_SA_PS5_SB_.has_recursion, 0
	.set _ZN2at6native12_GLOBAL__N_135GammaBetaBackwardCUDAKernelTemplateIN3c108BFloat16EfLj64ELj16ELj128ELb0ELb0ELb1EEEvllPKT_S7_PKT0_SA_PS5_SB_.has_indirect_call, 0
	.section	.AMDGPU.csdata,"",@progbits
; Kernel info:
; codeLenInByte = 8408
; TotalNumSgprs: 44
; NumVgprs: 64
; ScratchSize: 108
; MemoryBound: 0
; FloatMode: 240
; IeeeMode: 1
; LDSByteSize: 0 bytes/workgroup (compile time only)
; SGPRBlocks: 5
; VGPRBlocks: 15
; NumSGPRsForWavesPerEU: 44
; NumVGPRsForWavesPerEU: 64
; Occupancy: 4
; WaveLimiterHint : 0
; COMPUTE_PGM_RSRC2:SCRATCH_EN: 1
; COMPUTE_PGM_RSRC2:USER_SGPR: 6
; COMPUTE_PGM_RSRC2:TRAP_HANDLER: 0
; COMPUTE_PGM_RSRC2:TGID_X_EN: 1
; COMPUTE_PGM_RSRC2:TGID_Y_EN: 1
; COMPUTE_PGM_RSRC2:TGID_Z_EN: 0
; COMPUTE_PGM_RSRC2:TIDIG_COMP_CNT: 1
	.section	.text._ZN2at6native12_GLOBAL__N_135GammaBetaBackwardCUDAKernelTemplateIN3c108BFloat16EfLj64ELj16ELj256ELb0ELb1ELb1EEEvllPKT_S7_PKT0_SA_PS5_SB_,"axG",@progbits,_ZN2at6native12_GLOBAL__N_135GammaBetaBackwardCUDAKernelTemplateIN3c108BFloat16EfLj64ELj16ELj256ELb0ELb1ELb1EEEvllPKT_S7_PKT0_SA_PS5_SB_,comdat
	.globl	_ZN2at6native12_GLOBAL__N_135GammaBetaBackwardCUDAKernelTemplateIN3c108BFloat16EfLj64ELj16ELj256ELb0ELb1ELb1EEEvllPKT_S7_PKT0_SA_PS5_SB_ ; -- Begin function _ZN2at6native12_GLOBAL__N_135GammaBetaBackwardCUDAKernelTemplateIN3c108BFloat16EfLj64ELj16ELj256ELb0ELb1ELb1EEEvllPKT_S7_PKT0_SA_PS5_SB_
	.p2align	8
	.type	_ZN2at6native12_GLOBAL__N_135GammaBetaBackwardCUDAKernelTemplateIN3c108BFloat16EfLj64ELj16ELj256ELb0ELb1ELb1EEEvllPKT_S7_PKT0_SA_PS5_SB_,@function
_ZN2at6native12_GLOBAL__N_135GammaBetaBackwardCUDAKernelTemplateIN3c108BFloat16EfLj64ELj16ELj256ELb0ELb1ELb1EEEvllPKT_S7_PKT0_SA_PS5_SB_: ; @_ZN2at6native12_GLOBAL__N_135GammaBetaBackwardCUDAKernelTemplateIN3c108BFloat16EfLj64ELj16ELj256ELb0ELb1ELb1EEEvllPKT_S7_PKT0_SA_PS5_SB_
; %bb.0:
	s_load_dwordx4 s[8:11], s[4:5], 0x0
	s_lshl_b32 s18, s7, 8
	s_mov_b32 s19, 0
	v_mov_b32_e32 v2, s18
	v_mov_b32_e32 v3, s19
	s_waitcnt lgkmcnt(0)
	v_cmp_gt_i64_e32 vcc, s[8:9], v[2:3]
	s_cbranch_vccnz .LBB196_2
; %bb.1:
	s_mov_b64 s[0:1], 0
	s_branch .LBB196_3
.LBB196_2:
	s_mov_b64 s[0:1], -1
.LBB196_3:
	s_load_dwordx2 s[16:17], s[4:5], 0x30
	v_mov_b32_e32 v3, 0
	s_andn2_b64 vcc, exec, s[0:1]
	v_mbcnt_lo_u32_b32 v12, -1, 0
	s_cbranch_vccnz .LBB196_10
; %bb.4:
	s_load_dword s0, s[4:5], 0x4c
	s_load_dword s7, s[4:5], 0x44
	s_load_dwordx4 s[12:15], s[4:5], 0x10
	s_load_dwordx2 s[2:3], s[4:5], 0x28
	v_lshlrev_b32_e32 v4, 4, v1
	s_waitcnt lgkmcnt(0)
	s_and_b32 s0, s0, 0xffff
	v_mad_u32_u24 v2, v1, s0, v0
	v_and_b32_e32 v5, 63, v2
	v_add_co_u32_e32 v8, vcc, s18, v4
	v_addc_co_u32_e64 v9, s[20:21], 0, 0, vcc
	v_add_co_u32_e32 v4, vcc, v8, v5
	v_cmp_gt_u32_e64 s[0:1], 16, v5
	v_mbcnt_hi_u32_b32 v6, -1, v12
	v_addc_co_u32_e32 v5, vcc, 0, v9, vcc
	v_mul_lo_u32 v11, s11, v8
	v_mul_lo_u32 v15, s10, v9
	v_mad_u64_u32 v[8:9], s[20:21], s10, v8, 0
	v_lshlrev_b32_e32 v6, 2, v6
	v_and_b32_e32 v13, 0x100, v6
	v_lshlrev_b64 v[6:7], 2, v[4:5]
	v_mov_b32_e32 v3, 0
	v_lshl_add_u32 v2, s6, 6, v0
	v_mov_b32_e32 v10, s3
	v_add_co_u32_e32 v6, vcc, s2, v6
	v_add3_u32 v9, v9, v15, v11
	v_addc_co_u32_e32 v7, vcc, v10, v7, vcc
	v_lshlrev_b64 v[8:9], 1, v[8:9]
	v_lshlrev_b64 v[10:11], 1, v[2:3]
	s_lshl_b32 s4, s7, 8
	s_mul_i32 s2, s11, s4
	s_mul_hi_u32 s3, s10, s4
	s_mov_b32 s5, 0
	v_add_co_u32_e32 v2, vcc, v8, v10
	s_add_i32 s3, s3, s2
	s_mul_i32 s2, s10, s4
	v_or_b32_e32 v14, 20, v13
	v_addc_co_u32_e32 v15, vcc, v9, v11, vcc
	v_or_b32_e32 v16, 24, v13
	v_or_b32_e32 v17, 28, v13
	;; [unrolled: 1-line block ×3, first 2 shown]
	s_lshl_b64 s[20:21], s[4:5], 2
	s_lshl_b64 s[22:23], s[2:3], 1
	;; [unrolled: 1-line block ×3, first 2 shown]
	v_or_b32_e32 v19, 36, v13
	v_or_b32_e32 v20, 40, v13
	;; [unrolled: 1-line block ×7, first 2 shown]
	s_branch .LBB196_7
.LBB196_5:                              ;   in Loop: Header=BB196_7 Depth=1
	s_or_b64 exec, exec, s[24:25]
.LBB196_6:                              ;   in Loop: Header=BB196_7 Depth=1
	s_or_b64 exec, exec, s[2:3]
	v_mov_b32_e32 v8, s13
	v_add_co_u32_e32 v10, vcc, s12, v2
	v_addc_co_u32_e32 v11, vcc, v8, v15, vcc
	v_mov_b32_e32 v27, s11
	v_add_co_u32_e32 v8, vcc, s10, v10
	v_addc_co_u32_e32 v9, vcc, v11, v27, vcc
	global_load_ushort v30, v[10:11], off
	v_mov_b32_e32 v10, s15
	v_add_co_u32_e32 v28, vcc, s14, v2
	v_addc_co_u32_e32 v29, vcc, v10, v15, vcc
	v_add_co_u32_e32 v10, vcc, s10, v28
	v_addc_co_u32_e32 v11, vcc, v29, v27, vcc
	global_load_ushort v29, v[28:29], off
	s_add_u32 s18, s18, s4
	s_addc_u32 s19, s19, 0
	v_add_co_u32_e64 v6, s[2:3], s20, v6
	s_waitcnt vmcnt(1)
	v_lshlrev_b32_e32 v28, 16, v30
	global_load_ushort v30, v[8:9], off
	s_waitcnt vmcnt(1)
	v_lshlrev_b32_e32 v29, 16, v29
	v_mul_f32_e32 v28, v28, v29
	ds_bpermute_b32 v29, v13, v26
	s_waitcnt lgkmcnt(0)
	v_fmac_f32_e32 v3, v28, v29
	v_add_co_u32_e32 v28, vcc, s10, v8
	v_addc_co_u32_e32 v29, vcc, v9, v27, vcc
	v_add_co_u32_e32 v8, vcc, s10, v10
	global_load_ushort v10, v[10:11], off
	v_addc_co_u32_e32 v9, vcc, v11, v27, vcc
	s_waitcnt vmcnt(1)
	v_lshlrev_b32_e32 v11, 16, v30
	global_load_ushort v30, v[28:29], off
	s_waitcnt vmcnt(1)
	v_lshlrev_b32_e32 v10, 16, v10
	v_mul_f32_e32 v10, v11, v10
	v_or_b32_e32 v11, 4, v13
	ds_bpermute_b32 v11, v11, v26
	s_waitcnt lgkmcnt(0)
	v_fmac_f32_e32 v3, v10, v11
	v_add_co_u32_e32 v10, vcc, s10, v28
	v_addc_co_u32_e32 v11, vcc, v29, v27, vcc
	v_add_co_u32_e32 v28, vcc, s10, v8
	global_load_ushort v8, v[8:9], off
	v_addc_co_u32_e32 v29, vcc, v9, v27, vcc
	s_waitcnt vmcnt(1)
	v_lshlrev_b32_e32 v9, 16, v30
	global_load_ushort v30, v[10:11], off
	s_waitcnt vmcnt(1)
	v_lshlrev_b32_e32 v8, 16, v8
	v_mul_f32_e32 v8, v9, v8
	v_or_b32_e32 v9, 8, v13
	;; [unrolled: 15-line block ×4, first 2 shown]
	ds_bpermute_b32 v11, v11, v26
	s_waitcnt lgkmcnt(0)
	v_fmac_f32_e32 v3, v10, v11
	v_add_co_u32_e32 v10, vcc, s10, v28
	v_addc_co_u32_e32 v11, vcc, v29, v27, vcc
	v_add_co_u32_e32 v28, vcc, s10, v8
	global_load_ushort v8, v[8:9], off
	v_addc_co_u32_e32 v29, vcc, v9, v27, vcc
	s_waitcnt vmcnt(1)
	v_lshlrev_b32_e32 v9, 16, v30
	global_load_ushort v30, v[28:29], off
	s_waitcnt vmcnt(1)
	v_lshlrev_b32_e32 v8, 16, v8
	v_mul_f32_e32 v8, v9, v8
	ds_bpermute_b32 v9, v14, v26
	s_waitcnt lgkmcnt(0)
	v_fmac_f32_e32 v3, v8, v9
	v_add_co_u32_e32 v8, vcc, s10, v28
	v_addc_co_u32_e32 v9, vcc, v29, v27, vcc
	v_add_co_u32_e32 v28, vcc, s10, v10
	global_load_ushort v10, v[10:11], off
	v_addc_co_u32_e32 v29, vcc, v11, v27, vcc
	s_waitcnt vmcnt(1)
	v_lshlrev_b32_e32 v11, 16, v30
	global_load_ushort v30, v[8:9], off
	s_waitcnt vmcnt(1)
	v_lshlrev_b32_e32 v10, 16, v10
	v_mul_f32_e32 v10, v10, v11
	;; [unrolled: 14-line block ×9, first 2 shown]
	ds_bpermute_b32 v29, v23, v26
	s_waitcnt lgkmcnt(0)
	v_fmac_f32_e32 v3, v28, v29
	v_add_co_u32_e32 v28, vcc, s10, v10
	v_addc_co_u32_e32 v29, vcc, v11, v27, vcc
	v_add_co_u32_e32 v10, vcc, s10, v8
	global_load_ushort v8, v[8:9], off
	v_addc_co_u32_e32 v11, vcc, v9, v27, vcc
	s_waitcnt vmcnt(1)
	v_lshlrev_b32_e32 v9, 16, v30
	s_waitcnt vmcnt(0)
	v_lshlrev_b32_e32 v8, 16, v8
	v_mul_f32_e32 v8, v8, v9
	ds_bpermute_b32 v9, v24, v26
	s_waitcnt lgkmcnt(0)
	v_fmac_f32_e32 v3, v8, v9
	global_load_ushort v8, v[28:29], off
	global_load_ushort v9, v[10:11], off
	s_waitcnt vmcnt(1)
	v_lshlrev_b32_e32 v8, 16, v8
	s_waitcnt vmcnt(0)
	v_lshlrev_b32_e32 v9, 16, v9
	v_mul_f32_e32 v8, v9, v8
	ds_bpermute_b32 v9, v25, v26
	s_waitcnt lgkmcnt(0)
	v_fmac_f32_e32 v3, v8, v9
	v_mov_b32_e32 v8, s8
	v_mov_b32_e32 v9, s9
	v_cmp_lt_i64_e32 vcc, s[18:19], v[8:9]
	v_mov_b32_e32 v8, s21
	v_addc_co_u32_e64 v7, s[2:3], v7, v8, s[2:3]
	v_add_co_u32_e64 v2, s[2:3], s22, v2
	v_mov_b32_e32 v8, s23
	v_addc_co_u32_e64 v15, s[2:3], v15, v8, s[2:3]
	v_add_co_u32_e64 v4, s[2:3], s4, v4
	v_addc_co_u32_e64 v5, s[2:3], 0, v5, s[2:3]
	s_cbranch_vccz .LBB196_10
.LBB196_7:                              ; =>This Inner Loop Header: Depth=1
	v_mov_b32_e32 v26, 0
	s_and_saveexec_b64 s[2:3], s[0:1]
	s_cbranch_execz .LBB196_6
; %bb.8:                                ;   in Loop: Header=BB196_7 Depth=1
	v_cmp_gt_i64_e32 vcc, s[8:9], v[4:5]
	v_mov_b32_e32 v26, 0
	s_and_saveexec_b64 s[24:25], vcc
	s_cbranch_execz .LBB196_5
; %bb.9:                                ;   in Loop: Header=BB196_7 Depth=1
	global_load_dword v26, v[6:7], off
	s_branch .LBB196_5
.LBB196_10:
	s_movk_i32 s0, 0x41
	v_mad_u32_u24 v2, v1, s0, v0
	v_lshl_add_u32 v2, v2, 2, 0
	ds_write_b32 v2, v3
	v_mov_b32_e32 v3, 0
	ds_write_b32 v2, v3 offset:4160
	v_lshrrev_b32_e32 v2, 6, v0
	v_add_u32_e32 v1, v2, v1
	v_cmp_gt_u32_e32 vcc, 64, v1
	s_waitcnt lgkmcnt(0)
	s_barrier
	s_and_saveexec_b64 s[0:1], vcc
	s_cbranch_execz .LBB196_30
; %bb.11:
	v_and_b32_e32 v2, 63, v0
	v_cmp_gt_u32_e64 s[0:1], 16, v2
	v_mul_u32_u24_e32 v3, 0x41, v2
                                        ; implicit-def: $vgpr2
	s_and_saveexec_b64 s[2:3], s[0:1]
; %bb.12:
	v_lshlrev_b32_e32 v2, 2, v1
	v_lshlrev_b32_e32 v4, 2, v3
	v_add3_u32 v2, 0, v2, v4
	ds_read_b32 v2, v2
; %bb.13:
	s_or_b64 exec, exec, s[2:3]
	v_mbcnt_hi_u32_b32 v7, -1, v12
	v_and_b32_e32 v4, 64, v7
	v_add_u32_e32 v8, 64, v4
	v_xor_b32_e32 v4, 8, v7
	v_cmp_lt_i32_e32 vcc, v4, v8
	v_cndmask_b32_e32 v4, v7, v4, vcc
	v_lshlrev_b32_e32 v4, 2, v4
	s_waitcnt lgkmcnt(0)
	ds_bpermute_b32 v5, v4, v2
	v_xor_b32_e32 v6, 4, v7
	v_cmp_lt_i32_e32 vcc, v6, v8
	v_xor_b32_e32 v9, 2, v7
	s_cmp_lg_u64 s[16:17], 0
	s_waitcnt lgkmcnt(0)
	v_add_f32_e32 v2, v2, v5
	v_cndmask_b32_e32 v5, v7, v6, vcc
	v_lshlrev_b32_e32 v5, 2, v5
	ds_bpermute_b32 v6, v5, v2
	v_cmp_lt_i32_e32 vcc, v9, v8
	s_mov_b32 s7, 0
	s_cselect_b64 s[4:5], -1, 0
	s_waitcnt lgkmcnt(0)
	v_add_f32_e32 v2, v2, v6
	v_cndmask_b32_e32 v6, v7, v9, vcc
	v_lshlrev_b32_e32 v6, 2, v6
	ds_bpermute_b32 v9, v6, v2
	v_cmp_eq_u32_e32 vcc, 0, v0
	v_xor_b32_e32 v0, 1, v7
	v_cmp_lt_i32_e64 s[2:3], v0, v8
	v_cndmask_b32_e64 v0, v7, v0, s[2:3]
	s_waitcnt lgkmcnt(0)
	v_add_f32_e32 v2, v2, v9
	v_lshlrev_b32_e32 v0, 2, v0
	ds_bpermute_b32 v7, v0, v2
	s_and_b64 s[2:3], vcc, s[4:5]
	s_lshl_b64 s[4:5], s[6:7], 7
	s_add_u32 s6, s16, s4
	s_addc_u32 s7, s17, s5
	s_waitcnt lgkmcnt(0)
	v_add_f32_e32 v7, v2, v7
	s_and_saveexec_b64 s[4:5], s[2:3]
	s_cbranch_execz .LBB196_15
; %bb.14:
	v_bfe_u32 v8, v7, 16, 1
	s_movk_i32 s8, 0x7fff
	v_mov_b32_e32 v2, 0
	v_add3_u32 v8, v7, v8, s8
	v_cmp_o_f32_e32 vcc, v7, v7
	v_mov_b32_e32 v9, 0x7fc0
	v_cndmask_b32_sdwa v10, v9, v8, vcc dst_sel:DWORD dst_unused:UNUSED_PAD src0_sel:DWORD src1_sel:WORD_1
	v_lshlrev_b64 v[8:9], 1, v[1:2]
	v_mov_b32_e32 v2, s7
	v_add_co_u32_e32 v8, vcc, s6, v8
	v_addc_co_u32_e32 v9, vcc, v2, v9, vcc
	global_store_short v[8:9], v10, off
.LBB196_15:
	s_or_b64 exec, exec, s[4:5]
	v_cmp_gt_u32_e32 vcc, 48, v1
	s_and_b64 exec, exec, vcc
	s_cbranch_execz .LBB196_30
; %bb.16:
	s_and_saveexec_b64 s[4:5], s[0:1]
; %bb.17:
	v_lshlrev_b32_e32 v2, 2, v1
	v_lshlrev_b32_e32 v7, 2, v3
	v_add3_u32 v2, 0, v2, v7
	ds_read_b32 v7, v2 offset:64
; %bb.18:
	s_or_b64 exec, exec, s[4:5]
	s_waitcnt lgkmcnt(0)
	ds_bpermute_b32 v2, v4, v7
	s_waitcnt lgkmcnt(0)
	v_add_f32_e32 v2, v7, v2
	ds_bpermute_b32 v7, v5, v2
	s_waitcnt lgkmcnt(0)
	v_add_f32_e32 v2, v2, v7
	;; [unrolled: 3-line block ×4, first 2 shown]
	s_and_saveexec_b64 s[4:5], s[2:3]
	s_cbranch_execz .LBB196_20
; %bb.19:
	v_bfe_u32 v2, v7, 16, 1
	s_movk_i32 s8, 0x7fff
	v_add3_u32 v2, v7, v2, s8
	v_cmp_o_f32_e32 vcc, v7, v7
	v_mov_b32_e32 v8, 0x7fc0
	v_cndmask_b32_sdwa v10, v8, v2, vcc dst_sel:DWORD dst_unused:UNUSED_PAD src0_sel:DWORD src1_sel:WORD_1
	v_mov_b32_e32 v2, 0
	v_lshlrev_b64 v[8:9], 1, v[1:2]
	v_mov_b32_e32 v2, s7
	v_add_co_u32_e32 v8, vcc, s6, v8
	v_addc_co_u32_e32 v9, vcc, v2, v9, vcc
	global_store_short v[8:9], v10, off offset:32
.LBB196_20:
	s_or_b64 exec, exec, s[4:5]
	v_cmp_gt_u32_e32 vcc, 32, v1
	s_and_b64 exec, exec, vcc
	s_cbranch_execz .LBB196_30
; %bb.21:
	s_and_saveexec_b64 s[4:5], s[0:1]
; %bb.22:
	v_lshlrev_b32_e32 v2, 2, v1
	v_lshlrev_b32_e32 v7, 2, v3
	v_add3_u32 v2, 0, v2, v7
	ds_read_b32 v7, v2 offset:128
; %bb.23:
	s_or_b64 exec, exec, s[4:5]
	s_waitcnt lgkmcnt(0)
	ds_bpermute_b32 v2, v4, v7
	s_waitcnt lgkmcnt(0)
	v_add_f32_e32 v2, v7, v2
	ds_bpermute_b32 v7, v5, v2
	s_waitcnt lgkmcnt(0)
	v_add_f32_e32 v2, v2, v7
	;; [unrolled: 3-line block ×4, first 2 shown]
	s_and_saveexec_b64 s[4:5], s[2:3]
	s_cbranch_execz .LBB196_25
; %bb.24:
	v_bfe_u32 v2, v7, 16, 1
	s_movk_i32 s8, 0x7fff
	v_add3_u32 v2, v7, v2, s8
	v_cmp_o_f32_e32 vcc, v7, v7
	v_mov_b32_e32 v8, 0x7fc0
	v_cndmask_b32_sdwa v10, v8, v2, vcc dst_sel:DWORD dst_unused:UNUSED_PAD src0_sel:DWORD src1_sel:WORD_1
	v_mov_b32_e32 v2, 0
	v_lshlrev_b64 v[8:9], 1, v[1:2]
	v_mov_b32_e32 v2, s7
	v_add_co_u32_e32 v8, vcc, s6, v8
	v_addc_co_u32_e32 v9, vcc, v2, v9, vcc
	global_store_short v[8:9], v10, off offset:64
.LBB196_25:
	s_or_b64 exec, exec, s[4:5]
	v_cmp_gt_u32_e32 vcc, 16, v1
	s_and_b64 exec, exec, vcc
	s_cbranch_execz .LBB196_30
; %bb.26:
	s_and_saveexec_b64 s[4:5], s[0:1]
; %bb.27:
	v_lshlrev_b32_e32 v2, 2, v1
	v_lshlrev_b32_e32 v3, 2, v3
	v_add3_u32 v2, 0, v2, v3
	ds_read_b32 v7, v2 offset:192
; %bb.28:
	s_or_b64 exec, exec, s[4:5]
	s_waitcnt lgkmcnt(0)
	ds_bpermute_b32 v2, v4, v7
	s_waitcnt lgkmcnt(0)
	v_add_f32_e32 v2, v7, v2
	ds_bpermute_b32 v3, v5, v2
	s_waitcnt lgkmcnt(0)
	v_add_f32_e32 v2, v2, v3
	;; [unrolled: 3-line block ×3, first 2 shown]
	ds_bpermute_b32 v0, v0, v2
	s_and_saveexec_b64 s[0:1], s[2:3]
	s_xor_b64 s[0:1], exec, s[0:1]
	s_cbranch_execz .LBB196_30
; %bb.29:
	s_waitcnt lgkmcnt(0)
	v_add_f32_e32 v0, v2, v0
	v_bfe_u32 v2, v0, 16, 1
	s_movk_i32 s0, 0x7fff
	v_add3_u32 v2, v0, v2, s0
	v_cmp_o_f32_e32 vcc, v0, v0
	v_mov_b32_e32 v0, 0x7fc0
	v_cndmask_b32_sdwa v3, v0, v2, vcc dst_sel:DWORD dst_unused:UNUSED_PAD src0_sel:DWORD src1_sel:WORD_1
	v_mov_b32_e32 v2, 0
	v_lshlrev_b64 v[0:1], 1, v[1:2]
	v_mov_b32_e32 v2, s7
	v_add_co_u32_e32 v0, vcc, s6, v0
	v_addc_co_u32_e32 v1, vcc, v2, v1, vcc
	global_store_short v[0:1], v3, off offset:96
.LBB196_30:
	s_endpgm
	.section	.rodata,"a",@progbits
	.p2align	6, 0x0
	.amdhsa_kernel _ZN2at6native12_GLOBAL__N_135GammaBetaBackwardCUDAKernelTemplateIN3c108BFloat16EfLj64ELj16ELj256ELb0ELb1ELb1EEEvllPKT_S7_PKT0_SA_PS5_SB_
		.amdhsa_group_segment_fixed_size 0
		.amdhsa_private_segment_fixed_size 0
		.amdhsa_kernarg_size 320
		.amdhsa_user_sgpr_count 6
		.amdhsa_user_sgpr_private_segment_buffer 1
		.amdhsa_user_sgpr_dispatch_ptr 0
		.amdhsa_user_sgpr_queue_ptr 0
		.amdhsa_user_sgpr_kernarg_segment_ptr 1
		.amdhsa_user_sgpr_dispatch_id 0
		.amdhsa_user_sgpr_flat_scratch_init 0
		.amdhsa_user_sgpr_private_segment_size 0
		.amdhsa_uses_dynamic_stack 0
		.amdhsa_system_sgpr_private_segment_wavefront_offset 0
		.amdhsa_system_sgpr_workgroup_id_x 1
		.amdhsa_system_sgpr_workgroup_id_y 1
		.amdhsa_system_sgpr_workgroup_id_z 0
		.amdhsa_system_sgpr_workgroup_info 0
		.amdhsa_system_vgpr_workitem_id 1
		.amdhsa_next_free_vgpr 31
		.amdhsa_next_free_sgpr 26
		.amdhsa_reserve_vcc 1
		.amdhsa_reserve_flat_scratch 0
		.amdhsa_float_round_mode_32 0
		.amdhsa_float_round_mode_16_64 0
		.amdhsa_float_denorm_mode_32 3
		.amdhsa_float_denorm_mode_16_64 3
		.amdhsa_dx10_clamp 1
		.amdhsa_ieee_mode 1
		.amdhsa_fp16_overflow 0
		.amdhsa_exception_fp_ieee_invalid_op 0
		.amdhsa_exception_fp_denorm_src 0
		.amdhsa_exception_fp_ieee_div_zero 0
		.amdhsa_exception_fp_ieee_overflow 0
		.amdhsa_exception_fp_ieee_underflow 0
		.amdhsa_exception_fp_ieee_inexact 0
		.amdhsa_exception_int_div_zero 0
	.end_amdhsa_kernel
	.section	.text._ZN2at6native12_GLOBAL__N_135GammaBetaBackwardCUDAKernelTemplateIN3c108BFloat16EfLj64ELj16ELj256ELb0ELb1ELb1EEEvllPKT_S7_PKT0_SA_PS5_SB_,"axG",@progbits,_ZN2at6native12_GLOBAL__N_135GammaBetaBackwardCUDAKernelTemplateIN3c108BFloat16EfLj64ELj16ELj256ELb0ELb1ELb1EEEvllPKT_S7_PKT0_SA_PS5_SB_,comdat
.Lfunc_end196:
	.size	_ZN2at6native12_GLOBAL__N_135GammaBetaBackwardCUDAKernelTemplateIN3c108BFloat16EfLj64ELj16ELj256ELb0ELb1ELb1EEEvllPKT_S7_PKT0_SA_PS5_SB_, .Lfunc_end196-_ZN2at6native12_GLOBAL__N_135GammaBetaBackwardCUDAKernelTemplateIN3c108BFloat16EfLj64ELj16ELj256ELb0ELb1ELb1EEEvllPKT_S7_PKT0_SA_PS5_SB_
                                        ; -- End function
	.set _ZN2at6native12_GLOBAL__N_135GammaBetaBackwardCUDAKernelTemplateIN3c108BFloat16EfLj64ELj16ELj256ELb0ELb1ELb1EEEvllPKT_S7_PKT0_SA_PS5_SB_.num_vgpr, 31
	.set _ZN2at6native12_GLOBAL__N_135GammaBetaBackwardCUDAKernelTemplateIN3c108BFloat16EfLj64ELj16ELj256ELb0ELb1ELb1EEEvllPKT_S7_PKT0_SA_PS5_SB_.num_agpr, 0
	.set _ZN2at6native12_GLOBAL__N_135GammaBetaBackwardCUDAKernelTemplateIN3c108BFloat16EfLj64ELj16ELj256ELb0ELb1ELb1EEEvllPKT_S7_PKT0_SA_PS5_SB_.numbered_sgpr, 26
	.set _ZN2at6native12_GLOBAL__N_135GammaBetaBackwardCUDAKernelTemplateIN3c108BFloat16EfLj64ELj16ELj256ELb0ELb1ELb1EEEvllPKT_S7_PKT0_SA_PS5_SB_.num_named_barrier, 0
	.set _ZN2at6native12_GLOBAL__N_135GammaBetaBackwardCUDAKernelTemplateIN3c108BFloat16EfLj64ELj16ELj256ELb0ELb1ELb1EEEvllPKT_S7_PKT0_SA_PS5_SB_.private_seg_size, 0
	.set _ZN2at6native12_GLOBAL__N_135GammaBetaBackwardCUDAKernelTemplateIN3c108BFloat16EfLj64ELj16ELj256ELb0ELb1ELb1EEEvllPKT_S7_PKT0_SA_PS5_SB_.uses_vcc, 1
	.set _ZN2at6native12_GLOBAL__N_135GammaBetaBackwardCUDAKernelTemplateIN3c108BFloat16EfLj64ELj16ELj256ELb0ELb1ELb1EEEvllPKT_S7_PKT0_SA_PS5_SB_.uses_flat_scratch, 0
	.set _ZN2at6native12_GLOBAL__N_135GammaBetaBackwardCUDAKernelTemplateIN3c108BFloat16EfLj64ELj16ELj256ELb0ELb1ELb1EEEvllPKT_S7_PKT0_SA_PS5_SB_.has_dyn_sized_stack, 0
	.set _ZN2at6native12_GLOBAL__N_135GammaBetaBackwardCUDAKernelTemplateIN3c108BFloat16EfLj64ELj16ELj256ELb0ELb1ELb1EEEvllPKT_S7_PKT0_SA_PS5_SB_.has_recursion, 0
	.set _ZN2at6native12_GLOBAL__N_135GammaBetaBackwardCUDAKernelTemplateIN3c108BFloat16EfLj64ELj16ELj256ELb0ELb1ELb1EEEvllPKT_S7_PKT0_SA_PS5_SB_.has_indirect_call, 0
	.section	.AMDGPU.csdata,"",@progbits
; Kernel info:
; codeLenInByte = 2584
; TotalNumSgprs: 30
; NumVgprs: 31
; ScratchSize: 0
; MemoryBound: 0
; FloatMode: 240
; IeeeMode: 1
; LDSByteSize: 0 bytes/workgroup (compile time only)
; SGPRBlocks: 3
; VGPRBlocks: 7
; NumSGPRsForWavesPerEU: 30
; NumVGPRsForWavesPerEU: 31
; Occupancy: 8
; WaveLimiterHint : 0
; COMPUTE_PGM_RSRC2:SCRATCH_EN: 0
; COMPUTE_PGM_RSRC2:USER_SGPR: 6
; COMPUTE_PGM_RSRC2:TRAP_HANDLER: 0
; COMPUTE_PGM_RSRC2:TGID_X_EN: 1
; COMPUTE_PGM_RSRC2:TGID_Y_EN: 1
; COMPUTE_PGM_RSRC2:TGID_Z_EN: 0
; COMPUTE_PGM_RSRC2:TIDIG_COMP_CNT: 1
	.section	.text._ZN2at6native12_GLOBAL__N_135GammaBetaBackwardCUDAKernelTemplateIN3c108BFloat16EfLj64ELj16ELj256ELb0ELb0ELb1EEEvllPKT_S7_PKT0_SA_PS5_SB_,"axG",@progbits,_ZN2at6native12_GLOBAL__N_135GammaBetaBackwardCUDAKernelTemplateIN3c108BFloat16EfLj64ELj16ELj256ELb0ELb0ELb1EEEvllPKT_S7_PKT0_SA_PS5_SB_,comdat
	.globl	_ZN2at6native12_GLOBAL__N_135GammaBetaBackwardCUDAKernelTemplateIN3c108BFloat16EfLj64ELj16ELj256ELb0ELb0ELb1EEEvllPKT_S7_PKT0_SA_PS5_SB_ ; -- Begin function _ZN2at6native12_GLOBAL__N_135GammaBetaBackwardCUDAKernelTemplateIN3c108BFloat16EfLj64ELj16ELj256ELb0ELb0ELb1EEEvllPKT_S7_PKT0_SA_PS5_SB_
	.p2align	8
	.type	_ZN2at6native12_GLOBAL__N_135GammaBetaBackwardCUDAKernelTemplateIN3c108BFloat16EfLj64ELj16ELj256ELb0ELb0ELb1EEEvllPKT_S7_PKT0_SA_PS5_SB_,@function
_ZN2at6native12_GLOBAL__N_135GammaBetaBackwardCUDAKernelTemplateIN3c108BFloat16EfLj64ELj16ELj256ELb0ELb0ELb1EEEvllPKT_S7_PKT0_SA_PS5_SB_: ; @_ZN2at6native12_GLOBAL__N_135GammaBetaBackwardCUDAKernelTemplateIN3c108BFloat16EfLj64ELj16ELj256ELb0ELb0ELb1EEEvllPKT_S7_PKT0_SA_PS5_SB_
; %bb.0:
	s_mov_b64 s[38:39], s[2:3]
	s_mov_b64 s[36:37], s[0:1]
	s_add_u32 s36, s36, s8
	s_addc_u32 s37, s37, 0
	buffer_store_dword v1, off, s[36:39], 0 offset:208 ; 4-byte Folded Spill
	s_load_dwordx8 s[12:19], s[4:5], 0x0
	s_load_dwordx2 s[10:11], s[4:5], 0x28
	s_lshl_b32 s20, s7, 8
	v_mov_b32_e32 v42, v0
	s_lshl_b32 s33, s6, 6
	s_mov_b32 s21, 0
	v_mov_b32_e32 v0, s20
	s_or_b32 s0, s33, 63
	v_mov_b32_e32 v1, s21
	v_mov_b32_e32 v35, s0
	;; [unrolled: 1-line block ×3, first 2 shown]
	s_waitcnt lgkmcnt(0)
	v_cmp_gt_i64_e64 s[0:1], s[12:13], v[0:1]
	v_cmp_le_i64_e32 vcc, s[14:15], v[35:36]
	v_cndmask_b32_e64 v0, 0, 1, s[0:1]
	v_cmp_ne_u32_e64 s[0:1], 1, v0
	s_cbranch_vccz .LBB197_81
; %bb.1:
	s_and_b64 vcc, exec, s[0:1]
	s_cbranch_vccnz .LBB197_83
; %bb.2:
	buffer_load_dword v0, off, s[36:39], 0 offset:208 ; 4-byte Folded Reload
	v_mov_b32_e32 v6, s17
	v_mov_b32_e32 v8, s19
	s_load_dword s7, s[4:5], 0x44
	s_add_u32 s22, s4, 64
	s_addc_u32 s23, s5, 0
	buffer_store_dword v42, off, s[36:39], 0 offset:228 ; 4-byte Folded Spill
	s_mov_b64 s[28:29], s[20:21]
	s_waitcnt lgkmcnt(0)
	s_lshl_b32 s7, s7, 8
	s_mul_i32 s8, s15, s7
	s_mul_hi_u32 s9, s14, s7
	s_add_i32 s9, s9, s8
	s_mul_i32 s8, s14, s7
	s_lshl_b64 s[24:25], s[8:9], 1
	s_add_u32 s26, s20, 0xff
	s_addc_u32 s27, 0, 0
	s_waitcnt vmcnt(1)
	v_lshlrev_b32_e32 v59, 4, v0
	v_add_co_u32_e32 v2, vcc, s20, v59
	v_addc_co_u32_e64 v3, s[2:3], 0, 0, vcc
	v_mul_lo_u32 v4, s15, v2
	v_mul_lo_u32 v5, s14, v3
	v_mad_u64_u32 v[0:1], s[2:3], s14, v2, 0
	buffer_store_dword v59, off, s[36:39], 0 offset:232 ; 4-byte Folded Spill
	v_add3_u32 v1, v1, v5, v4
	v_lshlrev_b64 v[4:5], 1, v[0:1]
	v_add_co_u32_e32 v7, vcc, s16, v4
	v_addc_co_u32_e32 v6, vcc, v6, v5, vcc
	buffer_store_dword v6, off, s[36:39], 0 offset:4 ; 4-byte Folded Spill
	v_add_co_u32_e32 v6, vcc, 15, v2
	buffer_store_dword v7, off, s[36:39], 0 ; 4-byte Folded Spill
	v_addc_co_u32_e32 v7, vcc, 0, v3, vcc
	v_mul_lo_u32 v9, s15, v6
	v_mul_lo_u32 v10, s14, v7
	v_mad_u64_u32 v[6:7], s[2:3], s14, v6, 0
	v_add_co_u32_e32 v4, vcc, s18, v4
	buffer_store_dword v4, off, s[36:39], 0 offset:8 ; 4-byte Folded Spill
	v_addc_co_u32_e32 v4, vcc, v8, v5, vcc
	v_add3_u32 v7, v7, v10, v9
	buffer_store_dword v4, off, s[36:39], 0 offset:12 ; 4-byte Folded Spill
	v_lshlrev_b64 v[4:5], 1, v[6:7]
	v_mov_b32_e32 v6, s17
	v_add_co_u32_e32 v7, vcc, s16, v4
	v_addc_co_u32_e32 v6, vcc, v6, v5, vcc
	buffer_store_dword v6, off, s[36:39], 0 offset:24 ; 4-byte Folded Spill
	v_add_co_u32_e32 v6, vcc, 14, v2
	buffer_store_dword v7, off, s[36:39], 0 offset:16 ; 4-byte Folded Spill
	v_addc_co_u32_e32 v7, vcc, 0, v3, vcc
	v_mul_lo_u32 v9, s15, v6
	v_mul_lo_u32 v10, s14, v7
	v_mad_u64_u32 v[6:7], s[2:3], s14, v6, 0
	v_add_co_u32_e32 v4, vcc, s18, v4
	buffer_store_dword v4, off, s[36:39], 0 offset:32 ; 4-byte Folded Spill
	v_addc_co_u32_e32 v4, vcc, v8, v5, vcc
	v_add3_u32 v7, v7, v10, v9
	buffer_store_dword v4, off, s[36:39], 0 offset:40 ; 4-byte Folded Spill
	v_lshlrev_b64 v[4:5], 1, v[6:7]
	v_mov_b32_e32 v6, s17
	v_add_co_u32_e32 v7, vcc, s16, v4
	v_addc_co_u32_e32 v6, vcc, v6, v5, vcc
	buffer_store_dword v6, off, s[36:39], 0 offset:56 ; 4-byte Folded Spill
	v_add_co_u32_e32 v6, vcc, 13, v2
	buffer_store_dword v7, off, s[36:39], 0 offset:48 ; 4-byte Folded Spill
	;; [unrolled: 16-line block ×9, first 2 shown]
	v_addc_co_u32_e32 v7, vcc, 0, v3, vcc
	v_mul_lo_u32 v9, s15, v6
	v_mul_lo_u32 v10, s14, v7
	v_mad_u64_u32 v[6:7], s[2:3], s14, v6, 0
	v_add_co_u32_e32 v4, vcc, s18, v4
	buffer_store_dword v4, off, s[36:39], 0 offset:200 ; 4-byte Folded Spill
	v_addc_co_u32_e32 v4, vcc, v8, v5, vcc
	v_add3_u32 v7, v7, v10, v9
	buffer_store_dword v4, off, s[36:39], 0 offset:204 ; 4-byte Folded Spill
	v_lshlrev_b64 v[4:5], 1, v[6:7]
	v_mov_b32_e32 v6, s17
	v_add_co_u32_e32 v61, vcc, s16, v4
	v_addc_co_u32_e32 v62, vcc, v6, v5, vcc
	v_add_co_u32_e32 v6, vcc, 5, v2
	v_addc_co_u32_e32 v7, vcc, 0, v3, vcc
	v_mul_lo_u32 v9, s15, v6
	v_mul_lo_u32 v10, s14, v7
	v_mad_u64_u32 v[6:7], s[2:3], s14, v6, 0
	v_add_co_u32_e32 v63, vcc, s18, v4
	v_add3_u32 v7, v7, v10, v9
	v_addc_co_u32_e32 v19, vcc, v8, v5, vcc
	v_lshlrev_b64 v[4:5], 1, v[6:7]
	v_mov_b32_e32 v6, s17
	v_add_co_u32_e32 v20, vcc, s16, v4
	v_addc_co_u32_e32 v21, vcc, v6, v5, vcc
	v_mov_b32_e32 v6, s19
	v_add_co_u32_e32 v22, vcc, s18, v4
	v_addc_co_u32_e32 v23, vcc, v6, v5, vcc
	v_add_co_u32_e32 v4, vcc, 4, v2
	v_addc_co_u32_e32 v5, vcc, 0, v3, vcc
	v_mul_lo_u32 v6, s15, v4
	v_mul_lo_u32 v7, s14, v5
	v_mad_u64_u32 v[4:5], s[2:3], s14, v4, 0
	v_add_co_u32_e32 v0, vcc, s14, v0
	v_add3_u32 v5, v5, v7, v6
	v_lshlrev_b64 v[4:5], 1, v[4:5]
	v_mov_b32_e32 v6, s15
	v_addc_co_u32_e32 v1, vcc, v1, v6, vcc
	v_mov_b32_e32 v6, s17
	v_add_co_u32_e32 v24, vcc, s16, v4
	v_addc_co_u32_e32 v25, vcc, v6, v5, vcc
	v_mov_b32_e32 v6, s19
	v_add_co_u32_e32 v26, vcc, s18, v4
	v_addc_co_u32_e32 v27, vcc, v6, v5, vcc
	v_add_co_u32_e32 v4, vcc, 3, v2
	v_addc_co_u32_e32 v5, vcc, 0, v3, vcc
	v_mul_lo_u32 v6, s14, v5
	v_mul_lo_u32 v7, s15, v4
	v_mad_u64_u32 v[4:5], s[2:3], s14, v4, 0
	v_lshlrev_b64 v[0:1], 1, v[0:1]
	v_add3_u32 v5, v5, v6, v7
	v_lshlrev_b64 v[4:5], 1, v[4:5]
	v_mov_b32_e32 v6, s17
	v_add_co_u32_e32 v28, vcc, s16, v4
	v_addc_co_u32_e32 v29, vcc, v6, v5, vcc
	v_mov_b32_e32 v6, s19
	v_add_co_u32_e32 v30, vcc, s18, v4
	v_addc_co_u32_e32 v31, vcc, v6, v5, vcc
	v_add_co_u32_e32 v2, vcc, 2, v2
	v_addc_co_u32_e32 v3, vcc, 0, v3, vcc
	v_mul_lo_u32 v4, s14, v3
	v_mul_lo_u32 v5, s15, v2
	v_mad_u64_u32 v[2:3], s[2:3], s14, v2, 0
	v_add3_u32 v3, v3, v4, v5
	v_lshlrev_b64 v[2:3], 1, v[2:3]
	v_mov_b32_e32 v4, s17
	v_add_co_u32_e32 v32, vcc, s16, v2
	v_addc_co_u32_e32 v33, vcc, v4, v3, vcc
	v_mov_b32_e32 v4, s19
	v_add_co_u32_e32 v34, vcc, s18, v2
	v_addc_co_u32_e32 v35, vcc, v4, v3, vcc
	;; [unrolled: 3-line block ×4, first 2 shown]
	v_mov_b32_e32 v2, 0
	v_mbcnt_lo_u32_b32 v3, -1, 0
	v_add_u32_e32 v0, s33, v42
	v_mov_b32_e32 v1, v2
	v_mbcnt_hi_u32_b32 v3, -1, v3
	v_cmp_gt_i64_e64 s[2:3], s[14:15], v[0:1]
	v_lshlrev_b64 v[0:1], 1, v[0:1]
	v_lshlrev_b32_e32 v3, 2, v3
	v_and_b32_e32 v41, 0x100, v3
	v_mov_b32_e32 v42, 0
.LBB197_3:                              ; =>This Inner Loop Header: Depth=1
	v_mov_b32_e32 v3, s12
	v_mov_b32_e32 v4, s13
	v_cmp_ge_i64_e32 vcc, s[26:27], v[3:4]
	v_mov_b32_e32 v3, s27
	v_add_co_u32_e64 v43, s[8:9], s26, v59
	v_addc_co_u32_e64 v44, s[8:9], 0, v3, s[8:9]
	s_mov_b64 s[8:9], -1
	s_and_b64 vcc, exec, vcc
                                        ; implicit-def: $vgpr3_vgpr4_vgpr5_vgpr6_vgpr7_vgpr8_vgpr9_vgpr10_vgpr11_vgpr12_vgpr13_vgpr14_vgpr15_vgpr16_vgpr17_vgpr18
                                        ; implicit-def: $vgpr36
                                        ; implicit-def: $vgpr46
                                        ; implicit-def: $vgpr3
	s_cbranch_vccz .LBB197_41
; %bb.4:                                ;   in Loop: Header=BB197_3 Depth=1
	s_load_dword s8, s[22:23], 0xc
	buffer_load_dword v3, off, s[36:39], 0 offset:228 ; 4-byte Folded Reload
	buffer_load_dword v4, off, s[36:39], 0 offset:208 ; 4-byte Folded Reload
	v_mov_b32_e32 v36, 0
	v_mov_b32_e32 v45, 0
	s_waitcnt lgkmcnt(0)
	s_and_b32 s8, s8, 0xffff
	s_waitcnt vmcnt(0)
	v_mad_u32_u24 v3, v4, s8, v3
	v_and_b32_e32 v3, 63, v3
	v_cmp_gt_u32_e32 vcc, 16, v3
	s_and_saveexec_b64 s[8:9], vcc
	s_cbranch_execz .LBB197_8
; %bb.5:                                ;   in Loop: Header=BB197_3 Depth=1
	v_add_co_u32_e32 v3, vcc, v43, v3
	v_addc_co_u32_e32 v4, vcc, 0, v44, vcc
	v_add_co_u32_e32 v3, vcc, 0xffffff01, v3
	v_addc_co_u32_e32 v4, vcc, -1, v4, vcc
	v_cmp_gt_i64_e32 vcc, s[12:13], v[3:4]
	v_mov_b32_e32 v45, 0
	s_and_saveexec_b64 s[30:31], vcc
	s_cbranch_execz .LBB197_7
; %bb.6:                                ;   in Loop: Header=BB197_3 Depth=1
	v_lshlrev_b64 v[3:4], 2, v[3:4]
	v_mov_b32_e32 v5, s11
	v_add_co_u32_e32 v3, vcc, s10, v3
	v_addc_co_u32_e32 v4, vcc, v5, v4, vcc
	global_load_dword v45, v[3:4], off
.LBB197_7:                              ;   in Loop: Header=BB197_3 Depth=1
	s_or_b64 exec, exec, s[30:31]
.LBB197_8:                              ;   in Loop: Header=BB197_3 Depth=1
	s_or_b64 exec, exec, s[8:9]
	v_add_co_u32_e32 v3, vcc, 0xffffff01, v43
	v_addc_co_u32_e32 v4, vcc, -1, v44, vcc
	v_cmp_gt_i64_e32 vcc, s[12:13], v[3:4]
	v_mov_b32_e32 v3, v2
	v_mov_b32_e32 v4, v2
	;; [unrolled: 1-line block ×31, first 2 shown]
	s_and_b64 s[30:31], s[2:3], vcc
	s_and_saveexec_b64 s[8:9], s[30:31]
	s_cbranch_execz .LBB197_10
; %bb.9:                                ;   in Loop: Header=BB197_3 Depth=1
	buffer_load_dword v3, off, s[36:39], 0  ; 4-byte Folded Reload
	buffer_load_dword v4, off, s[36:39], 0 offset:4 ; 4-byte Folded Reload
	v_mov_b32_e32 v5, v2
	v_mov_b32_e32 v6, v2
	;; [unrolled: 1-line block ×14, first 2 shown]
	s_waitcnt vmcnt(1)
	v_add_co_u32_e32 v3, vcc, v3, v0
	s_waitcnt vmcnt(0)
	v_addc_co_u32_e32 v4, vcc, v4, v1, vcc
	global_load_ushort v36, v[3:4], off
	s_nop 0
	buffer_load_dword v3, off, s[36:39], 0 offset:8 ; 4-byte Folded Reload
	buffer_load_dword v4, off, s[36:39], 0 offset:12 ; 4-byte Folded Reload
	s_waitcnt vmcnt(1)
	v_add_co_u32_e32 v3, vcc, v3, v0
	s_waitcnt vmcnt(0)
	v_addc_co_u32_e32 v4, vcc, v4, v1, vcc
	global_load_ushort v46, v[3:4], off
	v_mov_b32_e32 v4, v2
	v_lshlrev_b32_e32 v3, 16, v36
	s_waitcnt vmcnt(0)
	v_lshlrev_b32_e32 v36, 16, v46
.LBB197_10:                             ;   in Loop: Header=BB197_3 Depth=1
	s_or_b64 exec, exec, s[8:9]
	v_add_co_u32_e32 v46, vcc, 0xffffff02, v43
	v_addc_co_u32_e32 v47, vcc, -1, v44, vcc
	v_cmp_gt_i64_e32 vcc, s[12:13], v[46:47]
	v_mov_b32_e32 v46, 0
	s_and_b64 s[30:31], s[2:3], vcc
	buffer_store_dword v46, off, s[36:39], 0 offset:212 ; 4-byte Folded Spill
	v_mov_b32_e32 v46, 0
	buffer_store_dword v46, off, s[36:39], 0 offset:216 ; 4-byte Folded Spill
	s_and_saveexec_b64 s[8:9], s[30:31]
	s_cbranch_execz .LBB197_12
; %bb.11:                               ;   in Loop: Header=BB197_3 Depth=1
	v_add_co_u32_e32 v46, vcc, v37, v0
	v_addc_co_u32_e32 v47, vcc, v38, v1, vcc
	global_load_ushort v4, v[46:47], off
	v_add_co_u32_e32 v46, vcc, v39, v0
	v_addc_co_u32_e32 v47, vcc, v40, v1, vcc
	global_load_ushort v46, v[46:47], off
	s_waitcnt vmcnt(1)
	v_lshlrev_b32_e32 v4, 16, v4
	s_waitcnt vmcnt(0)
	v_lshlrev_b32_e32 v46, 16, v46
	buffer_store_dword v46, off, s[36:39], 0 offset:216 ; 4-byte Folded Spill
.LBB197_12:                             ;   in Loop: Header=BB197_3 Depth=1
	s_or_b64 exec, exec, s[8:9]
	v_add_co_u32_e32 v46, vcc, 0xffffff03, v43
	v_addc_co_u32_e32 v47, vcc, -1, v44, vcc
	v_cmp_gt_i64_e32 vcc, s[12:13], v[46:47]
	s_and_b64 s[30:31], s[2:3], vcc
	s_and_saveexec_b64 s[8:9], s[30:31]
	s_cbranch_execz .LBB197_14
; %bb.13:                               ;   in Loop: Header=BB197_3 Depth=1
	v_add_co_u32_e32 v46, vcc, v32, v0
	v_addc_co_u32_e32 v47, vcc, v33, v1, vcc
	global_load_ushort v5, v[46:47], off
	v_add_co_u32_e32 v46, vcc, v34, v0
	v_addc_co_u32_e32 v47, vcc, v35, v1, vcc
	global_load_ushort v46, v[46:47], off
	s_waitcnt vmcnt(1)
	v_lshlrev_b32_e32 v5, 16, v5
	s_waitcnt vmcnt(0)
	v_lshlrev_b32_e32 v46, 16, v46
	buffer_store_dword v46, off, s[36:39], 0 offset:212 ; 4-byte Folded Spill
.LBB197_14:                             ;   in Loop: Header=BB197_3 Depth=1
	s_or_b64 exec, exec, s[8:9]
	v_add_co_u32_e32 v46, vcc, 0xffffff04, v43
	v_addc_co_u32_e32 v47, vcc, -1, v44, vcc
	v_cmp_gt_i64_e32 vcc, s[12:13], v[46:47]
	v_mov_b32_e32 v46, 0
	s_and_b64 s[30:31], s[2:3], vcc
	buffer_store_dword v46, off, s[36:39], 0 offset:220 ; 4-byte Folded Spill
	v_mov_b32_e32 v46, 0
	buffer_store_dword v46, off, s[36:39], 0 offset:224 ; 4-byte Folded Spill
	s_and_saveexec_b64 s[8:9], s[30:31]
	s_cbranch_execz .LBB197_16
; %bb.15:                               ;   in Loop: Header=BB197_3 Depth=1
	v_add_co_u32_e32 v46, vcc, v28, v0
	v_addc_co_u32_e32 v47, vcc, v29, v1, vcc
	global_load_ushort v6, v[46:47], off
	v_add_co_u32_e32 v46, vcc, v30, v0
	v_addc_co_u32_e32 v47, vcc, v31, v1, vcc
	global_load_ushort v46, v[46:47], off
	s_waitcnt vmcnt(1)
	v_lshlrev_b32_e32 v6, 16, v6
	s_waitcnt vmcnt(0)
	v_lshlrev_b32_e32 v46, 16, v46
	buffer_store_dword v46, off, s[36:39], 0 offset:224 ; 4-byte Folded Spill
.LBB197_16:                             ;   in Loop: Header=BB197_3 Depth=1
	s_or_b64 exec, exec, s[8:9]
	v_add_co_u32_e32 v46, vcc, 0xffffff05, v43
	v_addc_co_u32_e32 v47, vcc, -1, v44, vcc
	v_cmp_gt_i64_e32 vcc, s[12:13], v[46:47]
	s_and_b64 s[30:31], s[2:3], vcc
	s_and_saveexec_b64 s[8:9], s[30:31]
	s_cbranch_execz .LBB197_18
; %bb.17:                               ;   in Loop: Header=BB197_3 Depth=1
	v_add_co_u32_e32 v46, vcc, v24, v0
	v_addc_co_u32_e32 v47, vcc, v25, v1, vcc
	global_load_ushort v7, v[46:47], off
	v_add_co_u32_e32 v46, vcc, v26, v0
	v_addc_co_u32_e32 v47, vcc, v27, v1, vcc
	global_load_ushort v46, v[46:47], off
	s_waitcnt vmcnt(1)
	v_lshlrev_b32_e32 v7, 16, v7
	s_waitcnt vmcnt(0)
	v_lshlrev_b32_e32 v46, 16, v46
	buffer_store_dword v46, off, s[36:39], 0 offset:220 ; 4-byte Folded Spill
.LBB197_18:                             ;   in Loop: Header=BB197_3 Depth=1
	s_or_b64 exec, exec, s[8:9]
	v_add_co_u32_e32 v46, vcc, 0xffffff06, v43
	v_addc_co_u32_e32 v47, vcc, -1, v44, vcc
	v_cmp_gt_i64_e32 vcc, s[12:13], v[46:47]
	v_mov_b32_e32 v47, 0
	s_and_b64 s[30:31], s[2:3], vcc
	v_mov_b32_e32 v48, 0
	s_and_saveexec_b64 s[8:9], s[30:31]
	s_cbranch_execz .LBB197_20
; %bb.19:                               ;   in Loop: Header=BB197_3 Depth=1
	v_add_co_u32_e32 v48, vcc, v20, v0
	v_addc_co_u32_e32 v49, vcc, v21, v1, vcc
	global_load_ushort v8, v[48:49], off
	v_add_co_u32_e32 v48, vcc, v22, v0
	v_addc_co_u32_e32 v49, vcc, v23, v1, vcc
	global_load_ushort v46, v[48:49], off
	s_waitcnt vmcnt(1)
	v_lshlrev_b32_e32 v8, 16, v8
	s_waitcnt vmcnt(0)
	v_lshlrev_b32_e32 v48, 16, v46
.LBB197_20:                             ;   in Loop: Header=BB197_3 Depth=1
	s_or_b64 exec, exec, s[8:9]
	v_add_co_u32_e32 v49, vcc, 0xffffff07, v43
	v_addc_co_u32_e32 v50, vcc, -1, v44, vcc
	v_cmp_gt_i64_e32 vcc, s[12:13], v[49:50]
	s_and_b64 s[30:31], s[2:3], vcc
	s_and_saveexec_b64 s[8:9], s[30:31]
	s_cbranch_execz .LBB197_22
; %bb.21:                               ;   in Loop: Header=BB197_3 Depth=1
	v_add_co_u32_e32 v46, vcc, v61, v0
	v_addc_co_u32_e32 v47, vcc, v62, v1, vcc
	global_load_ushort v9, v[46:47], off
	v_add_co_u32_e32 v46, vcc, v63, v0
	v_addc_co_u32_e32 v47, vcc, v19, v1, vcc
	global_load_ushort v46, v[46:47], off
	s_waitcnt vmcnt(1)
	v_lshlrev_b32_e32 v9, 16, v9
	s_waitcnt vmcnt(0)
	v_lshlrev_b32_e32 v47, 16, v46
.LBB197_22:                             ;   in Loop: Header=BB197_3 Depth=1
	s_or_b64 exec, exec, s[8:9]
	v_add_co_u32_e32 v49, vcc, 0xffffff08, v43
	v_addc_co_u32_e32 v50, vcc, -1, v44, vcc
	v_cmp_gt_i64_e32 vcc, s[12:13], v[49:50]
	v_mov_b32_e32 v49, 0
	s_and_b64 s[30:31], s[2:3], vcc
	v_mov_b32_e32 v50, 0
	s_and_saveexec_b64 s[8:9], s[30:31]
	s_cbranch_execz .LBB197_24
; %bb.23:                               ;   in Loop: Header=BB197_3 Depth=1
	buffer_load_dword v10, off, s[36:39], 0 offset:192 ; 4-byte Folded Reload
	buffer_load_dword v46, off, s[36:39], 0 offset:200 ; 4-byte Folded Reload
	s_waitcnt vmcnt(1)
	v_add_co_u32_e32 v50, vcc, v10, v0
	buffer_load_dword v10, off, s[36:39], 0 offset:196 ; 4-byte Folded Reload
	s_waitcnt vmcnt(0)
	v_addc_co_u32_e32 v51, vcc, v10, v1, vcc
	global_load_ushort v10, v[50:51], off
	v_add_co_u32_e32 v50, vcc, v46, v0
	buffer_load_dword v46, off, s[36:39], 0 offset:204 ; 4-byte Folded Reload
	s_waitcnt vmcnt(1)
	v_lshlrev_b32_e32 v10, 16, v10
	s_waitcnt vmcnt(0)
	v_addc_co_u32_e32 v51, vcc, v46, v1, vcc
	global_load_ushort v46, v[50:51], off
	s_waitcnt vmcnt(0)
	v_lshlrev_b32_e32 v50, 16, v46
.LBB197_24:                             ;   in Loop: Header=BB197_3 Depth=1
	s_or_b64 exec, exec, s[8:9]
	v_add_co_u32_e32 v51, vcc, 0xffffff09, v43
	v_addc_co_u32_e32 v52, vcc, -1, v44, vcc
	v_cmp_gt_i64_e32 vcc, s[12:13], v[51:52]
	s_and_b64 s[30:31], s[2:3], vcc
	s_and_saveexec_b64 s[8:9], s[30:31]
	s_cbranch_execz .LBB197_26
; %bb.25:                               ;   in Loop: Header=BB197_3 Depth=1
	buffer_load_dword v11, off, s[36:39], 0 offset:176 ; 4-byte Folded Reload
	buffer_load_dword v46, off, s[36:39], 0 offset:184 ; 4-byte Folded Reload
	s_waitcnt vmcnt(1)
	v_add_co_u32_e32 v51, vcc, v11, v0
	buffer_load_dword v11, off, s[36:39], 0 offset:180 ; 4-byte Folded Reload
	s_waitcnt vmcnt(0)
	v_addc_co_u32_e32 v52, vcc, v11, v1, vcc
	global_load_ushort v11, v[51:52], off
	v_add_co_u32_e32 v51, vcc, v46, v0
	buffer_load_dword v46, off, s[36:39], 0 offset:188 ; 4-byte Folded Reload
	s_waitcnt vmcnt(1)
	v_lshlrev_b32_e32 v11, 16, v11
	s_waitcnt vmcnt(0)
	v_addc_co_u32_e32 v52, vcc, v46, v1, vcc
	global_load_ushort v46, v[51:52], off
	s_waitcnt vmcnt(0)
	v_lshlrev_b32_e32 v49, 16, v46
.LBB197_26:                             ;   in Loop: Header=BB197_3 Depth=1
	s_or_b64 exec, exec, s[8:9]
	v_add_co_u32_e32 v51, vcc, 0xffffff0a, v43
	v_addc_co_u32_e32 v52, vcc, -1, v44, vcc
	v_cmp_gt_i64_e32 vcc, s[12:13], v[51:52]
	v_mov_b32_e32 v51, 0
	s_and_b64 s[30:31], s[2:3], vcc
	v_mov_b32_e32 v52, 0
	s_and_saveexec_b64 s[8:9], s[30:31]
	s_cbranch_execz .LBB197_28
; %bb.27:                               ;   in Loop: Header=BB197_3 Depth=1
	buffer_load_dword v12, off, s[36:39], 0 offset:160 ; 4-byte Folded Reload
	buffer_load_dword v46, off, s[36:39], 0 offset:168 ; 4-byte Folded Reload
	s_waitcnt vmcnt(1)
	v_add_co_u32_e32 v52, vcc, v12, v0
	buffer_load_dword v12, off, s[36:39], 0 offset:164 ; 4-byte Folded Reload
	s_waitcnt vmcnt(0)
	v_addc_co_u32_e32 v53, vcc, v12, v1, vcc
	global_load_ushort v12, v[52:53], off
	v_add_co_u32_e32 v52, vcc, v46, v0
	buffer_load_dword v46, off, s[36:39], 0 offset:172 ; 4-byte Folded Reload
	s_waitcnt vmcnt(1)
	v_lshlrev_b32_e32 v12, 16, v12
	s_waitcnt vmcnt(0)
	v_addc_co_u32_e32 v53, vcc, v46, v1, vcc
	global_load_ushort v46, v[52:53], off
	s_waitcnt vmcnt(0)
	v_lshlrev_b32_e32 v52, 16, v46
.LBB197_28:                             ;   in Loop: Header=BB197_3 Depth=1
	s_or_b64 exec, exec, s[8:9]
	v_add_co_u32_e32 v53, vcc, 0xffffff0b, v43
	v_addc_co_u32_e32 v54, vcc, -1, v44, vcc
	v_cmp_gt_i64_e32 vcc, s[12:13], v[53:54]
	s_and_b64 s[30:31], s[2:3], vcc
	s_and_saveexec_b64 s[8:9], s[30:31]
	s_cbranch_execz .LBB197_30
; %bb.29:                               ;   in Loop: Header=BB197_3 Depth=1
	buffer_load_dword v13, off, s[36:39], 0 offset:144 ; 4-byte Folded Reload
	buffer_load_dword v46, off, s[36:39], 0 offset:152 ; 4-byte Folded Reload
	s_waitcnt vmcnt(1)
	v_add_co_u32_e32 v53, vcc, v13, v0
	buffer_load_dword v13, off, s[36:39], 0 offset:148 ; 4-byte Folded Reload
	s_waitcnt vmcnt(0)
	v_addc_co_u32_e32 v54, vcc, v13, v1, vcc
	global_load_ushort v13, v[53:54], off
	v_add_co_u32_e32 v53, vcc, v46, v0
	buffer_load_dword v46, off, s[36:39], 0 offset:156 ; 4-byte Folded Reload
	s_waitcnt vmcnt(1)
	v_lshlrev_b32_e32 v13, 16, v13
	s_waitcnt vmcnt(0)
	v_addc_co_u32_e32 v54, vcc, v46, v1, vcc
	global_load_ushort v46, v[53:54], off
	s_waitcnt vmcnt(0)
	v_lshlrev_b32_e32 v51, 16, v46
.LBB197_30:                             ;   in Loop: Header=BB197_3 Depth=1
	;; [unrolled: 54-line block ×4, first 2 shown]
	s_or_b64 exec, exec, s[8:9]
	v_add_co_u32_e32 v57, vcc, 0xffffff10, v43
	v_addc_co_u32_e32 v58, vcc, -1, v44, vcc
	v_cmp_gt_i64_e32 vcc, s[12:13], v[57:58]
	v_mov_b32_e32 v46, 0
	s_and_b64 s[30:31], s[2:3], vcc
	s_and_saveexec_b64 s[8:9], s[30:31]
	s_cbranch_execz .LBB197_40
; %bb.39:                               ;   in Loop: Header=BB197_3 Depth=1
	buffer_load_dword v18, off, s[36:39], 0 offset:16 ; 4-byte Folded Reload
	buffer_load_dword v46, off, s[36:39], 0 offset:32 ; 4-byte Folded Reload
	s_waitcnt vmcnt(1)
	v_add_co_u32_e32 v57, vcc, v18, v0
	buffer_load_dword v18, off, s[36:39], 0 offset:24 ; 4-byte Folded Reload
	s_waitcnt vmcnt(0)
	v_addc_co_u32_e32 v58, vcc, v18, v1, vcc
	global_load_ushort v18, v[57:58], off
	v_add_co_u32_e32 v57, vcc, v46, v0
	buffer_load_dword v46, off, s[36:39], 0 offset:40 ; 4-byte Folded Reload
	s_waitcnt vmcnt(1)
	v_lshlrev_b32_e32 v18, 16, v18
	s_waitcnt vmcnt(0)
	v_addc_co_u32_e32 v58, vcc, v46, v1, vcc
	global_load_ushort v46, v[57:58], off
	s_waitcnt vmcnt(0)
	v_lshlrev_b32_e32 v46, 16, v46
.LBB197_40:                             ;   in Loop: Header=BB197_3 Depth=1
	s_or_b64 exec, exec, s[8:9]
	s_waitcnt vmcnt(4)
	ds_bpermute_b32 v57, v41, v45
	v_mul_f32_e32 v3, v36, v3
	s_mov_b64 s[8:9], 0
	s_waitcnt lgkmcnt(0)
	v_fma_f32 v36, v3, v57, v42
	buffer_load_dword v57, off, s[36:39], 0 offset:216 ; 4-byte Folded Reload
	ds_bpermute_b32 v3, v41, v45 offset:4
	s_waitcnt vmcnt(0)
	v_mul_f32_e32 v4, v57, v4
	s_waitcnt lgkmcnt(0)
	v_fmac_f32_e32 v36, v4, v3
	buffer_load_dword v4, off, s[36:39], 0 offset:212 ; 4-byte Folded Reload
	ds_bpermute_b32 v3, v41, v45 offset:8
	s_waitcnt vmcnt(0)
	v_mul_f32_e32 v4, v4, v5
	s_waitcnt lgkmcnt(0)
	v_fmac_f32_e32 v36, v4, v3
	;; [unrolled: 6-line block ×4, first 2 shown]
	ds_bpermute_b32 v3, v41, v45 offset:20
	v_mul_f32_e32 v4, v48, v8
	s_waitcnt lgkmcnt(0)
	v_fmac_f32_e32 v36, v4, v3
	ds_bpermute_b32 v3, v41, v45 offset:24
	v_mul_f32_e32 v4, v47, v9
	s_waitcnt lgkmcnt(0)
	v_fmac_f32_e32 v36, v4, v3
	;; [unrolled: 4-line block ×10, first 2 shown]
	ds_bpermute_b32 v3, v41, v45 offset:60
.LBB197_41:                             ;   in Loop: Header=BB197_3 Depth=1
	s_and_b64 vcc, exec, s[8:9]
	s_cbranch_vccz .LBB197_77
; %bb.42:                               ;   in Loop: Header=BB197_3 Depth=1
	s_load_dword s8, s[22:23], 0x0
	v_mov_b32_e32 v60, 0
	v_mov_b32_e32 v36, 0
	s_waitcnt lgkmcnt(0)
	s_cmp_lt_u32 s6, s8
	s_cselect_b32 s8, 12, 18
	s_add_u32 s8, s22, s8
	s_addc_u32 s9, s23, 0
	global_load_ushort v3, v2, s[8:9]
	buffer_load_dword v4, off, s[36:39], 0 offset:228 ; 4-byte Folded Reload
	buffer_load_dword v5, off, s[36:39], 0 offset:208 ; 4-byte Folded Reload
	s_waitcnt vmcnt(0)
	v_mad_u32_u24 v3, v5, v3, v4
	v_and_b32_e32 v3, 63, v3
	v_cmp_gt_u32_e32 vcc, 16, v3
	s_and_saveexec_b64 s[8:9], vcc
	s_cbranch_execz .LBB197_46
; %bb.43:                               ;   in Loop: Header=BB197_3 Depth=1
	v_add_co_u32_e32 v3, vcc, v43, v3
	v_addc_co_u32_e32 v4, vcc, 0, v44, vcc
	v_add_co_u32_e32 v3, vcc, 0xffffff01, v3
	v_addc_co_u32_e32 v4, vcc, -1, v4, vcc
	v_cmp_gt_i64_e32 vcc, s[12:13], v[3:4]
	v_mov_b32_e32 v36, 0
	s_and_saveexec_b64 s[30:31], vcc
	s_cbranch_execz .LBB197_45
; %bb.44:                               ;   in Loop: Header=BB197_3 Depth=1
	v_lshlrev_b64 v[3:4], 2, v[3:4]
	v_mov_b32_e32 v5, s11
	v_add_co_u32_e32 v3, vcc, s10, v3
	v_addc_co_u32_e32 v4, vcc, v5, v4, vcc
	global_load_dword v36, v[3:4], off
.LBB197_45:                             ;   in Loop: Header=BB197_3 Depth=1
	s_or_b64 exec, exec, s[30:31]
.LBB197_46:                             ;   in Loop: Header=BB197_3 Depth=1
	s_or_b64 exec, exec, s[8:9]
	v_mov_b32_e32 v3, v2
	v_mov_b32_e32 v4, v2
	;; [unrolled: 1-line block ×31, first 2 shown]
	s_and_saveexec_b64 s[8:9], s[2:3]
	s_cbranch_execz .LBB197_48
; %bb.47:                               ;   in Loop: Header=BB197_3 Depth=1
	buffer_load_dword v3, off, s[36:39], 0  ; 4-byte Folded Reload
	buffer_load_dword v4, off, s[36:39], 0 offset:4 ; 4-byte Folded Reload
	v_mov_b32_e32 v5, v2
	v_mov_b32_e32 v6, v2
	;; [unrolled: 1-line block ×14, first 2 shown]
	s_waitcnt vmcnt(1)
	v_add_co_u32_e32 v3, vcc, v3, v0
	s_waitcnt vmcnt(0)
	v_addc_co_u32_e32 v4, vcc, v4, v1, vcc
	global_load_ushort v43, v[3:4], off
	s_nop 0
	buffer_load_dword v3, off, s[36:39], 0 offset:8 ; 4-byte Folded Reload
	buffer_load_dword v4, off, s[36:39], 0 offset:12 ; 4-byte Folded Reload
	s_waitcnt vmcnt(1)
	v_add_co_u32_e32 v3, vcc, v3, v0
	s_waitcnt vmcnt(0)
	v_addc_co_u32_e32 v4, vcc, v4, v1, vcc
	global_load_ushort v44, v[3:4], off
	v_mov_b32_e32 v4, v2
	v_lshlrev_b32_e32 v3, 16, v43
	s_waitcnt vmcnt(0)
	v_lshlrev_b32_e32 v60, 16, v44
.LBB197_48:                             ;   in Loop: Header=BB197_3 Depth=1
	s_or_b64 exec, exec, s[8:9]
	v_mov_b32_e32 v43, 0
	v_mov_b32_e32 v44, 0
	s_and_saveexec_b64 s[8:9], s[2:3]
	s_cbranch_execz .LBB197_50
; %bb.49:                               ;   in Loop: Header=BB197_3 Depth=1
	v_add_co_u32_e32 v44, vcc, v37, v0
	v_addc_co_u32_e32 v45, vcc, v38, v1, vcc
	global_load_ushort v4, v[44:45], off
	v_add_co_u32_e32 v44, vcc, v39, v0
	v_addc_co_u32_e32 v45, vcc, v40, v1, vcc
	global_load_ushort v44, v[44:45], off
	s_waitcnt vmcnt(1)
	v_lshlrev_b32_e32 v4, 16, v4
	s_waitcnt vmcnt(0)
	v_lshlrev_b32_e32 v44, 16, v44
.LBB197_50:                             ;   in Loop: Header=BB197_3 Depth=1
	s_or_b64 exec, exec, s[8:9]
	s_and_saveexec_b64 s[8:9], s[2:3]
	s_cbranch_execz .LBB197_52
; %bb.51:                               ;   in Loop: Header=BB197_3 Depth=1
	v_add_co_u32_e32 v45, vcc, v32, v0
	v_addc_co_u32_e32 v46, vcc, v33, v1, vcc
	global_load_ushort v5, v[45:46], off
	v_add_co_u32_e32 v45, vcc, v34, v0
	v_addc_co_u32_e32 v46, vcc, v35, v1, vcc
	global_load_ushort v43, v[45:46], off
	s_waitcnt vmcnt(1)
	v_lshlrev_b32_e32 v5, 16, v5
	s_waitcnt vmcnt(0)
	v_lshlrev_b32_e32 v43, 16, v43
.LBB197_52:                             ;   in Loop: Header=BB197_3 Depth=1
	s_or_b64 exec, exec, s[8:9]
	v_mov_b32_e32 v47, 0
	v_mov_b32_e32 v48, 0
	s_and_saveexec_b64 s[8:9], s[2:3]
	s_cbranch_execz .LBB197_54
; %bb.53:                               ;   in Loop: Header=BB197_3 Depth=1
	v_add_co_u32_e32 v45, vcc, v28, v0
	v_addc_co_u32_e32 v46, vcc, v29, v1, vcc
	global_load_ushort v6, v[45:46], off
	v_add_co_u32_e32 v45, vcc, v30, v0
	v_addc_co_u32_e32 v46, vcc, v31, v1, vcc
	global_load_ushort v45, v[45:46], off
	s_waitcnt vmcnt(1)
	v_lshlrev_b32_e32 v6, 16, v6
	s_waitcnt vmcnt(0)
	v_lshlrev_b32_e32 v48, 16, v45
.LBB197_54:                             ;   in Loop: Header=BB197_3 Depth=1
	s_or_b64 exec, exec, s[8:9]
	s_and_saveexec_b64 s[8:9], s[2:3]
	s_cbranch_execz .LBB197_56
; %bb.55:                               ;   in Loop: Header=BB197_3 Depth=1
	v_add_co_u32_e32 v45, vcc, v24, v0
	v_addc_co_u32_e32 v46, vcc, v25, v1, vcc
	global_load_ushort v7, v[45:46], off
	v_add_co_u32_e32 v45, vcc, v26, v0
	v_addc_co_u32_e32 v46, vcc, v27, v1, vcc
	global_load_ushort v45, v[45:46], off
	s_waitcnt vmcnt(1)
	v_lshlrev_b32_e32 v7, 16, v7
	s_waitcnt vmcnt(0)
	v_lshlrev_b32_e32 v47, 16, v45
.LBB197_56:                             ;   in Loop: Header=BB197_3 Depth=1
	;; [unrolled: 32-line block ×3, first 2 shown]
	s_or_b64 exec, exec, s[8:9]
	v_mov_b32_e32 v51, 0
	v_mov_b32_e32 v52, 0
	s_and_saveexec_b64 s[8:9], s[2:3]
	s_cbranch_execz .LBB197_62
; %bb.61:                               ;   in Loop: Header=BB197_3 Depth=1
	buffer_load_dword v10, off, s[36:39], 0 offset:192 ; 4-byte Folded Reload
	s_waitcnt vmcnt(0)
	v_add_co_u32_e32 v45, vcc, v10, v0
	buffer_load_dword v10, off, s[36:39], 0 offset:196 ; 4-byte Folded Reload
	s_waitcnt vmcnt(0)
	v_addc_co_u32_e32 v46, vcc, v10, v1, vcc
	global_load_ushort v10, v[45:46], off
	s_waitcnt vmcnt(0)
	v_lshlrev_b32_e32 v10, 16, v10
	buffer_load_dword v45, off, s[36:39], 0 offset:200 ; 4-byte Folded Reload
	buffer_load_dword v46, off, s[36:39], 0 offset:204 ; 4-byte Folded Reload
	s_waitcnt vmcnt(1)
	v_add_co_u32_e32 v45, vcc, v45, v0
	s_waitcnt vmcnt(0)
	v_addc_co_u32_e32 v46, vcc, v46, v1, vcc
	global_load_ushort v45, v[45:46], off
	s_waitcnt vmcnt(0)
	v_lshlrev_b32_e32 v52, 16, v45
.LBB197_62:                             ;   in Loop: Header=BB197_3 Depth=1
	s_or_b64 exec, exec, s[8:9]
	s_and_saveexec_b64 s[8:9], s[2:3]
	s_cbranch_execz .LBB197_64
; %bb.63:                               ;   in Loop: Header=BB197_3 Depth=1
	buffer_load_dword v11, off, s[36:39], 0 offset:176 ; 4-byte Folded Reload
	s_waitcnt vmcnt(0)
	v_add_co_u32_e32 v45, vcc, v11, v0
	buffer_load_dword v11, off, s[36:39], 0 offset:180 ; 4-byte Folded Reload
	s_waitcnt vmcnt(0)
	v_addc_co_u32_e32 v46, vcc, v11, v1, vcc
	global_load_ushort v11, v[45:46], off
	s_waitcnt vmcnt(0)
	v_lshlrev_b32_e32 v11, 16, v11
	buffer_load_dword v45, off, s[36:39], 0 offset:184 ; 4-byte Folded Reload
	buffer_load_dword v46, off, s[36:39], 0 offset:188 ; 4-byte Folded Reload
	s_waitcnt vmcnt(1)
	v_add_co_u32_e32 v45, vcc, v45, v0
	s_waitcnt vmcnt(0)
	v_addc_co_u32_e32 v46, vcc, v46, v1, vcc
	global_load_ushort v45, v[45:46], off
	s_waitcnt vmcnt(0)
	v_lshlrev_b32_e32 v51, 16, v45
.LBB197_64:                             ;   in Loop: Header=BB197_3 Depth=1
	s_or_b64 exec, exec, s[8:9]
	v_mov_b32_e32 v53, 0
	v_mov_b32_e32 v54, 0
	s_and_saveexec_b64 s[8:9], s[2:3]
	s_cbranch_execz .LBB197_66
; %bb.65:                               ;   in Loop: Header=BB197_3 Depth=1
	buffer_load_dword v12, off, s[36:39], 0 offset:160 ; 4-byte Folded Reload
	s_waitcnt vmcnt(0)
	v_add_co_u32_e32 v45, vcc, v12, v0
	buffer_load_dword v12, off, s[36:39], 0 offset:164 ; 4-byte Folded Reload
	s_waitcnt vmcnt(0)
	v_addc_co_u32_e32 v46, vcc, v12, v1, vcc
	global_load_ushort v12, v[45:46], off
	s_waitcnt vmcnt(0)
	v_lshlrev_b32_e32 v12, 16, v12
	buffer_load_dword v45, off, s[36:39], 0 offset:168 ; 4-byte Folded Reload
	buffer_load_dword v46, off, s[36:39], 0 offset:172 ; 4-byte Folded Reload
	s_waitcnt vmcnt(1)
	v_add_co_u32_e32 v45, vcc, v45, v0
	s_waitcnt vmcnt(0)
	v_addc_co_u32_e32 v46, vcc, v46, v1, vcc
	global_load_ushort v45, v[45:46], off
	s_waitcnt vmcnt(0)
	v_lshlrev_b32_e32 v54, 16, v45
.LBB197_66:                             ;   in Loop: Header=BB197_3 Depth=1
	s_or_b64 exec, exec, s[8:9]
	s_and_saveexec_b64 s[8:9], s[2:3]
	s_cbranch_execz .LBB197_68
; %bb.67:                               ;   in Loop: Header=BB197_3 Depth=1
	buffer_load_dword v13, off, s[36:39], 0 offset:144 ; 4-byte Folded Reload
	s_waitcnt vmcnt(0)
	v_add_co_u32_e32 v45, vcc, v13, v0
	buffer_load_dword v13, off, s[36:39], 0 offset:148 ; 4-byte Folded Reload
	s_waitcnt vmcnt(0)
	v_addc_co_u32_e32 v46, vcc, v13, v1, vcc
	global_load_ushort v13, v[45:46], off
	s_waitcnt vmcnt(0)
	v_lshlrev_b32_e32 v13, 16, v13
	buffer_load_dword v45, off, s[36:39], 0 offset:152 ; 4-byte Folded Reload
	buffer_load_dword v46, off, s[36:39], 0 offset:156 ; 4-byte Folded Reload
	s_waitcnt vmcnt(1)
	v_add_co_u32_e32 v45, vcc, v45, v0
	s_waitcnt vmcnt(0)
	v_addc_co_u32_e32 v46, vcc, v46, v1, vcc
	global_load_ushort v45, v[45:46], off
	s_waitcnt vmcnt(0)
	v_lshlrev_b32_e32 v53, 16, v45
.LBB197_68:                             ;   in Loop: Header=BB197_3 Depth=1
	s_or_b64 exec, exec, s[8:9]
	v_mov_b32_e32 v45, 0
	v_mov_b32_e32 v55, 0
	s_and_saveexec_b64 s[8:9], s[2:3]
	s_cbranch_execz .LBB197_70
; %bb.69:                               ;   in Loop: Header=BB197_3 Depth=1
	buffer_load_dword v14, off, s[36:39], 0 offset:128 ; 4-byte Folded Reload
	buffer_load_dword v46, off, s[36:39], 0 offset:136 ; 4-byte Folded Reload
	s_waitcnt vmcnt(1)
	v_add_co_u32_e32 v55, vcc, v14, v0
	buffer_load_dword v14, off, s[36:39], 0 offset:132 ; 4-byte Folded Reload
	s_waitcnt vmcnt(0)
	v_addc_co_u32_e32 v56, vcc, v14, v1, vcc
	global_load_ushort v14, v[55:56], off
	v_add_co_u32_e32 v55, vcc, v46, v0
	buffer_load_dword v46, off, s[36:39], 0 offset:140 ; 4-byte Folded Reload
	s_waitcnt vmcnt(1)
	v_lshlrev_b32_e32 v14, 16, v14
	s_waitcnt vmcnt(0)
	v_addc_co_u32_e32 v56, vcc, v46, v1, vcc
	global_load_ushort v46, v[55:56], off
	s_waitcnt vmcnt(0)
	v_lshlrev_b32_e32 v55, 16, v46
.LBB197_70:                             ;   in Loop: Header=BB197_3 Depth=1
	s_or_b64 exec, exec, s[8:9]
	s_and_saveexec_b64 s[8:9], s[2:3]
	s_cbranch_execz .LBB197_72
; %bb.71:                               ;   in Loop: Header=BB197_3 Depth=1
	buffer_load_dword v15, off, s[36:39], 0 offset:112 ; 4-byte Folded Reload
	s_waitcnt vmcnt(0)
	v_add_co_u32_e32 v45, vcc, v15, v0
	buffer_load_dword v15, off, s[36:39], 0 offset:116 ; 4-byte Folded Reload
	s_waitcnt vmcnt(0)
	v_addc_co_u32_e32 v46, vcc, v15, v1, vcc
	global_load_ushort v15, v[45:46], off
	s_waitcnt vmcnt(0)
	v_lshlrev_b32_e32 v15, 16, v15
	buffer_load_dword v45, off, s[36:39], 0 offset:120 ; 4-byte Folded Reload
	buffer_load_dword v46, off, s[36:39], 0 offset:124 ; 4-byte Folded Reload
	s_waitcnt vmcnt(1)
	v_add_co_u32_e32 v45, vcc, v45, v0
	s_waitcnt vmcnt(0)
	v_addc_co_u32_e32 v46, vcc, v46, v1, vcc
	global_load_ushort v45, v[45:46], off
	s_waitcnt vmcnt(0)
	v_lshlrev_b32_e32 v45, 16, v45
.LBB197_72:                             ;   in Loop: Header=BB197_3 Depth=1
	s_or_b64 exec, exec, s[8:9]
	v_mov_b32_e32 v56, 0
	v_mov_b32_e32 v57, 0
	s_and_saveexec_b64 s[8:9], s[2:3]
	s_cbranch_execnz .LBB197_79
; %bb.73:                               ;   in Loop: Header=BB197_3 Depth=1
	s_or_b64 exec, exec, s[8:9]
	s_and_saveexec_b64 s[8:9], s[2:3]
	s_cbranch_execnz .LBB197_80
.LBB197_74:                             ;   in Loop: Header=BB197_3 Depth=1
	s_or_b64 exec, exec, s[8:9]
	v_mov_b32_e32 v46, 0
	s_and_saveexec_b64 s[8:9], s[2:3]
	s_cbranch_execz .LBB197_76
.LBB197_75:                             ;   in Loop: Header=BB197_3 Depth=1
	buffer_load_dword v18, off, s[36:39], 0 offset:16 ; 4-byte Folded Reload
	buffer_load_dword v46, off, s[36:39], 0 offset:32 ; 4-byte Folded Reload
	s_waitcnt vmcnt(1)
	v_add_co_u32_e32 v58, vcc, v18, v0
	buffer_load_dword v18, off, s[36:39], 0 offset:24 ; 4-byte Folded Reload
	s_waitcnt vmcnt(0)
	v_addc_co_u32_e32 v59, vcc, v18, v1, vcc
	global_load_ushort v18, v[58:59], off
	v_add_co_u32_e32 v58, vcc, v46, v0
	buffer_load_dword v46, off, s[36:39], 0 offset:40 ; 4-byte Folded Reload
	s_waitcnt vmcnt(1)
	v_lshlrev_b32_e32 v18, 16, v18
	s_waitcnt vmcnt(0)
	v_addc_co_u32_e32 v59, vcc, v46, v1, vcc
	global_load_ushort v46, v[58:59], off
	s_waitcnt vmcnt(0)
	v_lshlrev_b32_e32 v46, 16, v46
	buffer_load_dword v59, off, s[36:39], 0 offset:232 ; 4-byte Folded Reload
.LBB197_76:                             ;   in Loop: Header=BB197_3 Depth=1
	s_or_b64 exec, exec, s[8:9]
	s_waitcnt vmcnt(0)
	ds_bpermute_b32 v58, v41, v36
	v_mul_f32_e32 v3, v60, v3
	v_mul_f32_e32 v4, v44, v4
	s_waitcnt lgkmcnt(0)
	v_fmac_f32_e32 v42, v3, v58
	ds_bpermute_b32 v3, v41, v36 offset:4
	s_waitcnt lgkmcnt(0)
	v_fmac_f32_e32 v42, v4, v3
	ds_bpermute_b32 v3, v41, v36 offset:8
	v_mul_f32_e32 v4, v43, v5
	s_waitcnt lgkmcnt(0)
	v_fmac_f32_e32 v42, v4, v3
	ds_bpermute_b32 v3, v41, v36 offset:12
	v_mul_f32_e32 v4, v48, v6
	;; [unrolled: 4-line block ×13, first 2 shown]
	s_waitcnt lgkmcnt(0)
	v_fmac_f32_e32 v42, v4, v3
	ds_bpermute_b32 v3, v41, v36 offset:60
	v_mov_b32_e32 v36, v42
.LBB197_77:                             ;   in Loop: Header=BB197_3 Depth=1
	v_mul_f32_e32 v4, v46, v18
	s_waitcnt lgkmcnt(0)
	v_fmac_f32_e32 v36, v4, v3
	buffer_load_dword v3, off, s[36:39], 0  ; 4-byte Folded Reload
	buffer_load_dword v4, off, s[36:39], 0 offset:4 ; 4-byte Folded Reload
	s_add_u32 s28, s28, s7
	s_addc_u32 s29, s29, 0
	s_add_u32 s26, s26, s7
	s_addc_u32 s27, s27, 0
	s_waitcnt vmcnt(1)
	v_add_co_u32_e32 v3, vcc, s24, v3
	buffer_store_dword v3, off, s[36:39], 0 ; 4-byte Folded Spill
	v_mov_b32_e32 v3, s25
	s_waitcnt vmcnt(1)
	v_addc_co_u32_e32 v4, vcc, v4, v3, vcc
	buffer_store_dword v4, off, s[36:39], 0 offset:4 ; 4-byte Folded Spill
	buffer_load_dword v4, off, s[36:39], 0 offset:8 ; 4-byte Folded Reload
	s_waitcnt vmcnt(0)
	v_add_co_u32_e32 v4, vcc, s24, v4
	buffer_store_dword v4, off, s[36:39], 0 offset:8 ; 4-byte Folded Spill
	buffer_load_dword v4, off, s[36:39], 0 offset:12 ; 4-byte Folded Reload
	s_waitcnt vmcnt(0)
	v_addc_co_u32_e32 v4, vcc, v4, v3, vcc
	buffer_store_dword v4, off, s[36:39], 0 offset:12 ; 4-byte Folded Spill
	buffer_load_dword v4, off, s[36:39], 0 offset:16 ; 4-byte Folded Reload
	s_waitcnt vmcnt(0)
	v_add_co_u32_e32 v4, vcc, s24, v4
	buffer_store_dword v4, off, s[36:39], 0 offset:16 ; 4-byte Folded Spill
	buffer_load_dword v4, off, s[36:39], 0 offset:24 ; 4-byte Folded Reload
	;; [unrolled: 8-line block ×19, first 2 shown]
	s_waitcnt vmcnt(0)
	v_addc_co_u32_e32 v4, vcc, v4, v3, vcc
	v_add_co_u32_e32 v61, vcc, s24, v61
	v_addc_co_u32_e32 v62, vcc, v62, v3, vcc
	v_add_co_u32_e32 v63, vcc, s24, v63
	;; [unrolled: 2-line block ×12, first 2 shown]
	buffer_store_dword v4, off, s[36:39], 0 offset:204 ; 4-byte Folded Spill
	v_addc_co_u32_e32 v40, vcc, v40, v3, vcc
	v_mov_b32_e32 v3, s12
	v_mov_b32_e32 v4, s13
	v_cmp_lt_i64_e32 vcc, s[28:29], v[3:4]
	s_cbranch_vccz .LBB197_82
; %bb.78:                               ;   in Loop: Header=BB197_3 Depth=1
	v_mov_b32_e32 v42, v36
	s_branch .LBB197_3
.LBB197_79:                             ;   in Loop: Header=BB197_3 Depth=1
	buffer_load_dword v16, off, s[36:39], 0 offset:80 ; 4-byte Folded Reload
	buffer_load_dword v46, off, s[36:39], 0 offset:96 ; 4-byte Folded Reload
	s_waitcnt vmcnt(1)
	v_add_co_u32_e32 v57, vcc, v16, v0
	buffer_load_dword v16, off, s[36:39], 0 offset:88 ; 4-byte Folded Reload
	s_waitcnt vmcnt(0)
	v_addc_co_u32_e32 v58, vcc, v16, v1, vcc
	global_load_ushort v16, v[57:58], off
	v_add_co_u32_e32 v57, vcc, v46, v0
	buffer_load_dword v46, off, s[36:39], 0 offset:104 ; 4-byte Folded Reload
	s_waitcnt vmcnt(1)
	v_lshlrev_b32_e32 v16, 16, v16
	s_waitcnt vmcnt(0)
	v_addc_co_u32_e32 v58, vcc, v46, v1, vcc
	global_load_ushort v46, v[57:58], off
	s_waitcnt vmcnt(0)
	v_lshlrev_b32_e32 v57, 16, v46
	s_or_b64 exec, exec, s[8:9]
	s_and_saveexec_b64 s[8:9], s[2:3]
	s_cbranch_execz .LBB197_74
.LBB197_80:                             ;   in Loop: Header=BB197_3 Depth=1
	buffer_load_dword v17, off, s[36:39], 0 offset:48 ; 4-byte Folded Reload
	buffer_load_dword v46, off, s[36:39], 0 offset:64 ; 4-byte Folded Reload
	s_waitcnt vmcnt(1)
	v_add_co_u32_e32 v58, vcc, v17, v0
	buffer_load_dword v17, off, s[36:39], 0 offset:56 ; 4-byte Folded Reload
	s_waitcnt vmcnt(0)
	v_addc_co_u32_e32 v59, vcc, v17, v1, vcc
	global_load_ushort v17, v[58:59], off
	v_add_co_u32_e32 v58, vcc, v46, v0
	buffer_load_dword v46, off, s[36:39], 0 offset:72 ; 4-byte Folded Reload
	s_waitcnt vmcnt(1)
	v_lshlrev_b32_e32 v17, 16, v17
	s_waitcnt vmcnt(0)
	v_addc_co_u32_e32 v59, vcc, v46, v1, vcc
	global_load_ushort v46, v[58:59], off
	s_waitcnt vmcnt(0)
	v_lshlrev_b32_e32 v56, 16, v46
	buffer_load_dword v59, off, s[36:39], 0 offset:232 ; 4-byte Folded Reload
	s_or_b64 exec, exec, s[8:9]
	v_mov_b32_e32 v46, 0
	s_and_saveexec_b64 s[8:9], s[2:3]
	s_cbranch_execnz .LBB197_75
	s_branch .LBB197_76
.LBB197_81:
                                        ; implicit-def: $vgpr36
	s_branch .LBB197_84
.LBB197_82:
	buffer_load_dword v42, off, s[36:39], 0 offset:228 ; 4-byte Folded Reload
.LBB197_83:
	s_cbranch_execnz .LBB197_132
.LBB197_84:
	s_and_b64 vcc, exec, s[0:1]
	v_mov_b32_e32 v36, 0
	s_cbranch_vccnz .LBB197_132
; %bb.85:
	buffer_load_dword v5, off, s[36:39], 0 offset:208 ; 4-byte Folded Reload
	s_load_dword s7, s[4:5], 0x44
	s_add_u32 s2, s4, 64
	s_addc_u32 s3, s5, 0
	v_mov_b32_e32 v4, s17
	v_mov_b32_e32 v12, s15
	s_waitcnt lgkmcnt(0)
	s_lshl_b32 s7, s7, 8
	v_mov_b32_e32 v63, 0
	s_waitcnt vmcnt(0)
	v_lshlrev_b32_e32 v0, 4, v5
	v_add_co_u32_e32 v8, vcc, s20, v0
	v_addc_co_u32_e64 v9, s[0:1], 0, 0, vcc
	buffer_store_dword v0, off, s[36:39], 0 offset:412 ; 4-byte Folded Spill
	v_mul_lo_u32 v2, s15, v8
	v_mul_lo_u32 v3, s14, v9
	v_mad_u64_u32 v[0:1], s[0:1], s14, v8, 0
	s_mul_i32 s0, s15, s7
	s_mul_hi_u32 s1, s14, s7
	v_add3_u32 v1, v1, v3, v2
	v_lshlrev_b64 v[2:3], 1, v[0:1]
	s_add_i32 s1, s1, s0
	v_add_co_u32_e32 v6, vcc, s16, v2
	v_addc_co_u32_e32 v4, vcc, v4, v3, vcc
	s_mul_i32 s0, s14, s7
	buffer_store_dword v4, off, s[36:39], 0 offset:4 ; 4-byte Folded Spill
	s_lshl_b64 s[8:9], s[0:1], 1
	v_mov_b32_e32 v4, s19
	v_add_co_u32_e32 v2, vcc, s18, v2
	buffer_store_dword v2, off, s[36:39], 0 offset:8 ; 4-byte Folded Spill
	v_addc_co_u32_e32 v2, vcc, v4, v3, vcc
	s_add_u32 s22, s20, 0xff
	buffer_store_dword v2, off, s[36:39], 0 offset:12 ; 4-byte Folded Spill
	s_addc_u32 s23, 0, 0
	v_lshlrev_b32_e32 v2, 5, v5
	s_lshl_b64 s[0:1], s[20:21], 1
	v_mov_b32_e32 v3, s1
	v_add_co_u32_e32 v10, vcc, s0, v2
	v_addc_co_u32_e32 v11, vcc, 0, v3, vcc
	buffer_store_dword v6, off, s[36:39], 0 ; 4-byte Folded Spill
	v_add_co_u32_e32 v4, vcc, 2, v10
	v_mov_b32_e32 v2, s16
	v_mov_b32_e32 v6, s18
	v_addc_co_u32_e32 v5, vcc, 0, v11, vcc
	v_mov_b32_e32 v3, s17
	v_mov_b32_e32 v7, s19
	v_mad_u64_u32 v[15:16], s[0:1], s14, v4, v[2:3]
	v_mul_lo_u32 v13, s14, v5
	v_mul_lo_u32 v14, s15, v4
	v_mad_u64_u32 v[17:18], s[0:1], s14, v4, v[6:7]
	v_add_co_u32_e32 v4, vcc, s14, v0
	v_addc_co_u32_e32 v5, vcc, v1, v12, vcc
	v_add3_u32 v16, v14, v16, v13
	v_add3_u32 v18, v14, v18, v13
	v_add_co_u32_e32 v0, vcc, 4, v10
	buffer_store_dword v15, off, s[36:39], 0 offset:16 ; 4-byte Folded Spill
	s_nop 0
	buffer_store_dword v16, off, s[36:39], 0 offset:20 ; 4-byte Folded Spill
	buffer_store_dword v17, off, s[36:39], 0 offset:24 ; 4-byte Folded Spill
	s_nop 0
	buffer_store_dword v18, off, s[36:39], 0 offset:28 ; 4-byte Folded Spill
	v_addc_co_u32_e32 v1, vcc, 0, v11, vcc
	v_mul_lo_u32 v1, s14, v1
	v_mul_lo_u32 v12, s15, v0
	v_mad_u64_u32 v[15:16], s[0:1], s14, v0, v[2:3]
	v_mad_u64_u32 v[17:18], s[0:1], s14, v0, v[6:7]
	v_add_co_u32_e32 v0, vcc, 6, v10
	v_addc_co_u32_e32 v13, vcc, 0, v11, vcc
	v_mul_lo_u32 v13, s14, v13
	v_mul_lo_u32 v14, s15, v0
	v_mad_u64_u32 v[19:20], s[0:1], s14, v0, v[2:3]
	v_mad_u64_u32 v[21:22], s[0:1], s14, v0, v[6:7]
	v_add3_u32 v16, v12, v16, v1
	v_add3_u32 v18, v12, v18, v1
	v_add_co_u32_e32 v0, vcc, 8, v10
	buffer_store_dword v15, off, s[36:39], 0 offset:32 ; 4-byte Folded Spill
	s_nop 0
	buffer_store_dword v16, off, s[36:39], 0 offset:36 ; 4-byte Folded Spill
	buffer_store_dword v17, off, s[36:39], 0 offset:40 ; 4-byte Folded Spill
	s_nop 0
	buffer_store_dword v18, off, s[36:39], 0 offset:44 ; 4-byte Folded Spill
	v_addc_co_u32_e32 v1, vcc, 0, v11, vcc
	v_mul_lo_u32 v1, s14, v1
	v_mul_lo_u32 v12, s15, v0
	v_mad_u64_u32 v[15:16], s[0:1], s14, v0, v[2:3]
	v_mad_u64_u32 v[17:18], s[0:1], s14, v0, v[6:7]
	v_add3_u32 v20, v14, v20, v13
	v_add3_u32 v22, v14, v22, v13
	v_add_co_u32_e32 v0, vcc, 10, v10
	buffer_store_dword v19, off, s[36:39], 0 offset:48 ; 4-byte Folded Spill
	s_nop 0
	buffer_store_dword v20, off, s[36:39], 0 offset:52 ; 4-byte Folded Spill
	buffer_store_dword v21, off, s[36:39], 0 offset:56 ; 4-byte Folded Spill
	s_nop 0
	buffer_store_dword v22, off, s[36:39], 0 offset:60 ; 4-byte Folded Spill
	;; [unrolled: 14-line block ×3, first 2 shown]
	v_addc_co_u32_e32 v1, vcc, 0, v11, vcc
	v_mul_lo_u32 v1, s14, v1
	v_mul_lo_u32 v12, s15, v0
	v_mad_u64_u32 v[15:16], s[0:1], s14, v0, v[2:3]
	v_mad_u64_u32 v[17:18], s[0:1], s14, v0, v[6:7]
	v_add_co_u32_e32 v0, vcc, 14, v10
	v_add3_u32 v20, v14, v20, v13
	v_add3_u32 v22, v14, v22, v13
	v_addc_co_u32_e32 v13, vcc, 0, v11, vcc
	v_mul_lo_u32 v13, s14, v13
	v_mul_lo_u32 v14, s15, v0
	v_mad_u64_u32 v[43:44], s[0:1], s14, v0, v[2:3]
	v_mad_u64_u32 v[45:46], s[0:1], s14, v0, v[6:7]
	v_add_co_u32_e32 v0, vcc, 16, v10
	v_add3_u32 v16, v12, v16, v1
	v_add3_u32 v18, v12, v18, v1
	;; [unrolled: 8-line block ×3, first 2 shown]
	v_addc_co_u32_e32 v13, vcc, 0, v11, vcc
	v_mul_lo_u32 v14, s15, v0
	v_mad_u64_u32 v[51:52], s[0:1], s14, v0, v[2:3]
	v_mad_u64_u32 v[53:54], s[0:1], s14, v0, v[6:7]
	v_add_co_u32_e32 v0, vcc, 20, v10
	v_add3_u32 v48, v12, v48, v1
	v_add3_u32 v50, v12, v50, v1
	v_addc_co_u32_e32 v1, vcc, 0, v11, vcc
	v_mul_lo_u32 v1, s14, v1
	v_mul_lo_u32 v12, s15, v0
	v_mad_u64_u32 v[55:56], s[0:1], s14, v0, v[2:3]
	v_mad_u64_u32 v[57:58], s[0:1], s14, v0, v[6:7]
	v_add_co_u32_e32 v0, vcc, 22, v10
	v_add3_u32 v56, v12, v56, v1
	v_add3_u32 v58, v12, v58, v1
	v_addc_co_u32_e32 v1, vcc, 0, v11, vcc
	v_mul_lo_u32 v1, s14, v1
	v_mul_lo_u32 v12, s15, v0
	v_mad_u64_u32 v[59:60], s[0:1], s14, v0, v[2:3]
	v_mad_u64_u32 v[61:62], s[0:1], s14, v0, v[6:7]
	v_mul_lo_u32 v13, s14, v13
	v_add_co_u32_e32 v0, vcc, 24, v10
	buffer_store_dword v19, off, s[36:39], 0 offset:80 ; 4-byte Folded Spill
	s_nop 0
	buffer_store_dword v20, off, s[36:39], 0 offset:84 ; 4-byte Folded Spill
	v_add3_u32 v60, v12, v60, v1
	v_add3_u32 v62, v12, v62, v1
	v_addc_co_u32_e32 v1, vcc, 0, v11, vcc
	v_add3_u32 v52, v14, v52, v13
	v_add3_u32 v54, v14, v54, v13
	v_mul_lo_u32 v12, s14, v1
	v_mul_lo_u32 v13, s15, v0
	v_mad_u64_u32 v[19:20], s[0:1], s14, v0, v[2:3]
	v_mad_u64_u32 v[0:1], s[0:1], s14, v0, v[6:7]
	v_add3_u32 v20, v13, v20, v12
	buffer_store_dword v21, off, s[36:39], 0 offset:88 ; 4-byte Folded Spill
	s_nop 0
	buffer_store_dword v22, off, s[36:39], 0 offset:92 ; 4-byte Folded Spill
	v_add3_u32 v1, v13, v1, v12
	v_add_co_u32_e32 v12, vcc, 26, v10
	v_addc_co_u32_e32 v13, vcc, 0, v11, vcc
	v_mul_lo_u32 v13, s14, v13
	v_mul_lo_u32 v14, s15, v12
	v_mad_u64_u32 v[21:22], s[0:1], s14, v12, v[2:3]
	v_mad_u64_u32 v[23:24], s[0:1], s14, v12, v[6:7]
	v_add_co_u32_e32 v12, vcc, 28, v10
	v_add3_u32 v22, v14, v22, v13
	v_add3_u32 v24, v14, v24, v13
	v_addc_co_u32_e32 v13, vcc, 0, v11, vcc
	v_add_co_u32_e32 v10, vcc, 30, v10
	v_addc_co_u32_e32 v11, vcc, 0, v11, vcc
	v_mad_u64_u32 v[25:26], s[0:1], s14, v12, v[2:3]
	v_mad_u64_u32 v[29:30], s[0:1], s14, v10, v[2:3]
	v_mul_lo_u32 v2, s14, v11
	v_mad_u64_u32 v[31:32], s[0:1], s14, v10, v[6:7]
	v_mul_lo_u32 v3, s15, v10
	v_mad_u64_u32 v[27:28], s[0:1], s14, v12, v[6:7]
	buffer_store_dword v15, off, s[36:39], 0 offset:96 ; 4-byte Folded Spill
	s_nop 0
	buffer_store_dword v16, off, s[36:39], 0 offset:100 ; 4-byte Folded Spill
	v_add3_u32 v30, v3, v30, v2
	v_add3_u32 v32, v3, v32, v2
	v_add_co_u32_e32 v2, vcc, 15, v8
	v_addc_co_u32_e32 v3, vcc, 0, v9, vcc
	v_mul_lo_u32 v6, s14, v3
	v_mul_lo_u32 v7, s15, v2
	v_mad_u64_u32 v[2:3], s[0:1], s14, v2, 0
	buffer_store_dword v17, off, s[36:39], 0 offset:104 ; 4-byte Folded Spill
	s_nop 0
	buffer_store_dword v18, off, s[36:39], 0 offset:108 ; 4-byte Folded Spill
	v_mul_lo_u32 v13, s14, v13
	v_add3_u32 v3, v3, v6, v7
	v_lshlrev_b64 v[2:3], 1, v[2:3]
	v_mov_b32_e32 v6, s17
	v_add_co_u32_e32 v7, vcc, s16, v2
	v_addc_co_u32_e32 v6, vcc, v6, v3, vcc
	buffer_store_dword v6, off, s[36:39], 0 offset:116 ; 4-byte Folded Spill
	v_mov_b32_e32 v6, s19
	v_add_co_u32_e32 v2, vcc, s18, v2
	buffer_store_dword v2, off, s[36:39], 0 offset:120 ; 4-byte Folded Spill
	v_addc_co_u32_e32 v2, vcc, v6, v3, vcc
	buffer_store_dword v2, off, s[36:39], 0 offset:124 ; 4-byte Folded Spill
	v_add_co_u32_e32 v2, vcc, 14, v8
	v_addc_co_u32_e32 v3, vcc, 0, v9, vcc
	buffer_store_dword v7, off, s[36:39], 0 offset:112 ; 4-byte Folded Spill
	v_mul_lo_u32 v6, s14, v3
	v_mul_lo_u32 v7, s15, v2
	v_mad_u64_u32 v[2:3], s[0:1], s14, v2, 0
	v_mul_lo_u32 v14, s15, v12
	v_add3_u32 v3, v3, v6, v7
	v_lshlrev_b64 v[2:3], 1, v[2:3]
	v_mov_b32_e32 v6, s17
	v_add_co_u32_e32 v7, vcc, s16, v2
	v_addc_co_u32_e32 v6, vcc, v6, v3, vcc
	buffer_store_dword v6, off, s[36:39], 0 offset:132 ; 4-byte Folded Spill
	v_mov_b32_e32 v6, s19
	v_add_co_u32_e32 v2, vcc, s18, v2
	buffer_store_dword v2, off, s[36:39], 0 offset:136 ; 4-byte Folded Spill
	v_addc_co_u32_e32 v2, vcc, v6, v3, vcc
	buffer_store_dword v2, off, s[36:39], 0 offset:140 ; 4-byte Folded Spill
	v_add_co_u32_e32 v2, vcc, 13, v8
	v_addc_co_u32_e32 v3, vcc, 0, v9, vcc
	buffer_store_dword v7, off, s[36:39], 0 offset:128 ; 4-byte Folded Spill
	v_mul_lo_u32 v6, s14, v3
	v_mul_lo_u32 v7, s15, v2
	v_mad_u64_u32 v[2:3], s[0:1], s14, v2, 0
	v_add3_u32 v26, v14, v26, v13
	v_add3_u32 v28, v14, v28, v13
	;; [unrolled: 1-line block ×3, first 2 shown]
	v_lshlrev_b64 v[2:3], 1, v[2:3]
	v_mov_b32_e32 v6, s17
	v_add_co_u32_e32 v7, vcc, s16, v2
	v_addc_co_u32_e32 v6, vcc, v6, v3, vcc
	buffer_store_dword v6, off, s[36:39], 0 offset:148 ; 4-byte Folded Spill
	v_mov_b32_e32 v6, s19
	v_add_co_u32_e32 v2, vcc, s18, v2
	buffer_store_dword v2, off, s[36:39], 0 offset:152 ; 4-byte Folded Spill
	v_addc_co_u32_e32 v2, vcc, v6, v3, vcc
	buffer_store_dword v2, off, s[36:39], 0 offset:156 ; 4-byte Folded Spill
	v_add_co_u32_e32 v2, vcc, 12, v8
	v_addc_co_u32_e32 v3, vcc, 0, v9, vcc
	buffer_store_dword v7, off, s[36:39], 0 offset:144 ; 4-byte Folded Spill
	v_mul_lo_u32 v6, s14, v3
	v_mul_lo_u32 v7, s15, v2
	v_mad_u64_u32 v[2:3], s[0:1], s14, v2, 0
	v_add3_u32 v3, v3, v6, v7
	v_lshlrev_b64 v[2:3], 1, v[2:3]
	v_mov_b32_e32 v6, s17
	v_add_co_u32_e32 v7, vcc, s16, v2
	v_addc_co_u32_e32 v6, vcc, v6, v3, vcc
	buffer_store_dword v6, off, s[36:39], 0 offset:164 ; 4-byte Folded Spill
	v_mov_b32_e32 v6, s19
	v_add_co_u32_e32 v2, vcc, s18, v2
	buffer_store_dword v2, off, s[36:39], 0 offset:168 ; 4-byte Folded Spill
	v_addc_co_u32_e32 v2, vcc, v6, v3, vcc
	buffer_store_dword v2, off, s[36:39], 0 offset:172 ; 4-byte Folded Spill
	v_add_co_u32_e32 v2, vcc, 11, v8
	v_addc_co_u32_e32 v3, vcc, 0, v9, vcc
	buffer_store_dword v7, off, s[36:39], 0 offset:160 ; 4-byte Folded Spill
	v_mul_lo_u32 v6, s14, v3
	v_mul_lo_u32 v7, s15, v2
	v_mad_u64_u32 v[2:3], s[0:1], s14, v2, 0
	v_add3_u32 v3, v3, v6, v7
	;; [unrolled: 17-line block ×11, first 2 shown]
	v_lshlrev_b64 v[2:3], 1, v[2:3]
	v_mov_b32_e32 v6, s17
	v_add_co_u32_e32 v7, vcc, s16, v2
	v_addc_co_u32_e32 v6, vcc, v6, v3, vcc
	buffer_store_dword v6, off, s[36:39], 0 offset:328 ; 4-byte Folded Spill
	v_mov_b32_e32 v6, s19
	v_add_co_u32_e32 v2, vcc, s18, v2
	buffer_store_dword v2, off, s[36:39], 0 offset:332 ; 4-byte Folded Spill
	v_addc_co_u32_e32 v2, vcc, v6, v3, vcc
	buffer_store_dword v2, off, s[36:39], 0 offset:336 ; 4-byte Folded Spill
	v_lshlrev_b64 v[2:3], 1, v[4:5]
	v_mov_b32_e32 v4, s17
	v_add_co_u32_e32 v5, vcc, s16, v2
	v_addc_co_u32_e32 v4, vcc, v4, v3, vcc
	buffer_store_dword v4, off, s[36:39], 0 offset:344 ; 4-byte Folded Spill
	v_mov_b32_e32 v4, s19
	v_add_co_u32_e32 v2, vcc, s18, v2
	buffer_store_dword v2, off, s[36:39], 0 offset:348 ; 4-byte Folded Spill
	v_addc_co_u32_e32 v2, vcc, v4, v3, vcc
	buffer_store_dword v2, off, s[36:39], 0 offset:352 ; 4-byte Folded Spill
	v_mov_b32_e32 v2, 0
	v_add_u32_e32 v3, s33, v42
	v_mov_b32_e32 v4, v2
	v_lshlrev_b64 v[33:34], 1, v[3:4]
	v_mbcnt_lo_u32_b32 v3, -1, 0
	v_mbcnt_hi_u32_b32 v3, -1, v3
	v_lshlrev_b32_e32 v3, 2, v3
	v_and_b32_e32 v35, 0x100, v3
	buffer_store_dword v7, off, s[36:39], 0 offset:324 ; 4-byte Folded Spill
	buffer_store_dword v5, off, s[36:39], 0 offset:340 ; 4-byte Folded Spill
.LBB197_86:                             ; =>This Inner Loop Header: Depth=1
	v_mov_b32_e32 v3, s12
	v_mov_b32_e32 v4, s13
	v_cmp_ge_i64_e32 vcc, s[22:23], v[3:4]
	buffer_load_dword v4, off, s[36:39], 0 offset:412 ; 4-byte Folded Reload
	v_mov_b32_e32 v3, s23
	s_and_b64 vcc, exec, vcc
                                        ; implicit-def: $vgpr36
	s_waitcnt vmcnt(0)
	v_add_co_u32_e64 v37, s[0:1], s22, v4
	v_addc_co_u32_e64 v38, s[0:1], 0, v3, s[0:1]
	s_mov_b64 s[0:1], -1
	s_cbranch_vccz .LBB197_124
; %bb.87:                               ;   in Loop: Header=BB197_86 Depth=1
	buffer_load_dword v3, off, s[36:39], 0 offset:208 ; 4-byte Folded Reload
	s_load_dword s0, s[2:3], 0xc
	v_mov_b32_e32 v36, 0
	v_mov_b32_e32 v39, 0
	s_waitcnt lgkmcnt(0)
	s_and_b32 s0, s0, 0xffff
	s_waitcnt vmcnt(0)
	v_mad_u32_u24 v3, v3, s0, v42
	v_and_b32_e32 v3, 63, v3
	v_cmp_gt_u32_e32 vcc, 16, v3
	s_and_saveexec_b64 s[0:1], vcc
	s_cbranch_execz .LBB197_91
; %bb.88:                               ;   in Loop: Header=BB197_86 Depth=1
	v_add_co_u32_e32 v3, vcc, v37, v3
	v_addc_co_u32_e32 v4, vcc, 0, v38, vcc
	v_add_co_u32_e32 v3, vcc, 0xffffff01, v3
	v_addc_co_u32_e32 v4, vcc, -1, v4, vcc
	v_cmp_gt_i64_e32 vcc, s[12:13], v[3:4]
	v_mov_b32_e32 v39, 0
	s_and_saveexec_b64 s[16:17], vcc
	s_cbranch_execz .LBB197_90
; %bb.89:                               ;   in Loop: Header=BB197_86 Depth=1
	v_lshlrev_b64 v[3:4], 2, v[3:4]
	v_mov_b32_e32 v5, s11
	v_add_co_u32_e32 v3, vcc, s10, v3
	v_addc_co_u32_e32 v4, vcc, v5, v4, vcc
	global_load_dword v39, v[3:4], off
.LBB197_90:                             ;   in Loop: Header=BB197_86 Depth=1
	s_or_b64 exec, exec, s[16:17]
.LBB197_91:                             ;   in Loop: Header=BB197_86 Depth=1
	s_or_b64 exec, exec, s[0:1]
	v_add_co_u32_e32 v3, vcc, 0xffffff01, v37
	v_addc_co_u32_e32 v4, vcc, -1, v38, vcc
	v_cmp_gt_i64_e32 vcc, s[12:13], v[3:4]
	v_mov_b32_e32 v3, v2
	v_mov_b32_e32 v4, v2
	;; [unrolled: 1-line block ×31, first 2 shown]
	s_and_saveexec_b64 s[0:1], vcc
	s_cbranch_execz .LBB197_93
; %bb.92:                               ;   in Loop: Header=BB197_86 Depth=1
	buffer_load_dword v3, off, s[36:39], 0  ; 4-byte Folded Reload
	buffer_load_dword v4, off, s[36:39], 0 offset:4 ; 4-byte Folded Reload
	v_mov_b32_e32 v5, v2
	v_mov_b32_e32 v6, v2
	;; [unrolled: 1-line block ×14, first 2 shown]
	s_waitcnt vmcnt(1)
	v_add_co_u32_e32 v3, vcc, v3, v33
	s_waitcnt vmcnt(0)
	v_addc_co_u32_e32 v4, vcc, v4, v34, vcc
	global_load_ushort v36, v[3:4], off
	s_nop 0
	buffer_load_dword v3, off, s[36:39], 0 offset:8 ; 4-byte Folded Reload
	buffer_load_dword v4, off, s[36:39], 0 offset:12 ; 4-byte Folded Reload
	s_waitcnt vmcnt(1)
	v_add_co_u32_e32 v3, vcc, v3, v33
	s_waitcnt vmcnt(0)
	v_addc_co_u32_e32 v4, vcc, v4, v34, vcc
	global_load_ushort v40, v[3:4], off
	v_mov_b32_e32 v4, v2
	v_lshlrev_b32_e32 v3, 16, v36
	s_waitcnt vmcnt(0)
	v_lshlrev_b32_e32 v36, 16, v40
.LBB197_93:                             ;   in Loop: Header=BB197_86 Depth=1
	s_or_b64 exec, exec, s[0:1]
	v_add_co_u32_e32 v40, vcc, 0xffffff02, v37
	v_addc_co_u32_e32 v41, vcc, -1, v38, vcc
	v_cmp_gt_i64_e32 vcc, s[12:13], v[40:41]
	v_mov_b32_e32 v40, 0
	buffer_store_dword v40, off, s[36:39], 0 offset:356 ; 4-byte Folded Spill
	v_mov_b32_e32 v40, 0
	buffer_store_dword v40, off, s[36:39], 0 offset:360 ; 4-byte Folded Spill
	s_and_saveexec_b64 s[0:1], vcc
	s_cbranch_execz .LBB197_95
; %bb.94:                               ;   in Loop: Header=BB197_86 Depth=1
	buffer_load_dword v4, off, s[36:39], 0 offset:340 ; 4-byte Folded Reload
	s_waitcnt vmcnt(0)
	v_add_co_u32_e32 v40, vcc, v4, v33
	buffer_load_dword v4, off, s[36:39], 0 offset:344 ; 4-byte Folded Reload
	s_waitcnt vmcnt(0)
	v_addc_co_u32_e32 v41, vcc, v4, v34, vcc
	global_load_ushort v4, v[40:41], off
	s_waitcnt vmcnt(0)
	v_lshlrev_b32_e32 v4, 16, v4
	buffer_load_dword v40, off, s[36:39], 0 offset:348 ; 4-byte Folded Reload
	buffer_load_dword v41, off, s[36:39], 0 offset:352 ; 4-byte Folded Reload
	s_waitcnt vmcnt(1)
	v_add_co_u32_e32 v40, vcc, v40, v33
	s_waitcnt vmcnt(0)
	v_addc_co_u32_e32 v41, vcc, v41, v34, vcc
	global_load_ushort v40, v[40:41], off
	s_waitcnt vmcnt(0)
	v_lshlrev_b32_e32 v40, 16, v40
	buffer_store_dword v40, off, s[36:39], 0 offset:360 ; 4-byte Folded Spill
.LBB197_95:                             ;   in Loop: Header=BB197_86 Depth=1
	s_or_b64 exec, exec, s[0:1]
	v_add_co_u32_e32 v40, vcc, 0xffffff03, v37
	v_addc_co_u32_e32 v41, vcc, -1, v38, vcc
	v_cmp_gt_i64_e32 vcc, s[12:13], v[40:41]
	s_and_saveexec_b64 s[0:1], vcc
	s_cbranch_execz .LBB197_97
; %bb.96:                               ;   in Loop: Header=BB197_86 Depth=1
	buffer_load_dword v5, off, s[36:39], 0 offset:324 ; 4-byte Folded Reload
	s_waitcnt vmcnt(0)
	v_add_co_u32_e32 v40, vcc, v5, v33
	buffer_load_dword v5, off, s[36:39], 0 offset:328 ; 4-byte Folded Reload
	s_waitcnt vmcnt(0)
	v_addc_co_u32_e32 v41, vcc, v5, v34, vcc
	global_load_ushort v5, v[40:41], off
	s_waitcnt vmcnt(0)
	v_lshlrev_b32_e32 v5, 16, v5
	buffer_load_dword v40, off, s[36:39], 0 offset:332 ; 4-byte Folded Reload
	buffer_load_dword v41, off, s[36:39], 0 offset:336 ; 4-byte Folded Reload
	s_waitcnt vmcnt(1)
	v_add_co_u32_e32 v40, vcc, v40, v33
	s_waitcnt vmcnt(0)
	v_addc_co_u32_e32 v41, vcc, v41, v34, vcc
	global_load_ushort v40, v[40:41], off
	s_waitcnt vmcnt(0)
	v_lshlrev_b32_e32 v40, 16, v40
	buffer_store_dword v40, off, s[36:39], 0 offset:356 ; 4-byte Folded Spill
.LBB197_97:                             ;   in Loop: Header=BB197_86 Depth=1
	s_or_b64 exec, exec, s[0:1]
	v_add_co_u32_e32 v40, vcc, 0xffffff04, v37
	v_addc_co_u32_e32 v41, vcc, -1, v38, vcc
	v_cmp_gt_i64_e32 vcc, s[12:13], v[40:41]
	v_mov_b32_e32 v40, 0
	buffer_store_dword v40, off, s[36:39], 0 offset:364 ; 4-byte Folded Spill
	v_mov_b32_e32 v40, 0
	buffer_store_dword v40, off, s[36:39], 0 offset:368 ; 4-byte Folded Spill
	s_and_saveexec_b64 s[0:1], vcc
	s_cbranch_execz .LBB197_99
; %bb.98:                               ;   in Loop: Header=BB197_86 Depth=1
	buffer_load_dword v6, off, s[36:39], 0 offset:308 ; 4-byte Folded Reload
	s_waitcnt vmcnt(0)
	v_add_co_u32_e32 v40, vcc, v6, v33
	buffer_load_dword v6, off, s[36:39], 0 offset:312 ; 4-byte Folded Reload
	s_waitcnt vmcnt(0)
	v_addc_co_u32_e32 v41, vcc, v6, v34, vcc
	global_load_ushort v6, v[40:41], off
	s_waitcnt vmcnt(0)
	v_lshlrev_b32_e32 v6, 16, v6
	buffer_load_dword v40, off, s[36:39], 0 offset:316 ; 4-byte Folded Reload
	buffer_load_dword v41, off, s[36:39], 0 offset:320 ; 4-byte Folded Reload
	s_waitcnt vmcnt(1)
	v_add_co_u32_e32 v40, vcc, v40, v33
	s_waitcnt vmcnt(0)
	v_addc_co_u32_e32 v41, vcc, v41, v34, vcc
	global_load_ushort v40, v[40:41], off
	s_waitcnt vmcnt(0)
	v_lshlrev_b32_e32 v40, 16, v40
	buffer_store_dword v40, off, s[36:39], 0 offset:368 ; 4-byte Folded Spill
.LBB197_99:                             ;   in Loop: Header=BB197_86 Depth=1
	s_or_b64 exec, exec, s[0:1]
	v_add_co_u32_e32 v40, vcc, 0xffffff05, v37
	v_addc_co_u32_e32 v41, vcc, -1, v38, vcc
	v_cmp_gt_i64_e32 vcc, s[12:13], v[40:41]
	s_and_saveexec_b64 s[0:1], vcc
	s_cbranch_execz .LBB197_101
; %bb.100:                              ;   in Loop: Header=BB197_86 Depth=1
	buffer_load_dword v7, off, s[36:39], 0 offset:292 ; 4-byte Folded Reload
	s_waitcnt vmcnt(0)
	v_add_co_u32_e32 v40, vcc, v7, v33
	buffer_load_dword v7, off, s[36:39], 0 offset:296 ; 4-byte Folded Reload
	s_waitcnt vmcnt(0)
	v_addc_co_u32_e32 v41, vcc, v7, v34, vcc
	global_load_ushort v7, v[40:41], off
	s_waitcnt vmcnt(0)
	v_lshlrev_b32_e32 v7, 16, v7
	buffer_load_dword v40, off, s[36:39], 0 offset:300 ; 4-byte Folded Reload
	buffer_load_dword v41, off, s[36:39], 0 offset:304 ; 4-byte Folded Reload
	s_waitcnt vmcnt(1)
	v_add_co_u32_e32 v40, vcc, v40, v33
	s_waitcnt vmcnt(0)
	v_addc_co_u32_e32 v41, vcc, v41, v34, vcc
	global_load_ushort v40, v[40:41], off
	s_waitcnt vmcnt(0)
	v_lshlrev_b32_e32 v40, 16, v40
	buffer_store_dword v40, off, s[36:39], 0 offset:364 ; 4-byte Folded Spill
.LBB197_101:                            ;   in Loop: Header=BB197_86 Depth=1
	s_or_b64 exec, exec, s[0:1]
	v_add_co_u32_e32 v40, vcc, 0xffffff06, v37
	v_addc_co_u32_e32 v41, vcc, -1, v38, vcc
	v_cmp_gt_i64_e32 vcc, s[12:13], v[40:41]
	v_mov_b32_e32 v40, 0
	buffer_store_dword v40, off, s[36:39], 0 offset:372 ; 4-byte Folded Spill
	v_mov_b32_e32 v40, 0
	buffer_store_dword v40, off, s[36:39], 0 offset:376 ; 4-byte Folded Spill
	s_and_saveexec_b64 s[0:1], vcc
	s_cbranch_execz .LBB197_103
; %bb.102:                              ;   in Loop: Header=BB197_86 Depth=1
	buffer_load_dword v8, off, s[36:39], 0 offset:276 ; 4-byte Folded Reload
	s_waitcnt vmcnt(0)
	v_add_co_u32_e32 v40, vcc, v8, v33
	buffer_load_dword v8, off, s[36:39], 0 offset:280 ; 4-byte Folded Reload
	s_waitcnt vmcnt(0)
	v_addc_co_u32_e32 v41, vcc, v8, v34, vcc
	global_load_ushort v8, v[40:41], off
	s_waitcnt vmcnt(0)
	v_lshlrev_b32_e32 v8, 16, v8
	buffer_load_dword v40, off, s[36:39], 0 offset:284 ; 4-byte Folded Reload
	buffer_load_dword v41, off, s[36:39], 0 offset:288 ; 4-byte Folded Reload
	s_waitcnt vmcnt(1)
	v_add_co_u32_e32 v40, vcc, v40, v33
	s_waitcnt vmcnt(0)
	v_addc_co_u32_e32 v41, vcc, v41, v34, vcc
	global_load_ushort v40, v[40:41], off
	s_waitcnt vmcnt(0)
	v_lshlrev_b32_e32 v40, 16, v40
	buffer_store_dword v40, off, s[36:39], 0 offset:376 ; 4-byte Folded Spill
.LBB197_103:                            ;   in Loop: Header=BB197_86 Depth=1
	s_or_b64 exec, exec, s[0:1]
	v_add_co_u32_e32 v40, vcc, 0xffffff07, v37
	v_addc_co_u32_e32 v41, vcc, -1, v38, vcc
	v_cmp_gt_i64_e32 vcc, s[12:13], v[40:41]
	s_and_saveexec_b64 s[0:1], vcc
	s_cbranch_execz .LBB197_105
; %bb.104:                              ;   in Loop: Header=BB197_86 Depth=1
	buffer_load_dword v9, off, s[36:39], 0 offset:260 ; 4-byte Folded Reload
	s_waitcnt vmcnt(0)
	v_add_co_u32_e32 v40, vcc, v9, v33
	buffer_load_dword v9, off, s[36:39], 0 offset:264 ; 4-byte Folded Reload
	s_waitcnt vmcnt(0)
	v_addc_co_u32_e32 v41, vcc, v9, v34, vcc
	global_load_ushort v9, v[40:41], off
	s_waitcnt vmcnt(0)
	v_lshlrev_b32_e32 v9, 16, v9
	buffer_load_dword v40, off, s[36:39], 0 offset:268 ; 4-byte Folded Reload
	buffer_load_dword v41, off, s[36:39], 0 offset:272 ; 4-byte Folded Reload
	s_waitcnt vmcnt(1)
	v_add_co_u32_e32 v40, vcc, v40, v33
	s_waitcnt vmcnt(0)
	v_addc_co_u32_e32 v41, vcc, v41, v34, vcc
	global_load_ushort v40, v[40:41], off
	s_waitcnt vmcnt(0)
	v_lshlrev_b32_e32 v40, 16, v40
	buffer_store_dword v40, off, s[36:39], 0 offset:372 ; 4-byte Folded Spill
.LBB197_105:                            ;   in Loop: Header=BB197_86 Depth=1
	s_or_b64 exec, exec, s[0:1]
	v_add_co_u32_e32 v40, vcc, 0xffffff08, v37
	v_addc_co_u32_e32 v41, vcc, -1, v38, vcc
	v_cmp_gt_i64_e32 vcc, s[12:13], v[40:41]
	v_mov_b32_e32 v40, 0
	buffer_store_dword v40, off, s[36:39], 0 offset:380 ; 4-byte Folded Spill
	v_mov_b32_e32 v40, 0
	buffer_store_dword v40, off, s[36:39], 0 offset:384 ; 4-byte Folded Spill
	s_and_saveexec_b64 s[0:1], vcc
	s_cbranch_execz .LBB197_107
; %bb.106:                              ;   in Loop: Header=BB197_86 Depth=1
	buffer_load_dword v10, off, s[36:39], 0 offset:244 ; 4-byte Folded Reload
	s_waitcnt vmcnt(0)
	v_add_co_u32_e32 v40, vcc, v10, v33
	buffer_load_dword v10, off, s[36:39], 0 offset:248 ; 4-byte Folded Reload
	s_waitcnt vmcnt(0)
	v_addc_co_u32_e32 v41, vcc, v10, v34, vcc
	global_load_ushort v10, v[40:41], off
	s_waitcnt vmcnt(0)
	v_lshlrev_b32_e32 v10, 16, v10
	buffer_load_dword v40, off, s[36:39], 0 offset:252 ; 4-byte Folded Reload
	buffer_load_dword v41, off, s[36:39], 0 offset:256 ; 4-byte Folded Reload
	s_waitcnt vmcnt(1)
	v_add_co_u32_e32 v40, vcc, v40, v33
	s_waitcnt vmcnt(0)
	v_addc_co_u32_e32 v41, vcc, v41, v34, vcc
	global_load_ushort v40, v[40:41], off
	s_waitcnt vmcnt(0)
	v_lshlrev_b32_e32 v40, 16, v40
	buffer_store_dword v40, off, s[36:39], 0 offset:384 ; 4-byte Folded Spill
.LBB197_107:                            ;   in Loop: Header=BB197_86 Depth=1
	;; [unrolled: 58-line block ×5, first 2 shown]
	s_or_b64 exec, exec, s[0:1]
	v_add_co_u32_e32 v40, vcc, 0xffffff0f, v37
	v_addc_co_u32_e32 v41, vcc, -1, v38, vcc
	v_cmp_gt_i64_e32 vcc, s[12:13], v[40:41]
	s_and_saveexec_b64 s[0:1], vcc
	s_cbranch_execz .LBB197_121
; %bb.120:                              ;   in Loop: Header=BB197_86 Depth=1
	buffer_load_dword v17, off, s[36:39], 0 offset:128 ; 4-byte Folded Reload
	s_waitcnt vmcnt(0)
	v_add_co_u32_e32 v40, vcc, v17, v33
	buffer_load_dword v17, off, s[36:39], 0 offset:132 ; 4-byte Folded Reload
	s_waitcnt vmcnt(0)
	v_addc_co_u32_e32 v41, vcc, v17, v34, vcc
	global_load_ushort v17, v[40:41], off
	s_waitcnt vmcnt(0)
	v_lshlrev_b32_e32 v17, 16, v17
	buffer_load_dword v40, off, s[36:39], 0 offset:136 ; 4-byte Folded Reload
	buffer_load_dword v41, off, s[36:39], 0 offset:140 ; 4-byte Folded Reload
	s_waitcnt vmcnt(1)
	v_add_co_u32_e32 v40, vcc, v40, v33
	s_waitcnt vmcnt(0)
	v_addc_co_u32_e32 v41, vcc, v41, v34, vcc
	global_load_ushort v40, v[40:41], off
	s_waitcnt vmcnt(0)
	v_lshlrev_b32_e32 v40, 16, v40
	buffer_store_dword v40, off, s[36:39], 0 offset:404 ; 4-byte Folded Spill
.LBB197_121:                            ;   in Loop: Header=BB197_86 Depth=1
	s_or_b64 exec, exec, s[0:1]
	v_add_co_u32_e32 v40, vcc, 0xffffff10, v37
	v_addc_co_u32_e32 v41, vcc, -1, v38, vcc
	v_cmp_gt_i64_e32 vcc, s[12:13], v[40:41]
	v_mov_b32_e32 v40, 0
	s_and_saveexec_b64 s[0:1], vcc
	s_cbranch_execz .LBB197_123
; %bb.122:                              ;   in Loop: Header=BB197_86 Depth=1
	buffer_load_dword v18, off, s[36:39], 0 offset:112 ; 4-byte Folded Reload
	s_waitcnt vmcnt(0)
	v_add_co_u32_e32 v40, vcc, v18, v33
	buffer_load_dword v18, off, s[36:39], 0 offset:116 ; 4-byte Folded Reload
	s_waitcnt vmcnt(0)
	v_addc_co_u32_e32 v41, vcc, v18, v34, vcc
	global_load_ushort v18, v[40:41], off
	s_waitcnt vmcnt(0)
	v_lshlrev_b32_e32 v18, 16, v18
	buffer_load_dword v40, off, s[36:39], 0 offset:120 ; 4-byte Folded Reload
	buffer_load_dword v41, off, s[36:39], 0 offset:124 ; 4-byte Folded Reload
	s_waitcnt vmcnt(1)
	v_add_co_u32_e32 v40, vcc, v40, v33
	s_waitcnt vmcnt(0)
	v_addc_co_u32_e32 v41, vcc, v41, v34, vcc
	global_load_ushort v40, v[40:41], off
	s_waitcnt vmcnt(0)
	v_lshlrev_b32_e32 v40, 16, v40
.LBB197_123:                            ;   in Loop: Header=BB197_86 Depth=1
	s_or_b64 exec, exec, s[0:1]
	s_waitcnt vmcnt(14)
	ds_bpermute_b32 v41, v35, v39
	v_mul_f32_e32 v3, v36, v3
	s_mov_b64 s[0:1], 0
	s_waitcnt lgkmcnt(0)
	v_fma_f32 v36, v3, v41, v63
	buffer_load_dword v41, off, s[36:39], 0 offset:360 ; 4-byte Folded Reload
	ds_bpermute_b32 v3, v35, v39 offset:4
	s_waitcnt vmcnt(0)
	v_mul_f32_e32 v4, v41, v4
	s_waitcnt lgkmcnt(0)
	v_fmac_f32_e32 v36, v4, v3
	buffer_load_dword v4, off, s[36:39], 0 offset:356 ; 4-byte Folded Reload
	ds_bpermute_b32 v3, v35, v39 offset:8
	s_waitcnt vmcnt(0)
	v_mul_f32_e32 v4, v4, v5
	s_waitcnt lgkmcnt(0)
	v_fmac_f32_e32 v36, v4, v3
	;; [unrolled: 6-line block ×14, first 2 shown]
	ds_bpermute_b32 v3, v35, v39 offset:60
	v_mul_f32_e32 v4, v40, v18
	s_waitcnt lgkmcnt(0)
	v_fmac_f32_e32 v36, v4, v3
.LBB197_124:                            ;   in Loop: Header=BB197_86 Depth=1
	s_and_b64 vcc, exec, s[0:1]
	s_cbranch_vccz .LBB197_130
; %bb.125:                              ;   in Loop: Header=BB197_86 Depth=1
	s_load_dword s0, s[2:3], 0x0
	buffer_load_dword v4, off, s[36:39], 0 offset:208 ; 4-byte Folded Reload
	v_mov_b32_e32 v5, 0
	s_waitcnt lgkmcnt(0)
	s_cmp_lt_u32 s6, s0
	s_cselect_b32 s0, 12, 18
	s_add_u32 s0, s2, s0
	s_addc_u32 s1, s3, 0
	global_load_ushort v3, v2, s[0:1]
	s_waitcnt vmcnt(0)
	v_mad_u32_u24 v3, v4, v3, v42
	v_and_b32_e32 v3, 63, v3
	v_cmp_gt_u32_e32 vcc, 16, v3
	s_and_saveexec_b64 s[0:1], vcc
	s_cbranch_execz .LBB197_129
; %bb.126:                              ;   in Loop: Header=BB197_86 Depth=1
	v_add_co_u32_e32 v3, vcc, v37, v3
	v_addc_co_u32_e32 v4, vcc, 0, v38, vcc
	v_add_co_u32_e32 v3, vcc, 0xffffff01, v3
	v_addc_co_u32_e32 v4, vcc, -1, v4, vcc
	v_cmp_gt_i64_e32 vcc, s[12:13], v[3:4]
	v_mov_b32_e32 v5, 0
	s_and_saveexec_b64 s[16:17], vcc
	s_cbranch_execz .LBB197_128
; %bb.127:                              ;   in Loop: Header=BB197_86 Depth=1
	v_lshlrev_b64 v[3:4], 2, v[3:4]
	v_mov_b32_e32 v5, s11
	v_add_co_u32_e32 v3, vcc, s10, v3
	v_addc_co_u32_e32 v4, vcc, v5, v4, vcc
	global_load_dword v5, v[3:4], off
.LBB197_128:                            ;   in Loop: Header=BB197_86 Depth=1
	s_or_b64 exec, exec, s[16:17]
.LBB197_129:                            ;   in Loop: Header=BB197_86 Depth=1
	s_or_b64 exec, exec, s[0:1]
	buffer_load_dword v3, off, s[36:39], 0  ; 4-byte Folded Reload
	buffer_load_dword v4, off, s[36:39], 0 offset:4 ; 4-byte Folded Reload
	s_waitcnt vmcnt(1)
	v_add_co_u32_e32 v3, vcc, v3, v33
	s_waitcnt vmcnt(0)
	v_addc_co_u32_e32 v4, vcc, v4, v34, vcc
	global_load_ushort v6, v[3:4], off
	s_nop 0
	buffer_load_dword v3, off, s[36:39], 0 offset:8 ; 4-byte Folded Reload
	buffer_load_dword v4, off, s[36:39], 0 offset:12 ; 4-byte Folded Reload
	s_waitcnt vmcnt(1)
	v_add_co_u32_e32 v3, vcc, v3, v33
	s_waitcnt vmcnt(0)
	v_addc_co_u32_e32 v4, vcc, v4, v34, vcc
	global_load_ushort v4, v[3:4], off
	v_lshlrev_b32_e32 v3, 16, v6
	s_waitcnt vmcnt(0)
	v_lshlrev_b32_e32 v4, 16, v4
	v_mul_f32_e32 v3, v3, v4
	ds_bpermute_b32 v4, v35, v5
	s_waitcnt lgkmcnt(0)
	v_fmac_f32_e32 v63, v3, v4
	buffer_load_dword v3, off, s[36:39], 0 offset:16 ; 4-byte Folded Reload
	buffer_load_dword v4, off, s[36:39], 0 offset:20 ; 4-byte Folded Reload
	s_waitcnt vmcnt(1)
	v_add_co_u32_e32 v3, vcc, v3, v33
	s_waitcnt vmcnt(0)
	v_addc_co_u32_e32 v4, vcc, v4, v34, vcc
	global_load_ushort v6, v[3:4], off
	s_nop 0
	buffer_load_dword v3, off, s[36:39], 0 offset:24 ; 4-byte Folded Reload
	buffer_load_dword v4, off, s[36:39], 0 offset:28 ; 4-byte Folded Reload
	s_waitcnt vmcnt(1)
	v_add_co_u32_e32 v3, vcc, v3, v33
	s_waitcnt vmcnt(0)
	v_addc_co_u32_e32 v4, vcc, v4, v34, vcc
	global_load_ushort v3, v[3:4], off
	v_lshlrev_b32_e32 v4, 16, v6
	s_waitcnt vmcnt(0)
	v_lshlrev_b32_e32 v3, 16, v3
	v_mul_f32_e32 v3, v4, v3
	ds_bpermute_b32 v4, v35, v5 offset:4
	s_waitcnt lgkmcnt(0)
	v_fmac_f32_e32 v63, v3, v4
	buffer_load_dword v3, off, s[36:39], 0 offset:32 ; 4-byte Folded Reload
	buffer_load_dword v4, off, s[36:39], 0 offset:36 ; 4-byte Folded Reload
	s_waitcnt vmcnt(1)
	v_add_co_u32_e32 v3, vcc, v3, v33
	s_waitcnt vmcnt(0)
	v_addc_co_u32_e32 v4, vcc, v4, v34, vcc
	global_load_ushort v6, v[3:4], off
	s_nop 0
	buffer_load_dword v3, off, s[36:39], 0 offset:40 ; 4-byte Folded Reload
	buffer_load_dword v4, off, s[36:39], 0 offset:44 ; 4-byte Folded Reload
	s_waitcnt vmcnt(1)
	v_add_co_u32_e32 v3, vcc, v3, v33
	s_waitcnt vmcnt(0)
	v_addc_co_u32_e32 v4, vcc, v4, v34, vcc
	global_load_ushort v3, v[3:4], off
	v_lshlrev_b32_e32 v4, 16, v6
	s_waitcnt vmcnt(0)
	v_lshlrev_b32_e32 v3, 16, v3
	v_mul_f32_e32 v3, v4, v3
	ds_bpermute_b32 v4, v35, v5 offset:8
	;; [unrolled: 22-line block ×6, first 2 shown]
	s_waitcnt lgkmcnt(0)
	v_fmac_f32_e32 v63, v3, v4
	v_add_co_u32_e32 v3, vcc, v45, v33
	v_addc_co_u32_e32 v4, vcc, v46, v34, vcc
	global_load_ushort v6, v[3:4], off
	v_add_co_u32_e32 v3, vcc, v43, v33
	v_addc_co_u32_e32 v4, vcc, v44, v34, vcc
	global_load_ushort v3, v[3:4], off
	s_waitcnt vmcnt(1)
	v_lshlrev_b32_e32 v4, 16, v6
	s_waitcnt vmcnt(0)
	v_lshlrev_b32_e32 v3, 16, v3
	v_mul_f32_e32 v3, v3, v4
	ds_bpermute_b32 v4, v35, v5 offset:28
	s_waitcnt lgkmcnt(0)
	v_fmac_f32_e32 v63, v3, v4
	v_add_co_u32_e32 v3, vcc, v49, v33
	v_addc_co_u32_e32 v4, vcc, v50, v34, vcc
	global_load_ushort v6, v[3:4], off
	v_add_co_u32_e32 v3, vcc, v47, v33
	v_addc_co_u32_e32 v4, vcc, v48, v34, vcc
	global_load_ushort v3, v[3:4], off
	s_waitcnt vmcnt(1)
	v_lshlrev_b32_e32 v4, 16, v6
	s_waitcnt vmcnt(0)
	v_lshlrev_b32_e32 v3, 16, v3
	v_mul_f32_e32 v3, v3, v4
	ds_bpermute_b32 v4, v35, v5 offset:32
	;; [unrolled: 14-line block ×9, first 2 shown]
	s_waitcnt lgkmcnt(0)
	v_fmac_f32_e32 v63, v3, v4
	v_mov_b32_e32 v36, v63
.LBB197_130:                            ;   in Loop: Header=BB197_86 Depth=1
	buffer_load_dword v3, off, s[36:39], 0  ; 4-byte Folded Reload
	buffer_load_dword v4, off, s[36:39], 0 offset:4 ; 4-byte Folded Reload
	s_add_u32 s20, s20, s7
	s_addc_u32 s21, s21, 0
	s_add_u32 s22, s22, s7
	s_addc_u32 s23, s23, 0
	s_waitcnt vmcnt(1)
	v_add_co_u32_e32 v3, vcc, s8, v3
	buffer_store_dword v3, off, s[36:39], 0 ; 4-byte Folded Spill
	v_mov_b32_e32 v3, s9
	s_waitcnt vmcnt(1)
	v_addc_co_u32_e32 v4, vcc, v4, v3, vcc
	buffer_store_dword v4, off, s[36:39], 0 offset:4 ; 4-byte Folded Spill
	buffer_load_dword v4, off, s[36:39], 0 offset:8 ; 4-byte Folded Reload
	s_waitcnt vmcnt(0)
	v_add_co_u32_e32 v4, vcc, s8, v4
	buffer_store_dword v4, off, s[36:39], 0 offset:8 ; 4-byte Folded Spill
	buffer_load_dword v4, off, s[36:39], 0 offset:12 ; 4-byte Folded Reload
	s_waitcnt vmcnt(0)
	v_addc_co_u32_e32 v4, vcc, v4, v3, vcc
	buffer_store_dword v4, off, s[36:39], 0 offset:12 ; 4-byte Folded Spill
	buffer_load_dword v4, off, s[36:39], 0 offset:16 ; 4-byte Folded Reload
	s_nop 0
	buffer_load_dword v5, off, s[36:39], 0 offset:20 ; 4-byte Folded Reload
	s_waitcnt vmcnt(1)
	v_add_co_u32_e32 v4, vcc, s8, v4
	s_waitcnt vmcnt(0)
	v_addc_co_u32_e32 v5, vcc, v5, v3, vcc
	buffer_store_dword v4, off, s[36:39], 0 offset:16 ; 4-byte Folded Spill
	s_nop 0
	buffer_store_dword v5, off, s[36:39], 0 offset:20 ; 4-byte Folded Spill
	buffer_load_dword v4, off, s[36:39], 0 offset:32 ; 4-byte Folded Reload
	s_nop 0
	buffer_load_dword v5, off, s[36:39], 0 offset:36 ; 4-byte Folded Reload
	s_waitcnt vmcnt(1)
	v_add_co_u32_e32 v4, vcc, s8, v4
	s_waitcnt vmcnt(0)
	v_addc_co_u32_e32 v5, vcc, v5, v3, vcc
	buffer_store_dword v4, off, s[36:39], 0 offset:32 ; 4-byte Folded Spill
	s_nop 0
	;; [unrolled: 10-line block ×6, first 2 shown]
	buffer_store_dword v5, off, s[36:39], 0 offset:100 ; 4-byte Folded Spill
	buffer_load_dword v4, off, s[36:39], 0 offset:24 ; 4-byte Folded Reload
	s_nop 0
	buffer_load_dword v5, off, s[36:39], 0 offset:28 ; 4-byte Folded Reload
	v_add_co_u32_e32 v43, vcc, s8, v43
	v_addc_co_u32_e32 v44, vcc, v44, v3, vcc
	v_add_co_u32_e32 v47, vcc, s8, v47
	v_addc_co_u32_e32 v48, vcc, v48, v3, vcc
	;; [unrolled: 2-line block ×9, first 2 shown]
	s_waitcnt vmcnt(1)
	v_add_co_u32_e32 v4, vcc, s8, v4
	s_waitcnt vmcnt(0)
	v_addc_co_u32_e32 v5, vcc, v5, v3, vcc
	buffer_store_dword v4, off, s[36:39], 0 offset:24 ; 4-byte Folded Spill
	s_nop 0
	buffer_store_dword v5, off, s[36:39], 0 offset:28 ; 4-byte Folded Spill
	buffer_load_dword v4, off, s[36:39], 0 offset:40 ; 4-byte Folded Reload
	s_nop 0
	buffer_load_dword v5, off, s[36:39], 0 offset:44 ; 4-byte Folded Reload
	s_waitcnt vmcnt(1)
	v_add_co_u32_e32 v4, vcc, s8, v4
	s_waitcnt vmcnt(0)
	v_addc_co_u32_e32 v5, vcc, v5, v3, vcc
	buffer_store_dword v4, off, s[36:39], 0 offset:40 ; 4-byte Folded Spill
	s_nop 0
	buffer_store_dword v5, off, s[36:39], 0 offset:44 ; 4-byte Folded Spill
	buffer_load_dword v4, off, s[36:39], 0 offset:56 ; 4-byte Folded Reload
	s_nop 0
	buffer_load_dword v5, off, s[36:39], 0 offset:60 ; 4-byte Folded Reload
	;; [unrolled: 10-line block ×5, first 2 shown]
	s_waitcnt vmcnt(1)
	v_add_co_u32_e32 v4, vcc, s8, v4
	s_waitcnt vmcnt(0)
	v_addc_co_u32_e32 v5, vcc, v5, v3, vcc
	buffer_store_dword v4, off, s[36:39], 0 offset:104 ; 4-byte Folded Spill
	s_nop 0
	buffer_store_dword v5, off, s[36:39], 0 offset:108 ; 4-byte Folded Spill
	buffer_load_dword v4, off, s[36:39], 0 offset:112 ; 4-byte Folded Reload
	v_add_co_u32_e32 v45, vcc, s8, v45
	v_addc_co_u32_e32 v46, vcc, v46, v3, vcc
	v_add_co_u32_e32 v49, vcc, s8, v49
	v_addc_co_u32_e32 v50, vcc, v50, v3, vcc
	;; [unrolled: 2-line block ×9, first 2 shown]
	s_waitcnt vmcnt(0)
	v_add_co_u32_e32 v4, vcc, s8, v4
	buffer_store_dword v4, off, s[36:39], 0 offset:112 ; 4-byte Folded Spill
	buffer_load_dword v4, off, s[36:39], 0 offset:116 ; 4-byte Folded Reload
	s_waitcnt vmcnt(0)
	v_addc_co_u32_e32 v4, vcc, v4, v3, vcc
	buffer_store_dword v4, off, s[36:39], 0 offset:116 ; 4-byte Folded Spill
	buffer_load_dword v4, off, s[36:39], 0 offset:120 ; 4-byte Folded Reload
	s_waitcnt vmcnt(0)
	v_add_co_u32_e32 v4, vcc, s8, v4
	buffer_store_dword v4, off, s[36:39], 0 offset:120 ; 4-byte Folded Spill
	buffer_load_dword v4, off, s[36:39], 0 offset:124 ; 4-byte Folded Reload
	s_waitcnt vmcnt(0)
	v_addc_co_u32_e32 v4, vcc, v4, v3, vcc
	buffer_store_dword v4, off, s[36:39], 0 offset:124 ; 4-byte Folded Spill
	buffer_load_dword v4, off, s[36:39], 0 offset:128 ; 4-byte Folded Reload
	;; [unrolled: 8-line block ×29, first 2 shown]
	s_waitcnt vmcnt(0)
	v_add_co_u32_e32 v4, vcc, s8, v4
	buffer_store_dword v4, off, s[36:39], 0 offset:348 ; 4-byte Folded Spill
	buffer_load_dword v4, off, s[36:39], 0 offset:352 ; 4-byte Folded Reload
	s_waitcnt vmcnt(0)
	v_addc_co_u32_e32 v4, vcc, v4, v3, vcc
	buffer_store_dword v4, off, s[36:39], 0 offset:352 ; 4-byte Folded Spill
	v_mov_b32_e32 v3, s12
	v_mov_b32_e32 v4, s13
	v_cmp_ge_i64_e32 vcc, s[20:21], v[3:4]
	s_cbranch_vccnz .LBB197_132
; %bb.131:                              ;   in Loop: Header=BB197_86 Depth=1
	v_mov_b32_e32 v63, v36
	s_branch .LBB197_86
.LBB197_132:
	buffer_load_dword v2, off, s[36:39], 0 offset:208 ; 4-byte Folded Reload
	s_movk_i32 s0, 0x41
	v_mov_b32_e32 v1, 0
	s_waitcnt vmcnt(0)
	v_mad_u32_u24 v0, v2, s0, v42
	v_lshl_add_u32 v0, v0, 2, 0
	ds_write_b32 v0, v36
	ds_write_b32 v0, v1 offset:4160
	v_lshrrev_b32_e32 v0, 6, v42
	v_add_u32_e32 v2, v0, v2
	v_cmp_gt_u32_e32 vcc, 64, v2
	s_waitcnt lgkmcnt(0)
	s_barrier
	s_and_saveexec_b64 s[0:1], vcc
	s_cbranch_execz .LBB197_152
; %bb.133:
	s_load_dwordx2 s[4:5], s[4:5], 0x30
	v_and_b32_e32 v0, 63, v42
	v_cmp_gt_u32_e64 s[0:1], 16, v0
	v_mul_u32_u24_e32 v3, 0x41, v0
                                        ; implicit-def: $vgpr0
	s_and_saveexec_b64 s[2:3], s[0:1]
; %bb.134:
	v_lshlrev_b32_e32 v0, 2, v2
	v_lshlrev_b32_e32 v1, 2, v3
	v_add3_u32 v0, 0, v0, v1
	ds_read_b32 v0, v0
; %bb.135:
	s_or_b64 exec, exec, s[2:3]
	v_mbcnt_lo_u32_b32 v1, -1, 0
	v_mbcnt_hi_u32_b32 v1, -1, v1
	v_and_b32_e32 v4, 64, v1
	v_add_u32_e32 v7, 64, v4
	v_xor_b32_e32 v4, 8, v1
	v_cmp_lt_i32_e32 vcc, v4, v7
	v_cndmask_b32_e32 v4, v1, v4, vcc
	v_lshlrev_b32_e32 v4, 2, v4
	s_waitcnt lgkmcnt(0)
	ds_bpermute_b32 v5, v4, v0
	v_xor_b32_e32 v6, 4, v1
	v_cmp_lt_i32_e32 vcc, v6, v7
	v_xor_b32_e32 v8, 2, v1
	s_mov_b32 s7, 0
	s_waitcnt lgkmcnt(0)
	v_add_f32_e32 v0, v0, v5
	v_cndmask_b32_e32 v5, v1, v6, vcc
	v_lshlrev_b32_e32 v5, 2, v5
	ds_bpermute_b32 v6, v5, v0
	v_cmp_lt_i32_e32 vcc, v8, v7
	s_lshl_b64 s[6:7], s[6:7], 6
	v_cmp_ne_u32_e64 s[2:3], 0, v42
	s_cmp_eq_u64 s[4:5], 0
	s_waitcnt lgkmcnt(0)
	v_add_f32_e32 v0, v0, v6
	v_cndmask_b32_e32 v6, v1, v8, vcc
	v_lshlrev_b32_e32 v6, 2, v6
	ds_bpermute_b32 v8, v6, v0
	s_cselect_b64 s[8:9], -1, 0
	s_waitcnt lgkmcnt(0)
	v_add_f32_e32 v8, v0, v8
	v_xor_b32_e32 v0, 1, v1
	v_cmp_lt_i32_e32 vcc, v0, v7
	v_cndmask_b32_e32 v0, v1, v0, vcc
	v_lshlrev_b32_e32 v7, 2, v0
	ds_bpermute_b32 v9, v7, v8
	v_or_b32_e32 v0, s6, v2
	v_mov_b32_e32 v1, s7
	v_cmp_le_i64_e32 vcc, s[14:15], v[0:1]
	s_or_b64 s[10:11], s[2:3], vcc
	s_waitcnt lgkmcnt(0)
	v_add_f32_e32 v8, v8, v9
	s_nor_b64 s[12:13], s[8:9], s[10:11]
	s_and_saveexec_b64 s[10:11], s[12:13]
	s_cbranch_execz .LBB197_137
; %bb.136:
	v_bfe_u32 v9, v8, 16, 1
	s_movk_i32 s12, 0x7fff
	v_lshlrev_b64 v[0:1], 1, v[0:1]
	v_add3_u32 v9, v8, v9, s12
	v_cmp_o_f32_e32 vcc, v8, v8
	v_mov_b32_e32 v10, 0x7fc0
	v_cndmask_b32_sdwa v9, v10, v9, vcc dst_sel:DWORD dst_unused:UNUSED_PAD src0_sel:DWORD src1_sel:WORD_1
	v_mov_b32_e32 v10, s5
	v_add_co_u32_e32 v0, vcc, s4, v0
	v_addc_co_u32_e32 v1, vcc, v10, v1, vcc
	global_store_short v[0:1], v9, off
.LBB197_137:
	s_or_b64 exec, exec, s[10:11]
	v_cmp_gt_u32_e32 vcc, 48, v2
	s_and_b64 exec, exec, vcc
	s_cbranch_execz .LBB197_152
; %bb.138:
	s_and_saveexec_b64 s[10:11], s[0:1]
; %bb.139:
	v_lshlrev_b32_e32 v0, 2, v2
	v_lshlrev_b32_e32 v1, 2, v3
	v_add3_u32 v0, 0, v0, v1
	ds_read_b32 v8, v0 offset:64
; %bb.140:
	s_or_b64 exec, exec, s[10:11]
	s_waitcnt lgkmcnt(0)
	ds_bpermute_b32 v0, v4, v8
	v_mov_b32_e32 v9, s7
	s_waitcnt lgkmcnt(0)
	v_add_f32_e32 v0, v8, v0
	ds_bpermute_b32 v1, v5, v0
	v_add_u32_e32 v8, 16, v2
	s_waitcnt lgkmcnt(0)
	v_add_f32_e32 v0, v0, v1
	ds_bpermute_b32 v1, v6, v0
	s_waitcnt lgkmcnt(0)
	v_add_f32_e32 v10, v0, v1
	ds_bpermute_b32 v11, v7, v10
	v_add_co_u32_e32 v0, vcc, s6, v8
	v_addc_co_u32_e32 v1, vcc, 0, v9, vcc
	v_cmp_le_i64_e32 vcc, s[14:15], v[0:1]
	s_waitcnt lgkmcnt(0)
	v_add_f32_e32 v0, v10, v11
	s_or_b64 s[10:11], s[2:3], vcc
	s_nor_b64 s[12:13], s[8:9], s[10:11]
	s_and_saveexec_b64 s[10:11], s[12:13]
	s_cbranch_execz .LBB197_142
; %bb.141:
	v_bfe_u32 v1, v0, 16, 1
	s_movk_i32 s12, 0x7fff
	v_add3_u32 v1, v0, v1, s12
	v_cmp_o_f32_e32 vcc, v0, v0
	v_mov_b32_e32 v8, 0x7fc0
	v_cndmask_b32_sdwa v1, v8, v1, vcc dst_sel:DWORD dst_unused:UNUSED_PAD src0_sel:DWORD src1_sel:WORD_1
	v_mov_b32_e32 v9, s7
	v_add_co_u32_e32 v8, vcc, s6, v2
	v_addc_co_u32_e32 v9, vcc, 0, v9, vcc
	v_lshlrev_b64 v[8:9], 1, v[8:9]
	v_mov_b32_e32 v10, s5
	v_add_co_u32_e32 v8, vcc, s4, v8
	v_addc_co_u32_e32 v9, vcc, v10, v9, vcc
	global_store_short v[8:9], v1, off offset:32
.LBB197_142:
	s_or_b64 exec, exec, s[10:11]
	v_cmp_gt_u32_e32 vcc, 32, v2
	s_and_b64 exec, exec, vcc
	s_cbranch_execz .LBB197_152
; %bb.143:
	s_and_saveexec_b64 s[10:11], s[0:1]
; %bb.144:
	v_lshlrev_b32_e32 v0, 2, v2
	v_lshlrev_b32_e32 v1, 2, v3
	v_add3_u32 v0, 0, v0, v1
	ds_read_b32 v0, v0 offset:128
; %bb.145:
	s_or_b64 exec, exec, s[10:11]
	s_waitcnt lgkmcnt(0)
	ds_bpermute_b32 v1, v4, v0
	v_add_u32_e32 v9, 32, v2
	s_waitcnt lgkmcnt(0)
	v_add_f32_e32 v0, v0, v1
	ds_bpermute_b32 v1, v5, v0
	s_waitcnt lgkmcnt(0)
	v_add_f32_e32 v0, v0, v1
	ds_bpermute_b32 v8, v6, v0
	v_mov_b32_e32 v1, s7
	s_waitcnt lgkmcnt(0)
	v_add_f32_e32 v8, v0, v8
	ds_bpermute_b32 v10, v7, v8
	v_or_b32_e32 v0, s6, v9
	v_cmp_le_i64_e32 vcc, s[14:15], v[0:1]
	s_or_b64 s[10:11], s[2:3], vcc
	s_waitcnt lgkmcnt(0)
	v_add_f32_e32 v0, v8, v10
	s_nor_b64 s[12:13], s[8:9], s[10:11]
	s_and_saveexec_b64 s[10:11], s[12:13]
	s_cbranch_execz .LBB197_147
; %bb.146:
	v_bfe_u32 v1, v0, 16, 1
	s_movk_i32 s12, 0x7fff
	v_add3_u32 v1, v0, v1, s12
	v_cmp_o_f32_e32 vcc, v0, v0
	v_mov_b32_e32 v8, 0x7fc0
	v_cndmask_b32_sdwa v1, v8, v1, vcc dst_sel:DWORD dst_unused:UNUSED_PAD src0_sel:DWORD src1_sel:WORD_1
	v_mov_b32_e32 v9, s7
	v_add_co_u32_e32 v8, vcc, s6, v2
	v_addc_co_u32_e32 v9, vcc, 0, v9, vcc
	v_lshlrev_b64 v[8:9], 1, v[8:9]
	v_mov_b32_e32 v10, s5
	v_add_co_u32_e32 v8, vcc, s4, v8
	v_addc_co_u32_e32 v9, vcc, v10, v9, vcc
	global_store_short v[8:9], v1, off offset:64
.LBB197_147:
	s_or_b64 exec, exec, s[10:11]
	v_cmp_gt_u32_e32 vcc, 16, v2
	s_and_b64 exec, exec, vcc
	s_cbranch_execz .LBB197_152
; %bb.148:
	s_and_saveexec_b64 s[10:11], s[0:1]
; %bb.149:
	v_lshlrev_b32_e32 v0, 2, v2
	v_lshlrev_b32_e32 v1, 2, v3
	v_add3_u32 v0, 0, v0, v1
	ds_read_b32 v0, v0 offset:192
; %bb.150:
	s_or_b64 exec, exec, s[10:11]
	s_waitcnt lgkmcnt(0)
	ds_bpermute_b32 v1, v4, v0
	v_add_u32_e32 v3, 48, v2
	v_or_b32_e32 v3, s6, v3
	v_mov_b32_e32 v4, s7
	v_cmp_le_i64_e32 vcc, s[14:15], v[3:4]
	s_waitcnt lgkmcnt(0)
	v_add_f32_e32 v0, v0, v1
	ds_bpermute_b32 v1, v5, v0
	s_or_b64 s[0:1], s[2:3], vcc
	s_nor_b64 s[0:1], s[8:9], s[0:1]
	s_waitcnt lgkmcnt(0)
	v_add_f32_e32 v0, v0, v1
	ds_bpermute_b32 v1, v6, v0
	s_waitcnt lgkmcnt(0)
	v_add_f32_e32 v0, v0, v1
	ds_bpermute_b32 v1, v7, v0
	s_and_saveexec_b64 s[2:3], s[0:1]
	s_xor_b64 s[2:3], exec, s[2:3]
	s_cbranch_execz .LBB197_152
; %bb.151:
	s_waitcnt lgkmcnt(0)
	v_add_f32_e32 v0, v0, v1
	v_bfe_u32 v1, v0, 16, 1
	s_movk_i32 s0, 0x7fff
	v_add3_u32 v1, v0, v1, s0
	v_cmp_o_f32_e32 vcc, v0, v0
	v_mov_b32_e32 v0, 0x7fc0
	v_cndmask_b32_sdwa v3, v0, v1, vcc dst_sel:DWORD dst_unused:UNUSED_PAD src0_sel:DWORD src1_sel:WORD_1
	v_mov_b32_e32 v1, s7
	v_add_co_u32_e32 v0, vcc, s6, v2
	v_addc_co_u32_e32 v1, vcc, 0, v1, vcc
	v_lshlrev_b64 v[0:1], 1, v[0:1]
	v_mov_b32_e32 v2, s5
	v_add_co_u32_e32 v0, vcc, s4, v0
	v_addc_co_u32_e32 v1, vcc, v2, v1, vcc
	global_store_short v[0:1], v3, off offset:96
.LBB197_152:
	s_endpgm
	.section	.rodata,"a",@progbits
	.p2align	6, 0x0
	.amdhsa_kernel _ZN2at6native12_GLOBAL__N_135GammaBetaBackwardCUDAKernelTemplateIN3c108BFloat16EfLj64ELj16ELj256ELb0ELb0ELb1EEEvllPKT_S7_PKT0_SA_PS5_SB_
		.amdhsa_group_segment_fixed_size 0
		.amdhsa_private_segment_fixed_size 420
		.amdhsa_kernarg_size 320
		.amdhsa_user_sgpr_count 6
		.amdhsa_user_sgpr_private_segment_buffer 1
		.amdhsa_user_sgpr_dispatch_ptr 0
		.amdhsa_user_sgpr_queue_ptr 0
		.amdhsa_user_sgpr_kernarg_segment_ptr 1
		.amdhsa_user_sgpr_dispatch_id 0
		.amdhsa_user_sgpr_flat_scratch_init 0
		.amdhsa_user_sgpr_private_segment_size 0
		.amdhsa_uses_dynamic_stack 0
		.amdhsa_system_sgpr_private_segment_wavefront_offset 1
		.amdhsa_system_sgpr_workgroup_id_x 1
		.amdhsa_system_sgpr_workgroup_id_y 1
		.amdhsa_system_sgpr_workgroup_id_z 0
		.amdhsa_system_sgpr_workgroup_info 0
		.amdhsa_system_vgpr_workitem_id 1
		.amdhsa_next_free_vgpr 64
		.amdhsa_next_free_sgpr 40
		.amdhsa_reserve_vcc 1
		.amdhsa_reserve_flat_scratch 0
		.amdhsa_float_round_mode_32 0
		.amdhsa_float_round_mode_16_64 0
		.amdhsa_float_denorm_mode_32 3
		.amdhsa_float_denorm_mode_16_64 3
		.amdhsa_dx10_clamp 1
		.amdhsa_ieee_mode 1
		.amdhsa_fp16_overflow 0
		.amdhsa_exception_fp_ieee_invalid_op 0
		.amdhsa_exception_fp_denorm_src 0
		.amdhsa_exception_fp_ieee_div_zero 0
		.amdhsa_exception_fp_ieee_overflow 0
		.amdhsa_exception_fp_ieee_underflow 0
		.amdhsa_exception_fp_ieee_inexact 0
		.amdhsa_exception_int_div_zero 0
	.end_amdhsa_kernel
	.section	.text._ZN2at6native12_GLOBAL__N_135GammaBetaBackwardCUDAKernelTemplateIN3c108BFloat16EfLj64ELj16ELj256ELb0ELb0ELb1EEEvllPKT_S7_PKT0_SA_PS5_SB_,"axG",@progbits,_ZN2at6native12_GLOBAL__N_135GammaBetaBackwardCUDAKernelTemplateIN3c108BFloat16EfLj64ELj16ELj256ELb0ELb0ELb1EEEvllPKT_S7_PKT0_SA_PS5_SB_,comdat
.Lfunc_end197:
	.size	_ZN2at6native12_GLOBAL__N_135GammaBetaBackwardCUDAKernelTemplateIN3c108BFloat16EfLj64ELj16ELj256ELb0ELb0ELb1EEEvllPKT_S7_PKT0_SA_PS5_SB_, .Lfunc_end197-_ZN2at6native12_GLOBAL__N_135GammaBetaBackwardCUDAKernelTemplateIN3c108BFloat16EfLj64ELj16ELj256ELb0ELb0ELb1EEEvllPKT_S7_PKT0_SA_PS5_SB_
                                        ; -- End function
	.set _ZN2at6native12_GLOBAL__N_135GammaBetaBackwardCUDAKernelTemplateIN3c108BFloat16EfLj64ELj16ELj256ELb0ELb0ELb1EEEvllPKT_S7_PKT0_SA_PS5_SB_.num_vgpr, 64
	.set _ZN2at6native12_GLOBAL__N_135GammaBetaBackwardCUDAKernelTemplateIN3c108BFloat16EfLj64ELj16ELj256ELb0ELb0ELb1EEEvllPKT_S7_PKT0_SA_PS5_SB_.num_agpr, 0
	.set _ZN2at6native12_GLOBAL__N_135GammaBetaBackwardCUDAKernelTemplateIN3c108BFloat16EfLj64ELj16ELj256ELb0ELb0ELb1EEEvllPKT_S7_PKT0_SA_PS5_SB_.numbered_sgpr, 40
	.set _ZN2at6native12_GLOBAL__N_135GammaBetaBackwardCUDAKernelTemplateIN3c108BFloat16EfLj64ELj16ELj256ELb0ELb0ELb1EEEvllPKT_S7_PKT0_SA_PS5_SB_.num_named_barrier, 0
	.set _ZN2at6native12_GLOBAL__N_135GammaBetaBackwardCUDAKernelTemplateIN3c108BFloat16EfLj64ELj16ELj256ELb0ELb0ELb1EEEvllPKT_S7_PKT0_SA_PS5_SB_.private_seg_size, 420
	.set _ZN2at6native12_GLOBAL__N_135GammaBetaBackwardCUDAKernelTemplateIN3c108BFloat16EfLj64ELj16ELj256ELb0ELb0ELb1EEEvllPKT_S7_PKT0_SA_PS5_SB_.uses_vcc, 1
	.set _ZN2at6native12_GLOBAL__N_135GammaBetaBackwardCUDAKernelTemplateIN3c108BFloat16EfLj64ELj16ELj256ELb0ELb0ELb1EEEvllPKT_S7_PKT0_SA_PS5_SB_.uses_flat_scratch, 0
	.set _ZN2at6native12_GLOBAL__N_135GammaBetaBackwardCUDAKernelTemplateIN3c108BFloat16EfLj64ELj16ELj256ELb0ELb0ELb1EEEvllPKT_S7_PKT0_SA_PS5_SB_.has_dyn_sized_stack, 0
	.set _ZN2at6native12_GLOBAL__N_135GammaBetaBackwardCUDAKernelTemplateIN3c108BFloat16EfLj64ELj16ELj256ELb0ELb0ELb1EEEvllPKT_S7_PKT0_SA_PS5_SB_.has_recursion, 0
	.set _ZN2at6native12_GLOBAL__N_135GammaBetaBackwardCUDAKernelTemplateIN3c108BFloat16EfLj64ELj16ELj256ELb0ELb0ELb1EEEvllPKT_S7_PKT0_SA_PS5_SB_.has_indirect_call, 0
	.section	.AMDGPU.csdata,"",@progbits
; Kernel info:
; codeLenInByte = 18732
; TotalNumSgprs: 44
; NumVgprs: 64
; ScratchSize: 420
; MemoryBound: 0
; FloatMode: 240
; IeeeMode: 1
; LDSByteSize: 0 bytes/workgroup (compile time only)
; SGPRBlocks: 5
; VGPRBlocks: 15
; NumSGPRsForWavesPerEU: 44
; NumVGPRsForWavesPerEU: 64
; Occupancy: 4
; WaveLimiterHint : 0
; COMPUTE_PGM_RSRC2:SCRATCH_EN: 1
; COMPUTE_PGM_RSRC2:USER_SGPR: 6
; COMPUTE_PGM_RSRC2:TRAP_HANDLER: 0
; COMPUTE_PGM_RSRC2:TGID_X_EN: 1
; COMPUTE_PGM_RSRC2:TGID_Y_EN: 1
; COMPUTE_PGM_RSRC2:TGID_Z_EN: 0
; COMPUTE_PGM_RSRC2:TIDIG_COMP_CNT: 1
	.section	.text._ZN2at6native12_GLOBAL__N_135GammaBetaBackwardCUDAKernelTemplateIN3c108BFloat16EfLj32ELj1ELj32ELb1ELb1ELb1EEEvllPKT_S7_PKT0_SA_PS5_SB_,"axG",@progbits,_ZN2at6native12_GLOBAL__N_135GammaBetaBackwardCUDAKernelTemplateIN3c108BFloat16EfLj32ELj1ELj32ELb1ELb1ELb1EEEvllPKT_S7_PKT0_SA_PS5_SB_,comdat
	.globl	_ZN2at6native12_GLOBAL__N_135GammaBetaBackwardCUDAKernelTemplateIN3c108BFloat16EfLj32ELj1ELj32ELb1ELb1ELb1EEEvllPKT_S7_PKT0_SA_PS5_SB_ ; -- Begin function _ZN2at6native12_GLOBAL__N_135GammaBetaBackwardCUDAKernelTemplateIN3c108BFloat16EfLj32ELj1ELj32ELb1ELb1ELb1EEEvllPKT_S7_PKT0_SA_PS5_SB_
	.p2align	8
	.type	_ZN2at6native12_GLOBAL__N_135GammaBetaBackwardCUDAKernelTemplateIN3c108BFloat16EfLj32ELj1ELj32ELb1ELb1ELb1EEEvllPKT_S7_PKT0_SA_PS5_SB_,@function
_ZN2at6native12_GLOBAL__N_135GammaBetaBackwardCUDAKernelTemplateIN3c108BFloat16EfLj32ELj1ELj32ELb1ELb1ELb1EEEvllPKT_S7_PKT0_SA_PS5_SB_: ; @_ZN2at6native12_GLOBAL__N_135GammaBetaBackwardCUDAKernelTemplateIN3c108BFloat16EfLj32ELj1ELj32ELb1ELb1ELb1EEEvllPKT_S7_PKT0_SA_PS5_SB_
; %bb.0:
	s_load_dwordx4 s[12:15], s[4:5], 0x0
	s_load_dwordx2 s[10:11], s[4:5], 0x30
	s_lshl_b32 s20, s7, 5
	s_mov_b32 s21, 0
	v_mov_b32_e32 v2, s20
	v_mov_b32_e32 v3, s21
	s_waitcnt lgkmcnt(0)
	v_cmp_le_i64_e32 vcc, s[12:13], v[2:3]
	s_mov_b32 s2, s7
	v_mov_b32_e32 v3, 0
	s_cbranch_vccnz .LBB198_7
; %bb.1:
	s_load_dword s0, s[4:5], 0x4c
	s_load_dword s3, s[4:5], 0x44
	s_load_dwordx4 s[16:19], s[4:5], 0x10
	s_load_dwordx2 s[8:9], s[4:5], 0x28
	v_lshlrev_b32_e32 v4, 5, v1
	s_waitcnt lgkmcnt(0)
	s_and_b32 s0, s0, 0xffff
	v_mad_u32_u24 v2, v1, s0, v0
	v_and_b32_e32 v5, 63, v2
	v_add_co_u32_e32 v9, vcc, s20, v4
	v_mbcnt_lo_u32_b32 v6, -1, 0
	v_addc_co_u32_e64 v10, s[22:23], 0, 0, vcc
	v_add_co_u32_e32 v4, vcc, v9, v5
	v_cmp_gt_u32_e64 s[0:1], 32, v5
	v_mbcnt_hi_u32_b32 v6, -1, v6
	v_addc_co_u32_e32 v5, vcc, 0, v10, vcc
	v_mul_lo_u32 v12, s15, v9
	v_mul_lo_u32 v13, s14, v10
	v_mad_u64_u32 v[9:10], s[22:23], s14, v9, 0
	v_lshlrev_b32_e32 v6, 2, v6
	v_and_b32_e32 v8, 0x100, v6
	v_lshlrev_b64 v[6:7], 2, v[4:5]
	v_mov_b32_e32 v3, 0
	v_lshl_or_b32 v2, s6, 5, v0
	v_mov_b32_e32 v11, s9
	v_add_co_u32_e32 v6, vcc, s8, v6
	v_add3_u32 v10, v10, v13, v12
	v_addc_co_u32_e32 v7, vcc, v11, v7, vcc
	v_lshlrev_b64 v[9:10], 1, v[9:10]
	v_lshlrev_b64 v[11:12], 1, v[2:3]
	s_lshl_b32 s22, s3, 5
	s_mul_i32 s3, s15, s22
	s_mul_hi_u32 s7, s14, s22
	v_add_co_u32_e32 v2, vcc, v9, v11
	s_mov_b32 s23, s21
	s_add_i32 s9, s7, s3
	s_mul_i32 s8, s14, s22
	v_addc_co_u32_e32 v9, vcc, v10, v12, vcc
	s_lshl_b64 s[24:25], s[22:23], 2
	s_lshl_b64 s[26:27], s[8:9], 1
	;; [unrolled: 1-line block ×3, first 2 shown]
	v_or_b32_e32 v10, 0x44, v8
	v_or_b32_e32 v11, 0x48, v8
	;; [unrolled: 1-line block ×15, first 2 shown]
	s_branch .LBB198_4
.LBB198_2:                              ;   in Loop: Header=BB198_4 Depth=1
	s_or_b64 exec, exec, s[30:31]
.LBB198_3:                              ;   in Loop: Header=BB198_4 Depth=1
	s_or_b64 exec, exec, s[8:9]
	v_mov_b32_e32 v26, s17
	v_add_co_u32_e32 v27, vcc, s16, v2
	v_addc_co_u32_e32 v28, vcc, v26, v9, vcc
	v_mov_b32_e32 v26, s29
	v_add_co_u32_e32 v29, vcc, s28, v27
	v_addc_co_u32_e32 v30, vcc, v28, v26, vcc
	global_load_ushort v33, v[27:28], off
	v_mov_b32_e32 v28, s19
	v_add_co_u32_e32 v27, vcc, s18, v2
	v_addc_co_u32_e32 v28, vcc, v28, v9, vcc
	global_load_ushort v34, v[27:28], off
	v_add_co_u32_e32 v27, vcc, s28, v27
	v_addc_co_u32_e32 v28, vcc, v28, v26, vcc
	global_load_ushort v35, v[29:30], off
	global_load_ushort v36, v[27:28], off
	v_add_co_u32_e32 v29, vcc, s28, v29
	v_addc_co_u32_e32 v30, vcc, v30, v26, vcc
	v_add_co_u32_e32 v27, vcc, s28, v27
	v_addc_co_u32_e32 v28, vcc, v28, v26, vcc
	global_load_ushort v37, v[29:30], off
	global_load_ushort v38, v[27:28], off
	v_add_co_u32_e32 v31, vcc, s28, v29
	v_addc_co_u32_e32 v32, vcc, v30, v26, vcc
	global_load_ushort v39, v[31:32], off
	v_add_co_u32_e32 v29, vcc, s28, v27
	v_addc_co_u32_e32 v30, vcc, v28, v26, vcc
	v_add_co_u32_e32 v27, vcc, s28, v31
	v_addc_co_u32_e32 v28, vcc, v32, v26, vcc
	;; [unrolled: 2-line block ×3, first 2 shown]
	global_load_ushort v40, v[29:30], off
	global_load_ushort v42, v[31:32], off
	v_add_co_u32_e32 v29, vcc, s28, v27
	v_addc_co_u32_e32 v30, vcc, v28, v26, vcc
	global_load_ushort v41, v[27:28], off
	v_add_co_u32_e32 v27, vcc, s28, v31
	v_addc_co_u32_e32 v28, vcc, v32, v26, vcc
	v_add_co_u32_e32 v31, vcc, s28, v29
	v_addc_co_u32_e32 v32, vcc, v30, v26, vcc
	global_load_ushort v43, v[29:30], off
	v_add_co_u32_e32 v29, vcc, s28, v27
	v_addc_co_u32_e32 v30, vcc, v28, v26, vcc
	global_load_ushort v44, v[27:28], off
	;; [unrolled: 3-line block ×3, first 2 shown]
	s_waitcnt vmcnt(13)
	ds_bpermute_b32 v32, v8, v25
	s_add_u32 s20, s20, s22
	s_addc_u32 s21, s21, 0
	v_add_co_u32_e64 v6, s[8:9], s24, v6
	s_waitcnt vmcnt(12)
	v_lshlrev_b32_e32 v33, 16, v33
	s_waitcnt vmcnt(11)
	v_lshlrev_b32_e32 v34, 16, v34
	v_mul_f32_e32 v33, v33, v34
	s_waitcnt lgkmcnt(0)
	v_fmac_f32_e32 v3, v33, v32
	global_load_ushort v33, v[29:30], off
	v_or_b32_e32 v34, 4, v8
	s_waitcnt vmcnt(11)
	v_lshlrev_b32_e32 v35, 16, v35
	s_waitcnt vmcnt(10)
	v_lshlrev_b32_e32 v36, 16, v36
	v_add_co_u32_e32 v29, vcc, s28, v29
	ds_bpermute_b32 v34, v34, v25
	v_mul_f32_e32 v32, v35, v36
	v_addc_co_u32_e32 v30, vcc, v30, v26, vcc
	global_load_ushort v35, v[27:28], off
	global_load_ushort v36, v[29:30], off
	v_add_co_u32_e32 v27, vcc, s28, v27
	v_addc_co_u32_e32 v28, vcc, v28, v26, vcc
	v_add_co_u32_e32 v29, vcc, s28, v29
	s_waitcnt lgkmcnt(0)
	v_fmac_f32_e32 v3, v32, v34
	v_addc_co_u32_e32 v30, vcc, v30, v26, vcc
	global_load_ushort v32, v[27:28], off
	global_load_ushort v34, v[29:30], off
	s_waitcnt vmcnt(13)
	v_lshlrev_b32_e32 v37, 16, v37
	s_waitcnt vmcnt(12)
	v_lshlrev_b32_e32 v38, 16, v38
	v_mul_f32_e32 v37, v37, v38
	v_or_b32_e32 v38, 8, v8
	ds_bpermute_b32 v38, v38, v25
	v_add_co_u32_e32 v27, vcc, s28, v27
	v_addc_co_u32_e32 v28, vcc, v28, v26, vcc
	s_waitcnt lgkmcnt(0)
	v_fmac_f32_e32 v3, v37, v38
	v_or_b32_e32 v37, 12, v8
	ds_bpermute_b32 v37, v37, v25
	s_waitcnt vmcnt(11)
	v_lshlrev_b32_e32 v38, 16, v39
	s_waitcnt vmcnt(10)
	v_lshlrev_b32_e32 v39, 16, v40
	v_mul_f32_e32 v38, v38, v39
	s_waitcnt vmcnt(9)
	v_lshlrev_b32_e32 v39, 16, v42
	s_waitcnt lgkmcnt(0)
	v_fmac_f32_e32 v3, v38, v37
	v_or_b32_e32 v37, 16, v8
	ds_bpermute_b32 v37, v37, v25
	s_waitcnt vmcnt(8)
	v_lshlrev_b32_e32 v38, 16, v41
	v_mul_f32_e32 v38, v38, v39
	v_or_b32_e32 v39, 20, v8
	ds_bpermute_b32 v39, v39, v25
	s_waitcnt lgkmcnt(1)
	v_fmac_f32_e32 v3, v38, v37
	s_waitcnt vmcnt(7)
	v_lshlrev_b32_e32 v37, 16, v43
	v_add_co_u32_e32 v29, vcc, s28, v29
	v_addc_co_u32_e32 v30, vcc, v30, v26, vcc
	s_waitcnt vmcnt(6)
	v_lshlrev_b32_e32 v38, 16, v44
	v_mul_f32_e32 v37, v37, v38
	s_waitcnt lgkmcnt(0)
	v_fmac_f32_e32 v3, v37, v39
	v_or_b32_e32 v37, 24, v8
	ds_bpermute_b32 v37, v37, v25
	s_waitcnt vmcnt(5)
	v_lshlrev_b32_e32 v31, 16, v31
	s_waitcnt vmcnt(4)
	v_lshlrev_b32_e32 v33, 16, v33
	v_mul_f32_e32 v31, v31, v33
	v_or_b32_e32 v33, 28, v8
	ds_bpermute_b32 v33, v33, v25
	s_waitcnt lgkmcnt(1)
	v_fmac_f32_e32 v3, v31, v37
	s_waitcnt vmcnt(3)
	v_lshlrev_b32_e32 v31, 16, v35
	s_waitcnt vmcnt(2)
	v_lshlrev_b32_e32 v35, 16, v36
	v_mul_f32_e32 v31, v31, v35
	global_load_ushort v35, v[27:28], off
	global_load_ushort v36, v[29:30], off
	s_waitcnt lgkmcnt(0)
	v_fmac_f32_e32 v3, v31, v33
	s_waitcnt vmcnt(3)
	v_lshlrev_b32_e32 v31, 16, v32
	s_waitcnt vmcnt(2)
	v_lshlrev_b32_e32 v32, 16, v34
	v_mul_f32_e32 v33, v31, v32
	v_or_b32_e32 v31, 32, v8
	ds_bpermute_b32 v34, v31, v25
	v_add_co_u32_e32 v31, vcc, s28, v27
	v_addc_co_u32_e32 v32, vcc, v28, v26, vcc
	v_add_co_u32_e32 v27, vcc, s28, v29
	v_addc_co_u32_e32 v28, vcc, v30, v26, vcc
	;; [unrolled: 2-line block ×3, first 2 shown]
	global_load_ushort v37, v[31:32], off
	global_load_ushort v38, v[27:28], off
	v_add_co_u32_e32 v31, vcc, s28, v27
	v_addc_co_u32_e32 v32, vcc, v28, v26, vcc
	v_add_co_u32_e32 v27, vcc, s28, v29
	global_load_ushort v39, v[29:30], off
	global_load_ushort v40, v[31:32], off
	v_addc_co_u32_e32 v28, vcc, v30, v26, vcc
	v_add_co_u32_e32 v29, vcc, s28, v31
	v_addc_co_u32_e32 v30, vcc, v32, v26, vcc
	v_add_co_u32_e32 v31, vcc, s28, v27
	v_addc_co_u32_e32 v32, vcc, v28, v26, vcc
	global_load_ushort v41, v[27:28], off
	global_load_ushort v42, v[29:30], off
	v_add_co_u32_e32 v27, vcc, s28, v29
	v_addc_co_u32_e32 v28, vcc, v30, v26, vcc
	v_add_co_u32_e32 v29, vcc, s28, v31
	global_load_ushort v43, v[31:32], off
	global_load_ushort v44, v[27:28], off
	v_addc_co_u32_e32 v30, vcc, v32, v26, vcc
	v_add_co_u32_e32 v27, vcc, s28, v27
	v_addc_co_u32_e32 v28, vcc, v28, v26, vcc
	global_load_ushort v31, v[29:30], off
	global_load_ushort v32, v[27:28], off
	v_add_co_u32_e32 v29, vcc, s28, v29
	v_addc_co_u32_e32 v30, vcc, v30, v26, vcc
	v_add_co_u32_e32 v27, vcc, s28, v27
	s_waitcnt lgkmcnt(0)
	v_fmac_f32_e32 v3, v33, v34
	v_addc_co_u32_e32 v28, vcc, v28, v26, vcc
	global_load_ushort v33, v[29:30], off
	global_load_ushort v34, v[27:28], off
	v_add_co_u32_e32 v29, vcc, s28, v29
	v_addc_co_u32_e32 v30, vcc, v30, v26, vcc
	v_add_co_u32_e32 v27, vcc, s28, v27
	v_addc_co_u32_e32 v28, vcc, v28, v26, vcc
	s_waitcnt vmcnt(13)
	v_lshlrev_b32_e32 v35, 16, v35
	s_waitcnt vmcnt(12)
	v_lshlrev_b32_e32 v36, 16, v36
	v_mul_f32_e32 v35, v35, v36
	v_or_b32_e32 v36, 36, v8
	ds_bpermute_b32 v36, v36, v25
	s_waitcnt lgkmcnt(0)
	v_fmac_f32_e32 v3, v35, v36
	v_or_b32_e32 v35, 40, v8
	ds_bpermute_b32 v35, v35, v25
	s_waitcnt vmcnt(11)
	v_lshlrev_b32_e32 v36, 16, v37
	s_waitcnt vmcnt(10)
	v_lshlrev_b32_e32 v37, 16, v38
	v_mul_f32_e32 v36, v36, v37
	s_waitcnt lgkmcnt(0)
	v_fmac_f32_e32 v3, v36, v35
	v_or_b32_e32 v35, 44, v8
	ds_bpermute_b32 v35, v35, v25
	s_waitcnt vmcnt(9)
	v_lshlrev_b32_e32 v36, 16, v39
	s_waitcnt vmcnt(8)
	v_lshlrev_b32_e32 v37, 16, v40
	v_mul_f32_e32 v36, v36, v37
	v_or_b32_e32 v37, 48, v8
	ds_bpermute_b32 v37, v37, v25
	s_waitcnt lgkmcnt(1)
	v_fmac_f32_e32 v3, v36, v35
	s_waitcnt vmcnt(7)
	v_lshlrev_b32_e32 v35, 16, v41
	s_waitcnt vmcnt(6)
	v_lshlrev_b32_e32 v36, 16, v42
	v_mul_f32_e32 v35, v35, v36
	s_waitcnt lgkmcnt(0)
	v_fmac_f32_e32 v3, v35, v37
	v_or_b32_e32 v35, 52, v8
	ds_bpermute_b32 v35, v35, v25
	s_waitcnt vmcnt(5)
	v_lshlrev_b32_e32 v36, 16, v43
	s_waitcnt vmcnt(4)
	v_lshlrev_b32_e32 v37, 16, v44
	v_mul_f32_e32 v36, v36, v37
	v_or_b32_e32 v37, 56, v8
	ds_bpermute_b32 v37, v37, v25
	s_waitcnt lgkmcnt(1)
	v_fmac_f32_e32 v3, v36, v35
	global_load_ushort v35, v[29:30], off
	s_waitcnt vmcnt(4)
	v_lshlrev_b32_e32 v31, 16, v31
	s_waitcnt vmcnt(3)
	v_lshlrev_b32_e32 v32, 16, v32
	global_load_ushort v36, v[27:28], off
	v_mul_f32_e32 v31, v31, v32
	s_waitcnt lgkmcnt(0)
	v_fmac_f32_e32 v3, v31, v37
	s_waitcnt vmcnt(3)
	v_lshlrev_b32_e32 v31, 16, v33
	s_waitcnt vmcnt(2)
	v_lshlrev_b32_e32 v32, 16, v34
	v_mul_f32_e32 v33, v31, v32
	v_or_b32_e32 v31, 60, v8
	ds_bpermute_b32 v34, v31, v25
	v_add_co_u32_e32 v31, vcc, s28, v29
	v_addc_co_u32_e32 v32, vcc, v30, v26, vcc
	v_add_co_u32_e32 v29, vcc, s28, v27
	v_addc_co_u32_e32 v30, vcc, v28, v26, vcc
	;; [unrolled: 2-line block ×3, first 2 shown]
	global_load_ushort v37, v[31:32], off
	v_add_co_u32_e32 v31, vcc, s28, v29
	global_load_ushort v38, v[29:30], off
	v_addc_co_u32_e32 v32, vcc, v30, v26, vcc
	v_add_co_u32_e32 v29, vcc, s28, v27
	v_addc_co_u32_e32 v30, vcc, v28, v26, vcc
	global_load_ushort v39, v[27:28], off
	global_load_ushort v40, v[31:32], off
	v_add_co_u32_e32 v27, vcc, s28, v31
	v_addc_co_u32_e32 v28, vcc, v32, v26, vcc
	v_add_co_u32_e32 v31, vcc, s28, v29
	v_addc_co_u32_e32 v32, vcc, v30, v26, vcc
	global_load_ushort v41, v[29:30], off
	global_load_ushort v42, v[27:28], off
	v_add_co_u32_e32 v29, vcc, s28, v27
	v_addc_co_u32_e32 v30, vcc, v28, v26, vcc
	global_load_ushort v43, v[31:32], off
	global_load_ushort v44, v[29:30], off
	v_add_co_u32_e32 v27, vcc, s28, v31
	v_addc_co_u32_e32 v28, vcc, v32, v26, vcc
	v_add_co_u32_e32 v29, vcc, s28, v29
	v_addc_co_u32_e32 v30, vcc, v30, v26, vcc
	global_load_ushort v31, v[27:28], off
	global_load_ushort v32, v[29:30], off
	v_add_co_u32_e32 v27, vcc, s28, v27
	v_addc_co_u32_e32 v28, vcc, v28, v26, vcc
	v_add_co_u32_e32 v29, vcc, s28, v29
	v_addc_co_u32_e32 v30, vcc, v30, v26, vcc
	s_waitcnt lgkmcnt(0)
	v_fmac_f32_e32 v3, v33, v34
	global_load_ushort v33, v[29:30], off
	global_load_ushort v34, v[27:28], off
	v_add_co_u32_e32 v29, vcc, s28, v29
	v_addc_co_u32_e32 v30, vcc, v30, v26, vcc
	v_add_co_u32_e32 v27, vcc, s28, v27
	s_waitcnt vmcnt(13)
	v_lshlrev_b32_e32 v35, 16, v35
	v_addc_co_u32_e32 v28, vcc, v28, v26, vcc
	s_waitcnt vmcnt(12)
	v_lshlrev_b32_e32 v36, 16, v36
	v_mul_f32_e32 v35, v35, v36
	v_or_b32_e32 v36, 64, v8
	ds_bpermute_b32 v36, v36, v25
	s_waitcnt lgkmcnt(0)
	v_fmac_f32_e32 v3, v35, v36
	ds_bpermute_b32 v35, v10, v25
	s_waitcnt vmcnt(11)
	v_lshlrev_b32_e32 v36, 16, v37
	s_waitcnt vmcnt(10)
	v_lshlrev_b32_e32 v37, 16, v38
	v_mul_f32_e32 v36, v36, v37
	s_waitcnt lgkmcnt(0)
	v_fmac_f32_e32 v3, v36, v35
	ds_bpermute_b32 v35, v11, v25
	s_waitcnt vmcnt(9)
	v_lshlrev_b32_e32 v36, 16, v39
	s_waitcnt vmcnt(8)
	v_lshlrev_b32_e32 v37, 16, v40
	v_mul_f32_e32 v36, v36, v37
	ds_bpermute_b32 v37, v12, v25
	s_waitcnt lgkmcnt(1)
	v_fmac_f32_e32 v3, v36, v35
	s_waitcnt vmcnt(7)
	v_lshlrev_b32_e32 v35, 16, v41
	s_waitcnt vmcnt(6)
	v_lshlrev_b32_e32 v36, 16, v42
	v_mul_f32_e32 v35, v35, v36
	s_waitcnt lgkmcnt(0)
	v_fmac_f32_e32 v3, v35, v37
	ds_bpermute_b32 v35, v13, v25
	s_waitcnt vmcnt(5)
	v_lshlrev_b32_e32 v36, 16, v43
	s_waitcnt vmcnt(4)
	v_lshlrev_b32_e32 v37, 16, v44
	v_mul_f32_e32 v36, v36, v37
	ds_bpermute_b32 v37, v14, v25
	s_waitcnt lgkmcnt(1)
	v_fmac_f32_e32 v3, v36, v35
	s_waitcnt vmcnt(3)
	v_lshlrev_b32_e32 v31, 16, v31
	s_waitcnt vmcnt(2)
	v_lshlrev_b32_e32 v32, 16, v32
	v_mul_f32_e32 v31, v31, v32
	s_waitcnt lgkmcnt(0)
	v_fmac_f32_e32 v3, v31, v37
	ds_bpermute_b32 v31, v15, v25
	s_waitcnt vmcnt(1)
	v_lshlrev_b32_e32 v32, 16, v33
	s_waitcnt vmcnt(0)
	v_lshlrev_b32_e32 v33, 16, v34
	v_mul_f32_e32 v32, v33, v32
	s_waitcnt lgkmcnt(0)
	v_fmac_f32_e32 v3, v32, v31
	v_add_co_u32_e32 v31, vcc, s28, v29
	v_addc_co_u32_e32 v32, vcc, v30, v26, vcc
	global_load_ushort v33, v[29:30], off
	v_add_co_u32_e32 v29, vcc, s28, v27
	v_addc_co_u32_e32 v30, vcc, v28, v26, vcc
	global_load_ushort v34, v[27:28], off
	;; [unrolled: 3-line block ×3, first 2 shown]
	v_add_co_u32_e32 v31, vcc, s28, v29
	global_load_ushort v36, v[29:30], off
	v_addc_co_u32_e32 v32, vcc, v30, v26, vcc
	v_add_co_u32_e32 v29, vcc, s28, v27
	v_addc_co_u32_e32 v30, vcc, v28, v26, vcc
	global_load_ushort v37, v[27:28], off
	v_add_co_u32_e32 v27, vcc, s28, v31
	global_load_ushort v38, v[31:32], off
	v_addc_co_u32_e32 v28, vcc, v32, v26, vcc
	v_add_co_u32_e32 v31, vcc, s28, v29
	v_addc_co_u32_e32 v32, vcc, v30, v26, vcc
	global_load_ushort v39, v[29:30], off
	global_load_ushort v40, v[27:28], off
	v_add_co_u32_e32 v29, vcc, s28, v27
	v_addc_co_u32_e32 v30, vcc, v28, v26, vcc
	v_add_co_u32_e32 v27, vcc, s28, v31
	v_addc_co_u32_e32 v28, vcc, v32, v26, vcc
	global_load_ushort v41, v[31:32], off
	global_load_ushort v42, v[29:30], off
	v_add_co_u32_e32 v31, vcc, s28, v29
	v_addc_co_u32_e32 v32, vcc, v30, v26, vcc
	v_add_co_u32_e32 v29, vcc, s28, v27
	global_load_ushort v43, v[27:28], off
	global_load_ushort v44, v[31:32], off
	v_addc_co_u32_e32 v30, vcc, v28, v26, vcc
	v_add_co_u32_e32 v27, vcc, s28, v31
	v_addc_co_u32_e32 v28, vcc, v32, v26, vcc
	v_add_co_u32_e32 v31, vcc, s28, v29
	global_load_ushort v45, v[29:30], off
	global_load_ushort v46, v[27:28], off
	v_addc_co_u32_e32 v32, vcc, v30, v26, vcc
	v_add_co_u32_e32 v29, vcc, s28, v27
	v_addc_co_u32_e32 v30, vcc, v28, v26, vcc
	v_add_co_u32_e32 v27, vcc, s28, v31
	v_addc_co_u32_e32 v28, vcc, v32, v26, vcc
	global_load_ushort v47, v[31:32], off
	v_add_co_u32_e32 v31, vcc, s28, v29
	v_addc_co_u32_e32 v32, vcc, v30, v26, vcc
	global_load_ushort v26, v[29:30], off
	s_nop 0
	global_load_ushort v29, v[27:28], off
	global_load_ushort v30, v[31:32], off
	ds_bpermute_b32 v27, v16, v25
	s_waitcnt vmcnt(17)
	v_lshlrev_b32_e32 v28, 16, v33
	s_waitcnt vmcnt(16)
	v_lshlrev_b32_e32 v31, 16, v34
	v_mul_f32_e32 v28, v31, v28
	s_waitcnt lgkmcnt(0)
	v_fmac_f32_e32 v3, v28, v27
	ds_bpermute_b32 v27, v17, v25
	s_waitcnt vmcnt(15)
	v_lshlrev_b32_e32 v28, 16, v35
	s_waitcnt vmcnt(14)
	v_lshlrev_b32_e32 v31, 16, v36
	v_mul_f32_e32 v28, v31, v28
	ds_bpermute_b32 v31, v18, v25
	s_waitcnt lgkmcnt(1)
	v_fmac_f32_e32 v3, v28, v27
	s_waitcnt vmcnt(13)
	v_lshlrev_b32_e32 v27, 16, v37
	s_waitcnt vmcnt(12)
	v_lshlrev_b32_e32 v28, 16, v38
	v_mul_f32_e32 v27, v28, v27
	s_waitcnt lgkmcnt(0)
	v_fmac_f32_e32 v3, v27, v31
	ds_bpermute_b32 v27, v19, v25
	s_waitcnt vmcnt(11)
	v_lshlrev_b32_e32 v28, 16, v39
	s_waitcnt vmcnt(10)
	v_lshlrev_b32_e32 v31, 16, v40
	v_mul_f32_e32 v28, v31, v28
	ds_bpermute_b32 v31, v20, v25
	s_waitcnt lgkmcnt(1)
	v_fmac_f32_e32 v3, v28, v27
	;; [unrolled: 16-line block ×3, first 2 shown]
	s_waitcnt vmcnt(5)
	v_lshlrev_b32_e32 v27, 16, v45
	s_waitcnt vmcnt(4)
	v_lshlrev_b32_e32 v28, 16, v46
	v_mul_f32_e32 v27, v28, v27
	s_waitcnt lgkmcnt(0)
	v_fmac_f32_e32 v3, v27, v31
	ds_bpermute_b32 v27, v23, v25
	ds_bpermute_b32 v25, v24, v25
	s_waitcnt vmcnt(3)
	v_lshlrev_b32_e32 v28, 16, v47
	s_waitcnt vmcnt(2)
	v_lshlrev_b32_e32 v26, 16, v26
	v_mul_f32_e32 v26, v26, v28
	s_waitcnt lgkmcnt(1)
	v_fmac_f32_e32 v3, v26, v27
	s_waitcnt vmcnt(1)
	v_lshlrev_b32_e32 v26, 16, v29
	s_waitcnt vmcnt(0)
	v_lshlrev_b32_e32 v27, 16, v30
	v_mul_f32_e32 v26, v27, v26
	s_waitcnt lgkmcnt(0)
	v_fmac_f32_e32 v3, v26, v25
	v_mov_b32_e32 v26, s13
	v_mov_b32_e32 v25, s12
	v_cmp_lt_i64_e32 vcc, s[20:21], v[25:26]
	v_mov_b32_e32 v25, s25
	v_addc_co_u32_e64 v7, s[8:9], v7, v25, s[8:9]
	v_mov_b32_e32 v25, s27
	v_add_co_u32_e64 v2, s[8:9], s26, v2
	v_addc_co_u32_e64 v9, s[8:9], v9, v25, s[8:9]
	v_add_co_u32_e64 v4, s[8:9], s22, v4
	v_addc_co_u32_e64 v5, s[8:9], 0, v5, s[8:9]
	s_cbranch_vccz .LBB198_7
.LBB198_4:                              ; =>This Inner Loop Header: Depth=1
	v_mov_b32_e32 v25, 0
	s_and_saveexec_b64 s[8:9], s[0:1]
	s_cbranch_execz .LBB198_3
; %bb.5:                                ;   in Loop: Header=BB198_4 Depth=1
	v_cmp_gt_i64_e32 vcc, s[12:13], v[4:5]
	v_mov_b32_e32 v25, 0
	s_and_saveexec_b64 s[30:31], vcc
	s_cbranch_execz .LBB198_2
; %bb.6:                                ;   in Loop: Header=BB198_4 Depth=1
	global_load_dword v25, v[6:7], off
	s_branch .LBB198_2
.LBB198_7:
	s_cmp_eq_u64 s[10:11], 0
	s_cbranch_scc1 .LBB198_9
; %bb.8:
	s_load_dword s0, s[4:5], 0x4c
	v_mov_b32_e32 v2, 0
	v_mov_b32_e32 v4, s2
	;; [unrolled: 1-line block ×3, first 2 shown]
	v_cmp_o_f32_e32 vcc, v3, v3
	s_waitcnt lgkmcnt(0)
	s_lshr_b32 s0, s0, 16
	v_mad_u64_u32 v[1:2], s[0:1], s0, v4, v[1:2]
	v_bfe_u32 v4, v3, 16, 1
	s_movk_i32 s0, 0x7fff
	v_add3_u32 v4, v3, v4, s0
	v_mul_lo_u32 v5, v2, s14
	v_mul_lo_u32 v6, v1, s15
	v_mad_u64_u32 v[1:2], s[0:1], v1, s14, 0
	v_lshrrev_b32_e32 v4, 16, v4
	s_mov_b32 s7, 0
	v_add3_u32 v2, v2, v6, v5
	v_lshlrev_b64 v[1:2], 1, v[1:2]
	v_cndmask_b32_e32 v3, v7, v4, vcc
	v_mov_b32_e32 v4, s11
	v_add_co_u32_e32 v1, vcc, s10, v1
	v_addc_co_u32_e32 v2, vcc, v4, v2, vcc
	s_lshl_b64 s[0:1], s[6:7], 6
	v_mov_b32_e32 v4, s1
	v_add_co_u32_e32 v1, vcc, s0, v1
	v_addc_co_u32_e32 v2, vcc, v2, v4, vcc
	v_lshlrev_b32_e32 v0, 1, v0
	v_add_co_u32_e32 v0, vcc, v1, v0
	v_addc_co_u32_e32 v1, vcc, 0, v2, vcc
	global_store_short v[0:1], v3, off
.LBB198_9:
	s_endpgm
	.section	.rodata,"a",@progbits
	.p2align	6, 0x0
	.amdhsa_kernel _ZN2at6native12_GLOBAL__N_135GammaBetaBackwardCUDAKernelTemplateIN3c108BFloat16EfLj32ELj1ELj32ELb1ELb1ELb1EEEvllPKT_S7_PKT0_SA_PS5_SB_
		.amdhsa_group_segment_fixed_size 0
		.amdhsa_private_segment_fixed_size 0
		.amdhsa_kernarg_size 320
		.amdhsa_user_sgpr_count 6
		.amdhsa_user_sgpr_private_segment_buffer 1
		.amdhsa_user_sgpr_dispatch_ptr 0
		.amdhsa_user_sgpr_queue_ptr 0
		.amdhsa_user_sgpr_kernarg_segment_ptr 1
		.amdhsa_user_sgpr_dispatch_id 0
		.amdhsa_user_sgpr_flat_scratch_init 0
		.amdhsa_user_sgpr_private_segment_size 0
		.amdhsa_uses_dynamic_stack 0
		.amdhsa_system_sgpr_private_segment_wavefront_offset 0
		.amdhsa_system_sgpr_workgroup_id_x 1
		.amdhsa_system_sgpr_workgroup_id_y 1
		.amdhsa_system_sgpr_workgroup_id_z 0
		.amdhsa_system_sgpr_workgroup_info 0
		.amdhsa_system_vgpr_workitem_id 1
		.amdhsa_next_free_vgpr 48
		.amdhsa_next_free_sgpr 32
		.amdhsa_reserve_vcc 1
		.amdhsa_reserve_flat_scratch 0
		.amdhsa_float_round_mode_32 0
		.amdhsa_float_round_mode_16_64 0
		.amdhsa_float_denorm_mode_32 3
		.amdhsa_float_denorm_mode_16_64 3
		.amdhsa_dx10_clamp 1
		.amdhsa_ieee_mode 1
		.amdhsa_fp16_overflow 0
		.amdhsa_exception_fp_ieee_invalid_op 0
		.amdhsa_exception_fp_denorm_src 0
		.amdhsa_exception_fp_ieee_div_zero 0
		.amdhsa_exception_fp_ieee_overflow 0
		.amdhsa_exception_fp_ieee_underflow 0
		.amdhsa_exception_fp_ieee_inexact 0
		.amdhsa_exception_int_div_zero 0
	.end_amdhsa_kernel
	.section	.text._ZN2at6native12_GLOBAL__N_135GammaBetaBackwardCUDAKernelTemplateIN3c108BFloat16EfLj32ELj1ELj32ELb1ELb1ELb1EEEvllPKT_S7_PKT0_SA_PS5_SB_,"axG",@progbits,_ZN2at6native12_GLOBAL__N_135GammaBetaBackwardCUDAKernelTemplateIN3c108BFloat16EfLj32ELj1ELj32ELb1ELb1ELb1EEEvllPKT_S7_PKT0_SA_PS5_SB_,comdat
.Lfunc_end198:
	.size	_ZN2at6native12_GLOBAL__N_135GammaBetaBackwardCUDAKernelTemplateIN3c108BFloat16EfLj32ELj1ELj32ELb1ELb1ELb1EEEvllPKT_S7_PKT0_SA_PS5_SB_, .Lfunc_end198-_ZN2at6native12_GLOBAL__N_135GammaBetaBackwardCUDAKernelTemplateIN3c108BFloat16EfLj32ELj1ELj32ELb1ELb1ELb1EEEvllPKT_S7_PKT0_SA_PS5_SB_
                                        ; -- End function
	.set _ZN2at6native12_GLOBAL__N_135GammaBetaBackwardCUDAKernelTemplateIN3c108BFloat16EfLj32ELj1ELj32ELb1ELb1ELb1EEEvllPKT_S7_PKT0_SA_PS5_SB_.num_vgpr, 48
	.set _ZN2at6native12_GLOBAL__N_135GammaBetaBackwardCUDAKernelTemplateIN3c108BFloat16EfLj32ELj1ELj32ELb1ELb1ELb1EEEvllPKT_S7_PKT0_SA_PS5_SB_.num_agpr, 0
	.set _ZN2at6native12_GLOBAL__N_135GammaBetaBackwardCUDAKernelTemplateIN3c108BFloat16EfLj32ELj1ELj32ELb1ELb1ELb1EEEvllPKT_S7_PKT0_SA_PS5_SB_.numbered_sgpr, 32
	.set _ZN2at6native12_GLOBAL__N_135GammaBetaBackwardCUDAKernelTemplateIN3c108BFloat16EfLj32ELj1ELj32ELb1ELb1ELb1EEEvllPKT_S7_PKT0_SA_PS5_SB_.num_named_barrier, 0
	.set _ZN2at6native12_GLOBAL__N_135GammaBetaBackwardCUDAKernelTemplateIN3c108BFloat16EfLj32ELj1ELj32ELb1ELb1ELb1EEEvllPKT_S7_PKT0_SA_PS5_SB_.private_seg_size, 0
	.set _ZN2at6native12_GLOBAL__N_135GammaBetaBackwardCUDAKernelTemplateIN3c108BFloat16EfLj32ELj1ELj32ELb1ELb1ELb1EEEvllPKT_S7_PKT0_SA_PS5_SB_.uses_vcc, 1
	.set _ZN2at6native12_GLOBAL__N_135GammaBetaBackwardCUDAKernelTemplateIN3c108BFloat16EfLj32ELj1ELj32ELb1ELb1ELb1EEEvllPKT_S7_PKT0_SA_PS5_SB_.uses_flat_scratch, 0
	.set _ZN2at6native12_GLOBAL__N_135GammaBetaBackwardCUDAKernelTemplateIN3c108BFloat16EfLj32ELj1ELj32ELb1ELb1ELb1EEEvllPKT_S7_PKT0_SA_PS5_SB_.has_dyn_sized_stack, 0
	.set _ZN2at6native12_GLOBAL__N_135GammaBetaBackwardCUDAKernelTemplateIN3c108BFloat16EfLj32ELj1ELj32ELb1ELb1ELb1EEEvllPKT_S7_PKT0_SA_PS5_SB_.has_recursion, 0
	.set _ZN2at6native12_GLOBAL__N_135GammaBetaBackwardCUDAKernelTemplateIN3c108BFloat16EfLj32ELj1ELj32ELb1ELb1ELb1EEEvllPKT_S7_PKT0_SA_PS5_SB_.has_indirect_call, 0
	.section	.AMDGPU.csdata,"",@progbits
; Kernel info:
; codeLenInByte = 2980
; TotalNumSgprs: 36
; NumVgprs: 48
; ScratchSize: 0
; MemoryBound: 0
; FloatMode: 240
; IeeeMode: 1
; LDSByteSize: 0 bytes/workgroup (compile time only)
; SGPRBlocks: 4
; VGPRBlocks: 11
; NumSGPRsForWavesPerEU: 36
; NumVGPRsForWavesPerEU: 48
; Occupancy: 5
; WaveLimiterHint : 0
; COMPUTE_PGM_RSRC2:SCRATCH_EN: 0
; COMPUTE_PGM_RSRC2:USER_SGPR: 6
; COMPUTE_PGM_RSRC2:TRAP_HANDLER: 0
; COMPUTE_PGM_RSRC2:TGID_X_EN: 1
; COMPUTE_PGM_RSRC2:TGID_Y_EN: 1
; COMPUTE_PGM_RSRC2:TGID_Z_EN: 0
; COMPUTE_PGM_RSRC2:TIDIG_COMP_CNT: 1
	.section	.text._ZN2at6native12_GLOBAL__N_135GammaBetaBackwardCUDAKernelTemplateIN3c108BFloat16EfLj32ELj1ELj32ELb1ELb0ELb1EEEvllPKT_S7_PKT0_SA_PS5_SB_,"axG",@progbits,_ZN2at6native12_GLOBAL__N_135GammaBetaBackwardCUDAKernelTemplateIN3c108BFloat16EfLj32ELj1ELj32ELb1ELb0ELb1EEEvllPKT_S7_PKT0_SA_PS5_SB_,comdat
	.globl	_ZN2at6native12_GLOBAL__N_135GammaBetaBackwardCUDAKernelTemplateIN3c108BFloat16EfLj32ELj1ELj32ELb1ELb0ELb1EEEvllPKT_S7_PKT0_SA_PS5_SB_ ; -- Begin function _ZN2at6native12_GLOBAL__N_135GammaBetaBackwardCUDAKernelTemplateIN3c108BFloat16EfLj32ELj1ELj32ELb1ELb0ELb1EEEvllPKT_S7_PKT0_SA_PS5_SB_
	.p2align	8
	.type	_ZN2at6native12_GLOBAL__N_135GammaBetaBackwardCUDAKernelTemplateIN3c108BFloat16EfLj32ELj1ELj32ELb1ELb0ELb1EEEvllPKT_S7_PKT0_SA_PS5_SB_,@function
_ZN2at6native12_GLOBAL__N_135GammaBetaBackwardCUDAKernelTemplateIN3c108BFloat16EfLj32ELj1ELj32ELb1ELb0ELb1EEEvllPKT_S7_PKT0_SA_PS5_SB_: ; @_ZN2at6native12_GLOBAL__N_135GammaBetaBackwardCUDAKernelTemplateIN3c108BFloat16EfLj32ELj1ELj32ELb1ELb0ELb1EEEvllPKT_S7_PKT0_SA_PS5_SB_
; %bb.0:
	s_mov_b64 s[38:39], s[2:3]
	s_mov_b64 s[36:37], s[0:1]
	s_add_u32 s36, s36, s8
	s_mov_b32 s8, s7
	s_load_dwordx8 s[12:19], s[4:5], 0x0
	s_load_dwordx2 s[20:21], s[4:5], 0x28
	s_addc_u32 s37, s37, 0
	s_lshl_b32 s22, s8, 5
	v_mov_b32_e32 v207, v1
	s_lshl_b32 s7, s6, 5
	s_mov_b32 s23, 0
	v_mov_b32_e32 v1, s22
	s_or_b32 s0, s7, 31
	v_mov_b32_e32 v2, s23
	v_mov_b32_e32 v129, s0
	;; [unrolled: 1-line block ×3, first 2 shown]
	s_waitcnt lgkmcnt(0)
	v_cmp_gt_i64_e64 s[0:1], s[12:13], v[1:2]
	v_cmp_le_i64_e32 vcc, s[14:15], v[129:130]
	v_cndmask_b32_e64 v1, 0, 1, s[0:1]
	v_cmp_ne_u32_e64 s[0:1], 1, v1
	s_cbranch_vccz .LBB199_145
; %bb.1:
	s_and_b64 vcc, exec, s[0:1]
	s_cbranch_vccnz .LBB199_146
; %bb.2:
	v_lshlrev_b32_e32 v206, 5, v207
	v_add_co_u32_e32 v8, vcc, s22, v206
	v_addc_co_u32_e64 v9, s[2:3], 0, 0, vcc
	v_mul_lo_u32 v10, s15, v8
	v_mul_lo_u32 v11, s14, v9
	v_mad_u64_u32 v[6:7], s[2:3], s14, v8, 0
	s_load_dword s9, s[4:5], 0x44
	v_add_u32_e32 v2, s7, v0
	v_add3_u32 v7, v7, v11, v10
	v_lshlrev_b64 v[11:12], 1, v[6:7]
	v_mov_b32_e32 v3, 0
	s_add_u32 s24, s4, 64
	v_cmp_gt_i64_e64 s[2:3], s[14:15], v[2:3]
	v_lshlrev_b64 v[4:5], 1, v[2:3]
	v_mov_b32_e32 v10, s17
	v_add_co_u32_e32 v2, vcc, s16, v11
	s_addc_u32 s25, s5, 0
	s_waitcnt lgkmcnt(0)
	s_lshl_b32 s9, s9, 5
	v_addc_co_u32_e32 v10, vcc, v10, v12, vcc
	s_mul_i32 s10, s15, s9
	s_mul_hi_u32 s11, s14, s9
	v_add_co_u32_e32 v13, vcc, 31, v8
	s_add_i32 s11, s11, s10
	s_mul_i32 s10, s14, s9
	v_addc_co_u32_e32 v14, vcc, 0, v9, vcc
	s_lshl_b64 s[26:27], s[10:11], 1
	v_mul_lo_u32 v16, s15, v13
	v_mul_lo_u32 v17, s14, v14
	v_mad_u64_u32 v[13:14], s[10:11], s14, v13, 0
	v_mov_b32_e32 v15, s19
	v_add_co_u32_e32 v11, vcc, s18, v11
	v_add3_u32 v14, v14, v17, v16
	v_addc_co_u32_e32 v12, vcc, v15, v12, vcc
	v_lshlrev_b64 v[15:16], 1, v[13:14]
	v_mov_b32_e32 v14, s17
	v_add_co_u32_e32 v13, vcc, s16, v15
	v_addc_co_u32_e32 v14, vcc, v14, v16, vcc
	v_add_co_u32_e32 v17, vcc, 30, v8
	v_addc_co_u32_e32 v18, vcc, 0, v9, vcc
	v_mul_lo_u32 v20, s15, v17
	v_mul_lo_u32 v21, s14, v18
	v_mad_u64_u32 v[17:18], s[10:11], s14, v17, 0
	v_mov_b32_e32 v19, s19
	v_add_co_u32_e32 v15, vcc, s18, v15
	v_add3_u32 v18, v18, v21, v20
	v_addc_co_u32_e32 v16, vcc, v19, v16, vcc
	v_lshlrev_b64 v[19:20], 1, v[17:18]
	v_mov_b32_e32 v18, s17
	v_add_co_u32_e32 v17, vcc, s16, v19
	v_addc_co_u32_e32 v18, vcc, v18, v20, vcc
	v_add_co_u32_e32 v21, vcc, 29, v8
	v_addc_co_u32_e32 v22, vcc, 0, v9, vcc
	;; [unrolled: 13-line block ×29, first 2 shown]
	v_mul_lo_u32 v130, s15, v8
	v_mul_lo_u32 v131, s14, v9
	v_mad_u64_u32 v[8:9], s[10:11], s14, v8, 0
	v_mov_b32_e32 v129, s19
	v_add_co_u32_e32 v127, vcc, s18, v127
	v_add3_u32 v9, v9, v131, v130
	v_lshlrev_b64 v[8:9], 1, v[8:9]
	v_addc_co_u32_e32 v128, vcc, v129, v128, vcc
	v_mov_b32_e32 v130, s17
	v_add_co_u32_e32 v129, vcc, s16, v8
	v_addc_co_u32_e32 v131, vcc, v130, v9, vcc
	v_mov_b32_e32 v130, s19
	v_add_co_u32_e32 v132, vcc, s18, v8
	;; [unrolled: 3-line block ×3, first 2 shown]
	v_addc_co_u32_e32 v7, vcc, v7, v8, vcc
	v_lshlrev_b64 v[6:7], 1, v[6:7]
	v_mov_b32_e32 v8, s17
	v_add_co_u32_e32 v134, vcc, s16, v6
	v_addc_co_u32_e32 v135, vcc, v8, v7, vcc
	v_add_co_u32_e32 v136, vcc, s18, v6
	v_mbcnt_lo_u32_b32 v6, -1, 0
	v_mbcnt_hi_u32_b32 v6, -1, v6
	v_mov_b32_e32 v8, s19
	v_lshlrev_b32_e32 v6, 2, v6
	v_mov_b32_e32 v1, v3
	s_mov_b64 s[28:29], 31
	v_addc_co_u32_e32 v137, vcc, v8, v7, vcc
	v_and_b32_e32 v138, 0x100, v6
	s_mov_b64 s[30:31], s[22:23]
	v_mov_b32_e32 v139, 0
.LBB199_3:                              ; =>This Inner Loop Header: Depth=1
	s_add_u32 s10, s22, s28
	v_mov_b32_e32 v6, s12
	s_addc_u32 s11, 0, s29
	v_mov_b32_e32 v7, s13
	v_cmp_ge_i64_e32 vcc, s[10:11], v[6:7]
	v_add_co_u32_e64 v6, s[10:11], s22, v206
	v_addc_co_u32_e64 v7, s[10:11], 0, v1, s[10:11]
	s_mov_b64 s[10:11], -1
                                        ; implicit-def: $vgpr130
                                        ; implicit-def: $vgpr183
                                        ; implicit-def: $vgpr8
	s_cbranch_vccz .LBB199_73
; %bb.4:                                ;   in Loop: Header=BB199_3 Depth=1
	s_load_dword s10, s[24:25], 0xc
	v_mov_b32_e32 v130, 0
	v_mov_b32_e32 v140, 0
	s_waitcnt lgkmcnt(0)
	s_and_b32 s10, s10, 0xffff
	v_mad_u32_u24 v8, v207, s10, v0
	v_and_b32_e32 v8, 63, v8
	v_cmp_gt_u32_e32 vcc, 32, v8
	s_and_saveexec_b64 s[10:11], vcc
	s_cbranch_execz .LBB199_8
; %bb.5:                                ;   in Loop: Header=BB199_3 Depth=1
	v_add_co_u32_e32 v8, vcc, v6, v8
	v_addc_co_u32_e32 v9, vcc, 0, v7, vcc
	v_cmp_gt_i64_e32 vcc, s[12:13], v[8:9]
	v_mov_b32_e32 v140, 0
	s_and_saveexec_b64 s[34:35], vcc
	s_cbranch_execz .LBB199_7
; %bb.6:                                ;   in Loop: Header=BB199_3 Depth=1
	v_lshlrev_b64 v[8:9], 2, v[8:9]
	v_mov_b32_e32 v140, s21
	v_add_co_u32_e32 v8, vcc, s20, v8
	v_addc_co_u32_e32 v9, vcc, v140, v9, vcc
	global_load_dword v140, v[8:9], off
.LBB199_7:                              ;   in Loop: Header=BB199_3 Depth=1
	s_or_b64 exec, exec, s[34:35]
.LBB199_8:                              ;   in Loop: Header=BB199_3 Depth=1
	s_or_b64 exec, exec, s[10:11]
	v_cmp_gt_i64_e32 vcc, s[12:13], v[6:7]
	v_mov_b32_e32 v8, 0
	s_and_b64 s[34:35], s[2:3], vcc
	s_and_saveexec_b64 s[10:11], s[34:35]
	s_cbranch_execz .LBB199_10
; %bb.9:                                ;   in Loop: Header=BB199_3 Depth=1
	v_add_co_u32_e32 v8, vcc, v2, v4
	v_addc_co_u32_e32 v9, vcc, v10, v5, vcc
	v_add_co_u32_e32 v141, vcc, v11, v4
	v_addc_co_u32_e32 v142, vcc, v12, v5, vcc
	global_load_ushort v8, v[8:9], off
	s_nop 0
	global_load_ushort v9, v[141:142], off
	s_waitcnt vmcnt(1)
	v_lshlrev_b32_e32 v130, 16, v8
	s_waitcnt vmcnt(0)
	v_lshlrev_b32_e32 v8, 16, v9
.LBB199_10:                             ;   in Loop: Header=BB199_3 Depth=1
	s_or_b64 exec, exec, s[10:11]
	v_add_co_u32_e32 v141, vcc, 1, v6
	v_addc_co_u32_e32 v142, vcc, 0, v7, vcc
	v_cmp_gt_i64_e32 vcc, s[12:13], v[141:142]
	v_mov_b32_e32 v9, 0
	s_and_b64 s[34:35], s[2:3], vcc
	v_mov_b32_e32 v141, 0
	v_mov_b32_e32 v142, 0
	s_and_saveexec_b64 s[10:11], s[34:35]
	s_cbranch_execz .LBB199_12
; %bb.11:                               ;   in Loop: Header=BB199_3 Depth=1
	v_add_co_u32_e32 v141, vcc, v134, v4
	v_addc_co_u32_e32 v142, vcc, v135, v5, vcc
	v_add_co_u32_e32 v143, vcc, v136, v4
	v_addc_co_u32_e32 v144, vcc, v137, v5, vcc
	global_load_ushort v141, v[141:142], off
	s_nop 0
	global_load_ushort v142, v[143:144], off
	s_waitcnt vmcnt(1)
	v_lshlrev_b32_e32 v141, 16, v141
	s_waitcnt vmcnt(0)
	v_lshlrev_b32_e32 v142, 16, v142
.LBB199_12:                             ;   in Loop: Header=BB199_3 Depth=1
	s_or_b64 exec, exec, s[10:11]
	v_add_co_u32_e32 v143, vcc, 2, v6
	v_addc_co_u32_e32 v144, vcc, 0, v7, vcc
	v_cmp_gt_i64_e32 vcc, s[12:13], v[143:144]
	v_mov_b32_e32 v143, 0
	s_and_b64 s[34:35], s[2:3], vcc
	s_and_saveexec_b64 s[10:11], s[34:35]
	s_cbranch_execz .LBB199_14
; %bb.13:                               ;   in Loop: Header=BB199_3 Depth=1
	v_add_co_u32_e32 v143, vcc, v129, v4
	v_addc_co_u32_e32 v144, vcc, v131, v5, vcc
	v_add_co_u32_e32 v145, vcc, v132, v4
	v_addc_co_u32_e32 v146, vcc, v133, v5, vcc
	global_load_ushort v9, v[143:144], off
	s_nop 0
	global_load_ushort v143, v[145:146], off
	s_waitcnt vmcnt(1)
	v_lshlrev_b32_e32 v9, 16, v9
	s_waitcnt vmcnt(0)
	v_lshlrev_b32_e32 v143, 16, v143
.LBB199_14:                             ;   in Loop: Header=BB199_3 Depth=1
	s_or_b64 exec, exec, s[10:11]
	v_add_co_u32_e32 v144, vcc, 3, v6
	v_addc_co_u32_e32 v145, vcc, 0, v7, vcc
	v_cmp_gt_i64_e32 vcc, s[12:13], v[144:145]
	v_mov_b32_e32 v144, 0
	s_and_b64 s[34:35], s[2:3], vcc
	v_mov_b32_e32 v145, 0
	v_mov_b32_e32 v146, 0
	s_and_saveexec_b64 s[10:11], s[34:35]
	s_cbranch_execz .LBB199_16
; %bb.15:                               ;   in Loop: Header=BB199_3 Depth=1
	v_add_co_u32_e32 v145, vcc, v125, v4
	v_addc_co_u32_e32 v146, vcc, v126, v5, vcc
	v_add_co_u32_e32 v147, vcc, v127, v4
	v_addc_co_u32_e32 v148, vcc, v128, v5, vcc
	global_load_ushort v145, v[145:146], off
	s_nop 0
	global_load_ushort v146, v[147:148], off
	s_waitcnt vmcnt(1)
	v_lshlrev_b32_e32 v145, 16, v145
	s_waitcnt vmcnt(0)
	v_lshlrev_b32_e32 v146, 16, v146
.LBB199_16:                             ;   in Loop: Header=BB199_3 Depth=1
	s_or_b64 exec, exec, s[10:11]
	v_add_co_u32_e32 v147, vcc, 4, v6
	v_addc_co_u32_e32 v148, vcc, 0, v7, vcc
	v_cmp_gt_i64_e32 vcc, s[12:13], v[147:148]
	v_mov_b32_e32 v147, 0
	s_and_b64 s[34:35], s[2:3], vcc
	s_and_saveexec_b64 s[10:11], s[34:35]
	s_cbranch_execz .LBB199_18
; %bb.17:                               ;   in Loop: Header=BB199_3 Depth=1
	v_add_co_u32_e32 v147, vcc, v121, v4
	v_addc_co_u32_e32 v148, vcc, v122, v5, vcc
	v_add_co_u32_e32 v149, vcc, v123, v4
	v_addc_co_u32_e32 v150, vcc, v124, v5, vcc
	global_load_ushort v144, v[147:148], off
	s_nop 0
	global_load_ushort v147, v[149:150], off
	s_waitcnt vmcnt(1)
	v_lshlrev_b32_e32 v144, 16, v144
	s_waitcnt vmcnt(0)
	v_lshlrev_b32_e32 v147, 16, v147
.LBB199_18:                             ;   in Loop: Header=BB199_3 Depth=1
	;; [unrolled: 44-line block ×15, first 2 shown]
	s_or_b64 exec, exec, s[10:11]
	v_add_co_u32_e32 v201, vcc, 31, v6
	v_addc_co_u32_e32 v202, vcc, 0, v7, vcc
	v_cmp_gt_i64_e32 vcc, s[12:13], v[201:202]
	v_mov_b32_e32 v183, 0
	s_and_b64 s[34:35], s[2:3], vcc
	s_and_saveexec_b64 s[10:11], s[34:35]
	s_cbranch_execz .LBB199_72
; %bb.71:                               ;   in Loop: Header=BB199_3 Depth=1
	v_add_co_u32_e32 v201, vcc, v13, v4
	v_addc_co_u32_e32 v202, vcc, v14, v5, vcc
	v_add_co_u32_e32 v203, vcc, v15, v4
	v_addc_co_u32_e32 v204, vcc, v16, v5, vcc
	global_load_ushort v183, v[203:204], off
	s_nop 0
	global_load_ushort v201, v[201:202], off
	s_waitcnt vmcnt(1)
	v_lshlrev_b32_e32 v183, 16, v183
	s_waitcnt vmcnt(0)
	v_lshlrev_b32_e32 v201, 16, v201
	v_mul_f32_e32 v183, v201, v183
.LBB199_72:                             ;   in Loop: Header=BB199_3 Depth=1
	s_or_b64 exec, exec, s[10:11]
	s_waitcnt vmcnt(0)
	ds_bpermute_b32 v201, v138, v140
	ds_bpermute_b32 v202, v138, v140 offset:4
	v_mul_f32_e32 v141, v141, v142
	ds_bpermute_b32 v142, v138, v140 offset:8
	v_mul_f32_e32 v8, v130, v8
	s_waitcnt lgkmcnt(2)
	v_fma_f32 v130, v8, v201, v139
	s_waitcnt lgkmcnt(1)
	v_fmac_f32_e32 v130, v141, v202
	ds_bpermute_b32 v8, v138, v140 offset:12
	v_mul_f32_e32 v9, v9, v143
	s_waitcnt lgkmcnt(1)
	v_fmac_f32_e32 v130, v9, v142
	ds_bpermute_b32 v9, v138, v140 offset:16
	v_mul_f32_e32 v141, v145, v146
	;; [unrolled: 4-line block ×26, first 2 shown]
	s_waitcnt lgkmcnt(1)
	v_fmac_f32_e32 v130, v141, v8
	v_mul_f32_e32 v8, v193, v196
	ds_bpermute_b32 v141, v138, v140 offset:116
	s_waitcnt lgkmcnt(1)
	v_fmac_f32_e32 v130, v8, v9
	ds_bpermute_b32 v9, v138, v140 offset:120
	ds_bpermute_b32 v8, v138, v140 offset:124
	v_mul_f32_e32 v142, v198, v199
	s_waitcnt lgkmcnt(2)
	v_fmac_f32_e32 v130, v142, v141
	v_mul_f32_e32 v140, v197, v200
	s_waitcnt lgkmcnt(1)
	v_fmac_f32_e32 v130, v140, v9
	s_mov_b64 s[10:11], 0
.LBB199_73:                             ;   in Loop: Header=BB199_3 Depth=1
	s_and_b64 vcc, exec, s[10:11]
	s_cbranch_vccz .LBB199_143
; %bb.74:                               ;   in Loop: Header=BB199_3 Depth=1
	s_load_dword s10, s[24:25], 0x0
	v_mov_b32_e32 v9, 0
	s_waitcnt lgkmcnt(0)
	s_cmp_lt_u32 s6, s10
	s_cselect_b32 s10, 12, 18
	s_add_u32 s10, s24, s10
	s_addc_u32 s11, s25, 0
	global_load_ushort v8, v3, s[10:11]
	s_waitcnt vmcnt(0)
	v_mad_u32_u24 v8, v207, v8, v0
	v_and_b32_e32 v130, 63, v8
	v_cmp_gt_u32_e32 vcc, 32, v130
	v_mov_b32_e32 v8, 0
	s_and_saveexec_b64 s[10:11], vcc
	s_cbranch_execz .LBB199_78
; %bb.75:                               ;   in Loop: Header=BB199_3 Depth=1
	v_add_co_u32_e32 v6, vcc, v6, v130
	v_addc_co_u32_e32 v7, vcc, 0, v7, vcc
	v_cmp_gt_i64_e32 vcc, s[12:13], v[6:7]
	v_mov_b32_e32 v8, 0
	s_and_saveexec_b64 s[34:35], vcc
	s_cbranch_execz .LBB199_77
; %bb.76:                               ;   in Loop: Header=BB199_3 Depth=1
	v_lshlrev_b64 v[6:7], 2, v[6:7]
	v_mov_b32_e32 v8, s21
	v_add_co_u32_e32 v6, vcc, s20, v6
	v_addc_co_u32_e32 v7, vcc, v8, v7, vcc
	global_load_dword v8, v[6:7], off
.LBB199_77:                             ;   in Loop: Header=BB199_3 Depth=1
	s_or_b64 exec, exec, s[34:35]
.LBB199_78:                             ;   in Loop: Header=BB199_3 Depth=1
	s_or_b64 exec, exec, s[10:11]
	v_mov_b32_e32 v6, 0
	v_mov_b32_e32 v7, 0
	s_and_saveexec_b64 s[10:11], s[2:3]
	s_cbranch_execz .LBB199_80
; %bb.79:                               ;   in Loop: Header=BB199_3 Depth=1
	v_add_co_u32_e32 v6, vcc, v2, v4
	v_addc_co_u32_e32 v7, vcc, v10, v5, vcc
	v_add_co_u32_e32 v140, vcc, v11, v4
	v_addc_co_u32_e32 v141, vcc, v12, v5, vcc
	global_load_ushort v6, v[6:7], off
	s_nop 0
	global_load_ushort v7, v[140:141], off
	s_waitcnt vmcnt(1)
	v_lshlrev_b32_e32 v6, 16, v6
	s_waitcnt vmcnt(0)
	v_lshlrev_b32_e32 v7, 16, v7
.LBB199_80:                             ;   in Loop: Header=BB199_3 Depth=1
	s_or_b64 exec, exec, s[10:11]
	v_mov_b32_e32 v130, 0
	s_and_saveexec_b64 s[10:11], s[2:3]
	s_cbranch_execz .LBB199_82
; %bb.81:                               ;   in Loop: Header=BB199_3 Depth=1
	v_add_co_u32_e32 v140, vcc, v134, v4
	v_addc_co_u32_e32 v141, vcc, v135, v5, vcc
	v_add_co_u32_e32 v142, vcc, v136, v4
	v_addc_co_u32_e32 v143, vcc, v137, v5, vcc
	global_load_ushort v9, v[140:141], off
	global_load_ushort v130, v[142:143], off
	s_waitcnt vmcnt(1)
	v_lshlrev_b32_e32 v9, 16, v9
	s_waitcnt vmcnt(0)
	v_lshlrev_b32_e32 v130, 16, v130
.LBB199_82:                             ;   in Loop: Header=BB199_3 Depth=1
	s_or_b64 exec, exec, s[10:11]
	v_mov_b32_e32 v140, 0
	v_mov_b32_e32 v141, 0
	v_mov_b32_e32 v142, 0
	s_and_saveexec_b64 s[10:11], s[2:3]
	s_cbranch_execz .LBB199_84
; %bb.83:                               ;   in Loop: Header=BB199_3 Depth=1
	v_add_co_u32_e32 v141, vcc, v129, v4
	v_addc_co_u32_e32 v142, vcc, v131, v5, vcc
	v_add_co_u32_e32 v143, vcc, v132, v4
	v_addc_co_u32_e32 v144, vcc, v133, v5, vcc
	global_load_ushort v141, v[141:142], off
	s_nop 0
	global_load_ushort v142, v[143:144], off
	s_waitcnt vmcnt(1)
	v_lshlrev_b32_e32 v141, 16, v141
	s_waitcnt vmcnt(0)
	v_lshlrev_b32_e32 v142, 16, v142
.LBB199_84:                             ;   in Loop: Header=BB199_3 Depth=1
	s_or_b64 exec, exec, s[10:11]
	v_mov_b32_e32 v143, 0
	s_and_saveexec_b64 s[10:11], s[2:3]
	s_cbranch_execz .LBB199_86
; %bb.85:                               ;   in Loop: Header=BB199_3 Depth=1
	v_add_co_u32_e32 v143, vcc, v125, v4
	v_addc_co_u32_e32 v144, vcc, v126, v5, vcc
	v_add_co_u32_e32 v145, vcc, v127, v4
	v_addc_co_u32_e32 v146, vcc, v128, v5, vcc
	global_load_ushort v140, v[143:144], off
	s_nop 0
	global_load_ushort v143, v[145:146], off
	s_waitcnt vmcnt(1)
	v_lshlrev_b32_e32 v140, 16, v140
	s_waitcnt vmcnt(0)
	v_lshlrev_b32_e32 v143, 16, v143
.LBB199_86:                             ;   in Loop: Header=BB199_3 Depth=1
	s_or_b64 exec, exec, s[10:11]
	v_mov_b32_e32 v144, 0
	v_mov_b32_e32 v145, 0
	v_mov_b32_e32 v146, 0
	s_and_saveexec_b64 s[10:11], s[2:3]
	s_cbranch_execz .LBB199_88
; %bb.87:                               ;   in Loop: Header=BB199_3 Depth=1
	v_add_co_u32_e32 v145, vcc, v121, v4
	v_addc_co_u32_e32 v146, vcc, v122, v5, vcc
	v_add_co_u32_e32 v147, vcc, v123, v4
	v_addc_co_u32_e32 v148, vcc, v124, v5, vcc
	global_load_ushort v145, v[145:146], off
	s_nop 0
	global_load_ushort v146, v[147:148], off
	s_waitcnt vmcnt(1)
	v_lshlrev_b32_e32 v145, 16, v145
	s_waitcnt vmcnt(0)
	v_lshlrev_b32_e32 v146, 16, v146
.LBB199_88:                             ;   in Loop: Header=BB199_3 Depth=1
	s_or_b64 exec, exec, s[10:11]
	v_mov_b32_e32 v147, 0
	s_and_saveexec_b64 s[10:11], s[2:3]
	s_cbranch_execz .LBB199_90
; %bb.89:                               ;   in Loop: Header=BB199_3 Depth=1
	v_add_co_u32_e32 v147, vcc, v117, v4
	v_addc_co_u32_e32 v148, vcc, v118, v5, vcc
	v_add_co_u32_e32 v149, vcc, v119, v4
	v_addc_co_u32_e32 v150, vcc, v120, v5, vcc
	global_load_ushort v144, v[147:148], off
	s_nop 0
	global_load_ushort v147, v[149:150], off
	s_waitcnt vmcnt(1)
	v_lshlrev_b32_e32 v144, 16, v144
	s_waitcnt vmcnt(0)
	v_lshlrev_b32_e32 v147, 16, v147
.LBB199_90:                             ;   in Loop: Header=BB199_3 Depth=1
	;; [unrolled: 36-line block ×4, first 2 shown]
	s_or_b64 exec, exec, s[10:11]
	v_mov_b32_e32 v156, 0
	v_mov_b32_e32 v157, 0
	;; [unrolled: 1-line block ×3, first 2 shown]
	s_and_saveexec_b64 s[10:11], s[2:3]
	s_cbranch_execz .LBB199_100
; %bb.99:                               ;   in Loop: Header=BB199_3 Depth=1
	v_add_co_u32_e32 v157, vcc, v97, v4
	v_addc_co_u32_e32 v158, vcc, v98, v5, vcc
	v_add_co_u32_e32 v159, vcc, v99, v4
	v_addc_co_u32_e32 v160, vcc, v100, v5, vcc
	global_load_ushort v157, v[157:158], off
	s_nop 0
	global_load_ushort v158, v[159:160], off
	s_waitcnt vmcnt(1)
	v_lshlrev_b32_e32 v157, 16, v157
	s_waitcnt vmcnt(0)
	v_lshlrev_b32_e32 v158, 16, v158
.LBB199_100:                            ;   in Loop: Header=BB199_3 Depth=1
	s_or_b64 exec, exec, s[10:11]
	v_mov_b32_e32 v159, 0
	s_and_saveexec_b64 s[10:11], s[2:3]
	s_cbranch_execz .LBB199_102
; %bb.101:                              ;   in Loop: Header=BB199_3 Depth=1
	v_add_co_u32_e32 v159, vcc, v93, v4
	v_addc_co_u32_e32 v160, vcc, v94, v5, vcc
	v_add_co_u32_e32 v161, vcc, v95, v4
	v_addc_co_u32_e32 v162, vcc, v96, v5, vcc
	global_load_ushort v156, v[159:160], off
	s_nop 0
	global_load_ushort v159, v[161:162], off
	s_waitcnt vmcnt(1)
	v_lshlrev_b32_e32 v156, 16, v156
	s_waitcnt vmcnt(0)
	v_lshlrev_b32_e32 v159, 16, v159
.LBB199_102:                            ;   in Loop: Header=BB199_3 Depth=1
	s_or_b64 exec, exec, s[10:11]
	v_mov_b32_e32 v160, 0
	v_mov_b32_e32 v161, 0
	v_mov_b32_e32 v162, 0
	s_and_saveexec_b64 s[10:11], s[2:3]
	s_cbranch_execz .LBB199_104
; %bb.103:                              ;   in Loop: Header=BB199_3 Depth=1
	v_add_co_u32_e32 v161, vcc, v89, v4
	v_addc_co_u32_e32 v162, vcc, v90, v5, vcc
	v_add_co_u32_e32 v163, vcc, v91, v4
	v_addc_co_u32_e32 v164, vcc, v92, v5, vcc
	global_load_ushort v161, v[161:162], off
	s_nop 0
	global_load_ushort v162, v[163:164], off
	s_waitcnt vmcnt(1)
	v_lshlrev_b32_e32 v161, 16, v161
	s_waitcnt vmcnt(0)
	v_lshlrev_b32_e32 v162, 16, v162
.LBB199_104:                            ;   in Loop: Header=BB199_3 Depth=1
	s_or_b64 exec, exec, s[10:11]
	v_mov_b32_e32 v163, 0
	s_and_saveexec_b64 s[10:11], s[2:3]
	s_cbranch_execz .LBB199_106
; %bb.105:                              ;   in Loop: Header=BB199_3 Depth=1
	v_add_co_u32_e32 v163, vcc, v85, v4
	v_addc_co_u32_e32 v164, vcc, v86, v5, vcc
	v_add_co_u32_e32 v165, vcc, v87, v4
	v_addc_co_u32_e32 v166, vcc, v88, v5, vcc
	global_load_ushort v160, v[163:164], off
	s_nop 0
	global_load_ushort v163, v[165:166], off
	s_waitcnt vmcnt(1)
	v_lshlrev_b32_e32 v160, 16, v160
	s_waitcnt vmcnt(0)
	v_lshlrev_b32_e32 v163, 16, v163
.LBB199_106:                            ;   in Loop: Header=BB199_3 Depth=1
	s_or_b64 exec, exec, s[10:11]
	v_mov_b32_e32 v164, 0
	v_mov_b32_e32 v165, 0
	v_mov_b32_e32 v166, 0
	s_and_saveexec_b64 s[10:11], s[2:3]
	s_cbranch_execz .LBB199_108
; %bb.107:                              ;   in Loop: Header=BB199_3 Depth=1
	v_add_co_u32_e32 v165, vcc, v81, v4
	v_addc_co_u32_e32 v166, vcc, v82, v5, vcc
	v_add_co_u32_e32 v167, vcc, v83, v4
	v_addc_co_u32_e32 v168, vcc, v84, v5, vcc
	global_load_ushort v165, v[165:166], off
	s_nop 0
	global_load_ushort v166, v[167:168], off
	s_waitcnt vmcnt(1)
	v_lshlrev_b32_e32 v165, 16, v165
	s_waitcnt vmcnt(0)
	v_lshlrev_b32_e32 v166, 16, v166
.LBB199_108:                            ;   in Loop: Header=BB199_3 Depth=1
	;; [unrolled: 36-line block ×10, first 2 shown]
	s_or_b64 exec, exec, s[10:11]
	s_and_saveexec_b64 s[10:11], s[2:3]
	s_cbranch_execz .LBB199_142
; %bb.141:                              ;   in Loop: Header=BB199_3 Depth=1
	v_add_co_u32_e32 v199, vcc, v13, v4
	v_addc_co_u32_e32 v200, vcc, v14, v5, vcc
	v_add_co_u32_e32 v201, vcc, v15, v4
	v_addc_co_u32_e32 v202, vcc, v16, v5, vcc
	global_load_ushort v183, v[201:202], off
	s_nop 0
	global_load_ushort v199, v[199:200], off
	s_waitcnt vmcnt(1)
	v_lshlrev_b32_e32 v183, 16, v183
	s_waitcnt vmcnt(0)
	v_lshlrev_b32_e32 v199, 16, v199
	v_mul_f32_e32 v183, v199, v183
.LBB199_142:                            ;   in Loop: Header=BB199_3 Depth=1
	s_or_b64 exec, exec, s[10:11]
	s_waitcnt vmcnt(0)
	ds_bpermute_b32 v199, v138, v8
	ds_bpermute_b32 v200, v138, v8 offset:4
	v_mul_f32_e32 v6, v6, v7
	v_mul_f32_e32 v7, v9, v130
	ds_bpermute_b32 v9, v138, v8 offset:8
	s_waitcnt lgkmcnt(2)
	v_fmac_f32_e32 v139, v6, v199
	s_waitcnt lgkmcnt(1)
	v_fmac_f32_e32 v139, v7, v200
	ds_bpermute_b32 v6, v138, v8 offset:12
	v_mul_f32_e32 v7, v141, v142
	s_waitcnt lgkmcnt(1)
	v_fmac_f32_e32 v139, v7, v9
	ds_bpermute_b32 v7, v138, v8 offset:16
	v_mul_f32_e32 v9, v140, v143
	;; [unrolled: 4-line block ×26, first 2 shown]
	s_waitcnt lgkmcnt(1)
	v_fmac_f32_e32 v139, v9, v6
	v_mul_f32_e32 v6, v194, v195
	ds_bpermute_b32 v9, v138, v8 offset:116
	s_waitcnt lgkmcnt(1)
	v_fmac_f32_e32 v139, v6, v7
	ds_bpermute_b32 v6, v138, v8 offset:120
	ds_bpermute_b32 v8, v138, v8 offset:124
	v_mul_f32_e32 v7, v193, v196
	s_waitcnt lgkmcnt(2)
	v_fmac_f32_e32 v139, v7, v9
	v_mul_f32_e32 v7, v197, v198
	s_waitcnt lgkmcnt(1)
	v_fmac_f32_e32 v139, v7, v6
	v_mov_b32_e32 v130, v139
.LBB199_143:                            ;   in Loop: Header=BB199_3 Depth=1
	v_mov_b32_e32 v6, s27
	v_add_co_u32_e32 v2, vcc, s26, v2
	v_addc_co_u32_e32 v10, vcc, v10, v6, vcc
	v_add_co_u32_e32 v11, vcc, s26, v11
	v_addc_co_u32_e32 v12, vcc, v12, v6, vcc
	;; [unrolled: 2-line block ×64, first 2 shown]
	s_add_u32 s30, s30, s9
	v_add_co_u32_e32 v206, vcc, s9, v206
	v_mov_b32_e32 v6, s12
	s_addc_u32 s31, s31, 0
	v_addc_co_u32_e32 v1, vcc, 0, v1, vcc
	v_mov_b32_e32 v7, s13
	v_cmp_lt_i64_e32 vcc, s[30:31], v[6:7]
	s_add_u32 s28, s28, s9
	s_waitcnt lgkmcnt(0)
	v_fmac_f32_e32 v130, v183, v8
	s_addc_u32 s29, 0, s29
	s_cbranch_vccz .LBB199_146
; %bb.144:                              ;   in Loop: Header=BB199_3 Depth=1
	v_mov_b32_e32 v139, v130
	s_branch .LBB199_3
.LBB199_145:
                                        ; implicit-def: $vgpr130
	s_load_dwordx2 s[2:3], s[4:5], 0x30
	s_branch .LBB199_147
.LBB199_146:
	s_load_dwordx2 s[2:3], s[4:5], 0x30
	s_cbranch_execnz .LBB199_227
.LBB199_147:
	s_and_b64 vcc, exec, s[0:1]
	v_mov_b32_e32 v130, 0
	s_cbranch_vccnz .LBB199_227
; %bb.148:
	s_load_dword s0, s[4:5], 0x44
	v_mov_b32_e32 v3, 0
	v_lshlrev_b32_e32 v135, 5, v207
	v_mov_b32_e32 v1, v3
	v_add_u32_e32 v2, s7, v0
	s_add_u32 s10, s4, 64
	buffer_store_dword v0, off, s[36:39], 0 offset:292 ; 4-byte Folded Spill
	s_nop 0
	buffer_store_dword v1, off, s[36:39], 0 offset:296 ; 4-byte Folded Spill
	v_add_co_u32_e32 v166, vcc, s22, v135
	s_addc_u32 s11, s5, 0
	s_waitcnt lgkmcnt(0)
	s_lshl_b32 s7, s0, 5
	v_addc_co_u32_e64 v1, s[0:1], 0, 0, vcc
	v_mov_b32_e32 v136, v3
	v_lshlrev_b64 v[4:5], 1, v[2:3]
	v_mul_lo_u32 v2, s15, v166
	v_mul_lo_u32 v3, s14, v1
	v_mad_u64_u32 v[130:131], s[0:1], s14, v166, 0
	v_mov_b32_e32 v6, s17
	s_mul_i32 s0, s15, s7
	v_add3_u32 v131, v131, v3, v2
	v_lshlrev_b64 v[2:3], 1, v[130:131]
	s_mul_hi_u32 s1, s14, s7
	v_add_co_u32_e32 v206, vcc, s16, v2
	v_addc_co_u32_e32 v209, vcc, v6, v3, vcc
	s_add_i32 s1, s1, s0
	s_mul_i32 s0, s14, s7
	v_add_co_u32_e32 v210, vcc, s18, v2
	v_mov_b32_e32 v2, s19
	s_lshl_b64 s[24:25], s[0:1], 1
	v_addc_co_u32_e32 v211, vcc, v2, v3, vcc
	v_lshlrev_b32_e32 v2, 6, v207
	s_lshl_b64 s[0:1], s[22:23], 1
	v_add_co_u32_e32 v66, vcc, s0, v2
	v_mov_b32_e32 v2, s1
	v_addc_co_u32_e32 v67, vcc, 0, v2, vcc
	v_add_co_u32_e32 v68, vcc, 2, v66
	v_addc_co_u32_e32 v8, vcc, 0, v67, vcc
	v_add_co_u32_e32 v72, vcc, 4, v66
	v_addc_co_u32_e32 v10, vcc, 0, v67, vcc
	v_add_co_u32_e32 v75, vcc, 6, v66
	v_addc_co_u32_e32 v12, vcc, 0, v67, vcc
	v_add_co_u32_e32 v78, vcc, 8, v66
	v_addc_co_u32_e32 v14, vcc, 0, v67, vcc
	v_add_co_u32_e32 v81, vcc, 10, v66
	v_addc_co_u32_e32 v16, vcc, 0, v67, vcc
	v_add_co_u32_e32 v84, vcc, 12, v66
	v_addc_co_u32_e32 v18, vcc, 0, v67, vcc
	v_add_co_u32_e32 v87, vcc, 14, v66
	v_addc_co_u32_e32 v20, vcc, 0, v67, vcc
	v_add_co_u32_e32 v90, vcc, 16, v66
	v_addc_co_u32_e32 v22, vcc, 0, v67, vcc
	v_add_co_u32_e32 v93, vcc, 18, v66
	v_addc_co_u32_e32 v24, vcc, 0, v67, vcc
	v_add_co_u32_e32 v96, vcc, 20, v66
	v_addc_co_u32_e32 v26, vcc, 0, v67, vcc
	v_add_co_u32_e32 v99, vcc, 22, v66
	v_addc_co_u32_e32 v28, vcc, 0, v67, vcc
	v_add_co_u32_e32 v102, vcc, 24, v66
	v_addc_co_u32_e32 v30, vcc, 0, v67, vcc
	v_add_co_u32_e32 v105, vcc, 26, v66
	v_addc_co_u32_e32 v32, vcc, 0, v67, vcc
	v_add_co_u32_e32 v108, vcc, 28, v66
	v_addc_co_u32_e32 v34, vcc, 0, v67, vcc
	v_add_co_u32_e32 v111, vcc, 30, v66
	v_addc_co_u32_e32 v36, vcc, 0, v67, vcc
	v_add_co_u32_e32 v114, vcc, 32, v66
	v_addc_co_u32_e32 v38, vcc, 0, v67, vcc
	v_add_co_u32_e32 v117, vcc, 34, v66
	v_addc_co_u32_e32 v40, vcc, 0, v67, vcc
	v_add_co_u32_e32 v120, vcc, 36, v66
	v_addc_co_u32_e32 v42, vcc, 0, v67, vcc
	v_add_co_u32_e32 v123, vcc, 38, v66
	v_addc_co_u32_e32 v44, vcc, 0, v67, vcc
	v_add_co_u32_e32 v126, vcc, 40, v66
	v_addc_co_u32_e32 v46, vcc, 0, v67, vcc
	v_add_co_u32_e32 v129, vcc, 42, v66
	v_addc_co_u32_e32 v48, vcc, 0, v67, vcc
	v_add_co_u32_e32 v134, vcc, 44, v66
	v_addc_co_u32_e32 v50, vcc, 0, v67, vcc
	v_add_co_u32_e32 v139, vcc, 46, v66
	v_addc_co_u32_e32 v52, vcc, 0, v67, vcc
	v_add_co_u32_e32 v142, vcc, 48, v66
	v_addc_co_u32_e32 v54, vcc, 0, v67, vcc
	v_add_co_u32_e32 v145, vcc, 50, v66
	v_addc_co_u32_e32 v56, vcc, 0, v67, vcc
	v_add_co_u32_e32 v148, vcc, 52, v66
	v_addc_co_u32_e32 v58, vcc, 0, v67, vcc
	v_add_co_u32_e32 v151, vcc, 54, v66
	v_addc_co_u32_e32 v60, vcc, 0, v67, vcc
	v_add_co_u32_e32 v154, vcc, 56, v66
	v_addc_co_u32_e32 v62, vcc, 0, v67, vcc
	v_add_co_u32_e32 v157, vcc, 58, v66
	v_addc_co_u32_e32 v64, vcc, 0, v67, vcc
	v_add_co_u32_e32 v160, vcc, 60, v66
	v_mov_b32_e32 v2, s16
	v_addc_co_u32_e32 v69, vcc, 0, v67, vcc
	v_mov_b32_e32 v3, s17
	v_add_co_u32_e32 v163, vcc, 62, v66
	v_mad_u64_u32 v[6:7], s[0:1], s14, v68, v[2:3]
	v_mul_lo_u32 v70, s14, v8
	v_mad_u64_u32 v[8:9], s[0:1], s14, v72, v[2:3]
	v_mul_lo_u32 v73, s14, v10
	;; [unrolled: 2-line block ×30, first 2 shown]
	v_addc_co_u32_e32 v69, vcc, 0, v67, vcc
	v_mad_u64_u32 v[66:67], s[0:1], s14, v163, v[2:3]
	v_mov_b32_e32 v2, s18
	v_mov_b32_e32 v3, s19
	v_mul_lo_u32 v71, s15, v68
	v_mul_lo_u32 v164, s14, v69
	v_mad_u64_u32 v[68:69], s[0:1], s14, v68, v[2:3]
	v_add3_u32 v7, v71, v7, v70
	v_mul_lo_u32 v74, s15, v72
	v_add3_u32 v69, v71, v69, v70
	v_mad_u64_u32 v[70:71], s[0:1], s14, v72, v[2:3]
	v_add3_u32 v9, v74, v9, v73
	v_mul_lo_u32 v77, s15, v75
	v_add3_u32 v71, v74, v71, v73
	v_mad_u64_u32 v[72:73], s[0:1], s14, v75, v[2:3]
	v_mul_lo_u32 v80, s15, v78
	v_mad_u64_u32 v[74:75], s[0:1], s14, v78, v[2:3]
	v_add3_u32 v11, v77, v11, v76
	v_mul_lo_u32 v83, s15, v81
	v_add3_u32 v73, v77, v73, v76
	v_mad_u64_u32 v[76:77], s[0:1], s14, v81, v[2:3]
	v_add3_u32 v13, v80, v13, v79
	v_mul_lo_u32 v86, s15, v84
	v_add3_u32 v75, v80, v75, v79
	v_mad_u64_u32 v[78:79], s[0:1], s14, v84, v[2:3]
	v_add3_u32 v15, v83, v15, v82
	v_mul_lo_u32 v89, s15, v87
	v_mul_lo_u32 v92, s15, v90
	v_add3_u32 v77, v83, v77, v82
	v_mad_u64_u32 v[80:81], s[0:1], s14, v87, v[2:3]
	v_mad_u64_u32 v[82:83], s[0:1], s14, v90, v[2:3]
	v_add3_u32 v17, v86, v17, v85
	v_mul_lo_u32 v95, s15, v93
	v_add3_u32 v79, v86, v79, v85
	v_mad_u64_u32 v[84:85], s[0:1], s14, v93, v[2:3]
	v_add3_u32 v19, v89, v19, v88
	v_add3_u32 v21, v92, v21, v91
	v_mul_lo_u32 v98, s15, v96
	v_mul_lo_u32 v101, s15, v99
	v_mul_lo_u32 v104, s15, v102
	v_mul_lo_u32 v107, s15, v105
	v_add3_u32 v81, v89, v81, v88
	v_add3_u32 v83, v92, v83, v91
	v_mad_u64_u32 v[86:87], s[0:1], s14, v96, v[2:3]
	v_mad_u64_u32 v[88:89], s[0:1], s14, v99, v[2:3]
	;; [unrolled: 1-line block ×4, first 2 shown]
	v_add3_u32 v23, v95, v23, v94
	v_mul_lo_u32 v110, s15, v108
	v_add3_u32 v85, v95, v85, v94
	v_mad_u64_u32 v[94:95], s[0:1], s14, v108, v[2:3]
	v_add3_u32 v25, v98, v25, v97
	v_add3_u32 v27, v101, v27, v100
	;; [unrolled: 1-line block ×4, first 2 shown]
	v_mul_lo_u32 v113, s15, v111
	v_mul_lo_u32 v116, s15, v114
	;; [unrolled: 1-line block ×6, first 2 shown]
	v_add3_u32 v87, v98, v87, v97
	v_add3_u32 v89, v101, v89, v100
	;; [unrolled: 1-line block ×4, first 2 shown]
	v_mad_u64_u32 v[96:97], s[0:1], s14, v111, v[2:3]
	v_mad_u64_u32 v[98:99], s[0:1], s14, v114, v[2:3]
	;; [unrolled: 1-line block ×6, first 2 shown]
	v_add3_u32 v33, v110, v33, v109
	v_mul_lo_u32 v133, s15, v129
	v_add3_u32 v95, v110, v95, v109
	v_mad_u64_u32 v[108:109], s[0:1], s14, v129, v[2:3]
	v_add3_u32 v35, v113, v35, v112
	v_add3_u32 v37, v116, v37, v115
	;; [unrolled: 1-line block ×12, first 2 shown]
	v_mad_u64_u32 v[110:111], s[0:1], s14, v134, v[2:3]
	v_mad_u64_u32 v[112:113], s[0:1], s14, v139, v[2:3]
	;; [unrolled: 1-line block ×10, first 2 shown]
	v_add_co_u32_e32 v2, vcc, 31, v166
	v_addc_co_u32_e32 v3, vcc, 0, v1, vcc
	v_add3_u32 v47, v133, v47, v132
	v_add3_u32 v109, v133, v109, v132
	v_mul_lo_u32 v132, s15, v2
	v_mul_lo_u32 v133, s14, v3
	v_mad_u64_u32 v[2:3], s[0:1], s14, v2, 0
	v_mul_lo_u32 v141, s15, v139
	v_mul_lo_u32 v138, s15, v134
	v_add3_u32 v3, v3, v133, v132
	v_lshlrev_b64 v[2:3], 1, v[2:3]
	v_mov_b32_e32 v132, s17
	v_add_co_u32_e32 v212, vcc, s16, v2
	v_addc_co_u32_e32 v213, vcc, v132, v3, vcc
	v_add_co_u32_e32 v214, vcc, s18, v2
	v_mov_b32_e32 v2, s19
	v_addc_co_u32_e32 v215, vcc, v2, v3, vcc
	v_add_co_u32_e32 v2, vcc, 30, v166
	v_addc_co_u32_e32 v3, vcc, 0, v1, vcc
	v_mul_lo_u32 v132, s15, v2
	v_mul_lo_u32 v133, s14, v3
	v_mad_u64_u32 v[2:3], s[0:1], s14, v2, 0
	v_add3_u32 v51, v141, v51, v140
	v_add3_u32 v113, v141, v113, v140
	;; [unrolled: 1-line block ×3, first 2 shown]
	v_lshlrev_b64 v[2:3], 1, v[2:3]
	v_mov_b32_e32 v132, s17
	v_add_co_u32_e32 v216, vcc, s16, v2
	v_addc_co_u32_e32 v217, vcc, v132, v3, vcc
	v_add_co_u32_e32 v218, vcc, s18, v2
	v_mov_b32_e32 v2, s19
	v_addc_co_u32_e32 v219, vcc, v2, v3, vcc
	v_add_co_u32_e32 v2, vcc, 29, v166
	v_addc_co_u32_e32 v3, vcc, 0, v1, vcc
	v_mul_lo_u32 v132, s15, v2
	v_mul_lo_u32 v133, s14, v3
	v_mad_u64_u32 v[2:3], s[0:1], s14, v2, 0
	v_add3_u32 v49, v138, v49, v137
	v_add3_u32 v111, v138, v111, v137
	;; [unrolled: 1-line block ×3, first 2 shown]
	v_lshlrev_b64 v[2:3], 1, v[2:3]
	v_mov_b32_e32 v132, s17
	v_add_co_u32_e32 v220, vcc, s16, v2
	v_addc_co_u32_e32 v221, vcc, v132, v3, vcc
	v_add_co_u32_e32 v222, vcc, s18, v2
	v_mov_b32_e32 v2, s19
	v_addc_co_u32_e32 v223, vcc, v2, v3, vcc
	v_add_co_u32_e32 v2, vcc, 28, v166
	v_addc_co_u32_e32 v3, vcc, 0, v1, vcc
	v_mul_lo_u32 v132, s15, v2
	v_mul_lo_u32 v133, s14, v3
	v_mad_u64_u32 v[2:3], s[0:1], s14, v2, 0
	v_mul_lo_u32 v144, s15, v142
	v_mul_lo_u32 v147, s15, v145
	v_add3_u32 v3, v3, v133, v132
	v_lshlrev_b64 v[2:3], 1, v[2:3]
	v_mov_b32_e32 v132, s17
	v_add_co_u32_e32 v224, vcc, s16, v2
	v_addc_co_u32_e32 v225, vcc, v132, v3, vcc
	v_add_co_u32_e32 v226, vcc, s18, v2
	v_mov_b32_e32 v2, s19
	v_addc_co_u32_e32 v227, vcc, v2, v3, vcc
	v_add_co_u32_e32 v2, vcc, 27, v166
	v_addc_co_u32_e32 v3, vcc, 0, v1, vcc
	v_mul_lo_u32 v132, s15, v2
	v_mul_lo_u32 v133, s14, v3
	v_mad_u64_u32 v[2:3], s[0:1], s14, v2, 0
	v_add3_u32 v53, v144, v53, v143
	v_mul_lo_u32 v150, s15, v148
	v_add3_u32 v3, v3, v133, v132
	v_lshlrev_b64 v[2:3], 1, v[2:3]
	v_mov_b32_e32 v132, s17
	v_add_co_u32_e32 v228, vcc, s16, v2
	v_addc_co_u32_e32 v229, vcc, v132, v3, vcc
	v_add_co_u32_e32 v230, vcc, s18, v2
	v_mov_b32_e32 v2, s19
	v_addc_co_u32_e32 v231, vcc, v2, v3, vcc
	v_add_co_u32_e32 v2, vcc, 26, v166
	v_addc_co_u32_e32 v3, vcc, 0, v1, vcc
	v_mul_lo_u32 v132, s15, v2
	v_mul_lo_u32 v133, s14, v3
	v_mad_u64_u32 v[2:3], s[0:1], s14, v2, 0
	v_mul_lo_u32 v153, s15, v151
	v_mul_lo_u32 v156, s15, v154
	v_add3_u32 v3, v3, v133, v132
	v_lshlrev_b64 v[2:3], 1, v[2:3]
	v_mov_b32_e32 v132, s17
	v_add_co_u32_e32 v232, vcc, s16, v2
	v_addc_co_u32_e32 v233, vcc, v132, v3, vcc
	v_add_co_u32_e32 v234, vcc, s18, v2
	v_mov_b32_e32 v2, s19
	v_addc_co_u32_e32 v235, vcc, v2, v3, vcc
	v_add_co_u32_e32 v2, vcc, 25, v166
	v_addc_co_u32_e32 v3, vcc, 0, v1, vcc
	v_mul_lo_u32 v132, s15, v2
	v_mul_lo_u32 v133, s14, v3
	v_mad_u64_u32 v[2:3], s[0:1], s14, v2, 0
	v_mul_lo_u32 v159, s15, v157
	;; [unrolled: 15-line block ×3, first 2 shown]
	v_add3_u32 v115, v144, v115, v143
	v_add3_u32 v3, v3, v133, v132
	v_lshlrev_b64 v[2:3], 1, v[2:3]
	v_mov_b32_e32 v132, s17
	v_add_co_u32_e32 v240, vcc, s16, v2
	v_addc_co_u32_e32 v241, vcc, v132, v3, vcc
	v_add_co_u32_e32 v242, vcc, s18, v2
	v_mov_b32_e32 v2, s19
	v_addc_co_u32_e32 v243, vcc, v2, v3, vcc
	v_add_co_u32_e32 v2, vcc, 23, v166
	v_addc_co_u32_e32 v3, vcc, 0, v1, vcc
	v_mul_lo_u32 v132, s15, v2
	v_mul_lo_u32 v133, s14, v3
	v_mad_u64_u32 v[2:3], s[0:1], s14, v2, 0
	v_add3_u32 v55, v147, v55, v146
	v_add3_u32 v57, v150, v57, v149
	v_add3_u32 v3, v3, v133, v132
	v_lshlrev_b64 v[2:3], 1, v[2:3]
	v_mov_b32_e32 v132, s17
	v_add_co_u32_e32 v244, vcc, s16, v2
	v_addc_co_u32_e32 v245, vcc, v132, v3, vcc
	v_add_co_u32_e32 v246, vcc, s18, v2
	v_mov_b32_e32 v2, s19
	v_addc_co_u32_e32 v247, vcc, v2, v3, vcc
	v_add_co_u32_e32 v2, vcc, 22, v166
	v_addc_co_u32_e32 v3, vcc, 0, v1, vcc
	v_mul_lo_u32 v132, s15, v2
	v_mul_lo_u32 v133, s14, v3
	v_mad_u64_u32 v[2:3], s[0:1], s14, v2, 0
	v_add3_u32 v59, v153, v59, v152
	v_add3_u32 v61, v156, v61, v155
	v_add3_u32 v3, v3, v133, v132
	v_lshlrev_b64 v[2:3], 1, v[2:3]
	v_mov_b32_e32 v132, s17
	v_add_co_u32_e32 v248, vcc, s16, v2
	v_addc_co_u32_e32 v249, vcc, v132, v3, vcc
	v_add_co_u32_e32 v250, vcc, s18, v2
	v_mov_b32_e32 v2, s19
	v_addc_co_u32_e32 v251, vcc, v2, v3, vcc
	v_add_co_u32_e32 v2, vcc, 21, v166
	v_addc_co_u32_e32 v3, vcc, 0, v1, vcc
	v_mul_lo_u32 v132, s15, v2
	v_mul_lo_u32 v133, s14, v3
	v_mad_u64_u32 v[2:3], s[0:1], s14, v2, 0
	v_add3_u32 v63, v159, v63, v158
	v_add3_u32 v65, v162, v65, v161
	v_add3_u32 v3, v3, v133, v132
	v_lshlrev_b64 v[2:3], 1, v[2:3]
	v_mov_b32_e32 v132, s17
	v_add_co_u32_e32 v252, vcc, s16, v2
	v_addc_co_u32_e32 v253, vcc, v132, v3, vcc
	v_add_co_u32_e32 v254, vcc, s18, v2
	v_mov_b32_e32 v2, s19
	v_addc_co_u32_e32 v255, vcc, v2, v3, vcc
	v_add_co_u32_e32 v2, vcc, 20, v166
	v_addc_co_u32_e32 v3, vcc, 0, v1, vcc
	v_mul_lo_u32 v132, s15, v2
	v_mul_lo_u32 v133, s14, v3
	v_mad_u64_u32 v[2:3], s[0:1], s14, v2, 0
	v_add3_u32 v67, v165, v67, v164
	v_add3_u32 v117, v147, v117, v146
	v_add3_u32 v3, v3, v133, v132
	v_lshlrev_b64 v[2:3], 1, v[2:3]
	v_mov_b32_e32 v132, s17
	v_add_co_u32_e32 v134, vcc, s16, v2
	v_addc_co_u32_e32 v140, vcc, v132, v3, vcc
	v_add_co_u32_e32 v208, vcc, s18, v2
	v_mov_b32_e32 v2, s19
	v_addc_co_u32_e32 v137, vcc, v2, v3, vcc
	v_add_co_u32_e32 v2, vcc, 19, v166
	v_addc_co_u32_e32 v3, vcc, 0, v1, vcc
	v_mul_lo_u32 v132, s15, v2
	v_mul_lo_u32 v133, s14, v3
	v_mad_u64_u32 v[2:3], s[0:1], s14, v2, 0
	v_add3_u32 v119, v150, v119, v149
	v_add3_u32 v121, v153, v121, v152
	v_add3_u32 v3, v3, v133, v132
	v_lshlrev_b64 v[2:3], 1, v[2:3]
	v_add3_u32 v123, v156, v123, v155
	v_add_co_u32_e32 v132, vcc, s16, v2
	buffer_store_dword v132, off, s[36:39], 0 ; 4-byte Folded Spill
	v_mov_b32_e32 v132, s17
	v_addc_co_u32_e32 v132, vcc, v132, v3, vcc
	v_add_co_u32_e32 v2, vcc, s18, v2
	buffer_store_dword v2, off, s[36:39], 0 offset:8 ; 4-byte Folded Spill
	v_mov_b32_e32 v2, s19
	v_addc_co_u32_e32 v2, vcc, v2, v3, vcc
	buffer_store_dword v2, off, s[36:39], 0 offset:12 ; 4-byte Folded Spill
	v_add_co_u32_e32 v2, vcc, 18, v166
	v_addc_co_u32_e32 v3, vcc, 0, v1, vcc
	buffer_store_dword v132, off, s[36:39], 0 offset:4 ; 4-byte Folded Spill
	v_mul_lo_u32 v132, s15, v2
	v_mul_lo_u32 v133, s14, v3
	v_mad_u64_u32 v[2:3], s[0:1], s14, v2, 0
	v_add3_u32 v125, v159, v125, v158
	v_add3_u32 v127, v162, v127, v161
	;; [unrolled: 1-line block ×3, first 2 shown]
	v_lshlrev_b64 v[2:3], 1, v[2:3]
	v_add3_u32 v129, v165, v129, v164
	v_add_co_u32_e32 v132, vcc, s16, v2
	buffer_store_dword v132, off, s[36:39], 0 offset:16 ; 4-byte Folded Spill
	v_mov_b32_e32 v132, s17
	v_addc_co_u32_e32 v132, vcc, v132, v3, vcc
	v_add_co_u32_e32 v2, vcc, s18, v2
	buffer_store_dword v2, off, s[36:39], 0 offset:24 ; 4-byte Folded Spill
	v_mov_b32_e32 v2, s19
	v_addc_co_u32_e32 v2, vcc, v2, v3, vcc
	buffer_store_dword v2, off, s[36:39], 0 offset:28 ; 4-byte Folded Spill
	v_add_co_u32_e32 v2, vcc, 17, v166
	v_addc_co_u32_e32 v3, vcc, 0, v1, vcc
	buffer_store_dword v132, off, s[36:39], 0 offset:20 ; 4-byte Folded Spill
	v_mul_lo_u32 v132, s15, v2
	v_mul_lo_u32 v133, s14, v3
	v_mad_u64_u32 v[2:3], s[0:1], s14, v2, 0
	s_mov_b64 s[26:27], 31
	v_mov_b32_e32 v146, 0
	v_add3_u32 v3, v3, v133, v132
	v_lshlrev_b64 v[2:3], 1, v[2:3]
	v_add_co_u32_e32 v132, vcc, s16, v2
	buffer_store_dword v132, off, s[36:39], 0 offset:32 ; 4-byte Folded Spill
	v_mov_b32_e32 v132, s17
	v_addc_co_u32_e32 v132, vcc, v132, v3, vcc
	v_add_co_u32_e32 v2, vcc, s18, v2
	buffer_store_dword v2, off, s[36:39], 0 offset:40 ; 4-byte Folded Spill
	v_mov_b32_e32 v2, s19
	v_addc_co_u32_e32 v2, vcc, v2, v3, vcc
	buffer_store_dword v2, off, s[36:39], 0 offset:44 ; 4-byte Folded Spill
	v_add_co_u32_e32 v2, vcc, 16, v166
	v_addc_co_u32_e32 v3, vcc, 0, v1, vcc
	buffer_store_dword v132, off, s[36:39], 0 offset:36 ; 4-byte Folded Spill
	v_mul_lo_u32 v132, s15, v2
	v_mul_lo_u32 v133, s14, v3
	v_mad_u64_u32 v[2:3], s[0:1], s14, v2, 0
	v_add3_u32 v3, v3, v133, v132
	v_lshlrev_b64 v[2:3], 1, v[2:3]
	v_add_co_u32_e32 v132, vcc, s16, v2
	buffer_store_dword v132, off, s[36:39], 0 offset:48 ; 4-byte Folded Spill
	v_mov_b32_e32 v132, s17
	v_addc_co_u32_e32 v132, vcc, v132, v3, vcc
	v_add_co_u32_e32 v2, vcc, s18, v2
	buffer_store_dword v2, off, s[36:39], 0 offset:56 ; 4-byte Folded Spill
	v_mov_b32_e32 v2, s19
	v_addc_co_u32_e32 v2, vcc, v2, v3, vcc
	buffer_store_dword v2, off, s[36:39], 0 offset:60 ; 4-byte Folded Spill
	v_add_co_u32_e32 v2, vcc, 15, v166
	v_addc_co_u32_e32 v3, vcc, 0, v1, vcc
	buffer_store_dword v132, off, s[36:39], 0 offset:52 ; 4-byte Folded Spill
	v_mul_lo_u32 v132, s15, v2
	v_mul_lo_u32 v133, s14, v3
	v_mad_u64_u32 v[2:3], s[0:1], s14, v2, 0
	;; [unrolled: 17-line block ×15, first 2 shown]
	v_mov_b32_e32 v1, v137
	v_add3_u32 v133, v133, v3, v2
	v_lshlrev_b64 v[132:133], 1, v[132:133]
	v_mov_b32_e32 v3, v134
	v_add_co_u32_e32 v2, vcc, s16, v132
	buffer_store_dword v2, off, s[36:39], 0 offset:272 ; 4-byte Folded Spill
	v_mov_b32_e32 v2, s17
	v_addc_co_u32_e32 v2, vcc, v2, v133, vcc
	buffer_store_dword v2, off, s[36:39], 0 offset:276 ; 4-byte Folded Spill
	v_add_co_u32_e32 v2, vcc, s18, v132
	buffer_store_dword v2, off, s[36:39], 0 offset:280 ; 4-byte Folded Spill
	v_mov_b32_e32 v2, s19
	v_addc_co_u32_e32 v2, vcc, v2, v133, vcc
	buffer_store_dword v2, off, s[36:39], 0 offset:284 ; 4-byte Folded Spill
	v_add_co_u32_e32 v130, vcc, s14, v130
	v_mov_b32_e32 v2, s15
	v_addc_co_u32_e32 v131, vcc, v131, v2, vcc
	v_lshlrev_b64 v[130:131], 1, v[130:131]
	v_mov_b32_e32 v2, s17
	v_add_co_u32_e32 v141, vcc, s16, v130
	v_addc_co_u32_e32 v142, vcc, v2, v131, vcc
	v_add_co_u32_e32 v143, vcc, s18, v130
	v_mov_b32_e32 v2, s19
	v_addc_co_u32_e32 v144, vcc, v2, v131, vcc
	v_mbcnt_lo_u32_b32 v2, -1, 0
	v_mbcnt_hi_u32_b32 v2, -1, v2
	v_lshlrev_b32_e32 v2, 2, v2
	v_and_b32_e32 v145, 0x100, v2
	s_mov_b64 s[16:17], s[22:23]
.LBB199_149:                            ; =>This Inner Loop Header: Depth=1
	s_add_u32 s0, s22, s26
	v_mov_b32_e32 v131, s13
	s_addc_u32 s1, 0, s27
	v_mov_b32_e32 v130, s12
	v_cmp_ge_i64_e32 vcc, s[0:1], v[130:131]
	v_add_co_u32_e64 v131, s[0:1], s22, v135
	v_addc_co_u32_e64 v132, s[0:1], 0, v136, s[0:1]
	s_mov_b64 s[0:1], -1
                                        ; implicit-def: $vgpr130
	s_cbranch_vccz .LBB199_219
; %bb.150:                              ;   in Loop: Header=BB199_149 Depth=1
	s_load_dword s0, s[10:11], 0xc
	v_mov_b32_e32 v2, 0
	buffer_store_dword v2, off, s[36:39], 0 offset:288 ; 4-byte Folded Spill
	v_mov_b32_e32 v147, 0
	s_waitcnt lgkmcnt(0)
	s_and_b32 s0, s0, 0xffff
	v_mad_u32_u24 v2, v207, s0, v0
	v_and_b32_e32 v2, 63, v2
	v_cmp_gt_u32_e32 vcc, 32, v2
	s_and_saveexec_b64 s[0:1], vcc
	s_cbranch_execz .LBB199_154
; %bb.151:                              ;   in Loop: Header=BB199_149 Depth=1
	v_add_co_u32_e32 v133, vcc, v131, v2
	v_addc_co_u32_e32 v134, vcc, 0, v132, vcc
	v_cmp_gt_i64_e32 vcc, s[12:13], v[133:134]
	v_mov_b32_e32 v147, 0
	s_and_saveexec_b64 s[18:19], vcc
	s_cbranch_execz .LBB199_153
; %bb.152:                              ;   in Loop: Header=BB199_149 Depth=1
	v_lshlrev_b64 v[133:134], 2, v[133:134]
	v_mov_b32_e32 v2, s21
	v_add_co_u32_e32 v133, vcc, s20, v133
	v_addc_co_u32_e32 v134, vcc, v2, v134, vcc
	global_load_dword v147, v[133:134], off
.LBB199_153:                            ;   in Loop: Header=BB199_149 Depth=1
	s_or_b64 exec, exec, s[18:19]
.LBB199_154:                            ;   in Loop: Header=BB199_149 Depth=1
	s_or_b64 exec, exec, s[0:1]
	v_cmp_gt_i64_e32 vcc, s[12:13], v[131:132]
	v_mov_b32_e32 v133, 0
	s_and_saveexec_b64 s[0:1], vcc
	s_cbranch_execz .LBB199_156
; %bb.155:                              ;   in Loop: Header=BB199_149 Depth=1
	v_add_co_u32_e32 v133, vcc, v206, v4
	v_addc_co_u32_e32 v134, vcc, v209, v5, vcc
	v_add_co_u32_e32 v137, vcc, v210, v4
	v_addc_co_u32_e32 v138, vcc, v211, v5, vcc
	global_load_ushort v2, v[133:134], off
	s_nop 0
	global_load_ushort v133, v[137:138], off
	s_waitcnt vmcnt(1)
	v_lshlrev_b32_e32 v2, 16, v2
	s_waitcnt vmcnt(0)
	v_lshlrev_b32_e32 v133, 16, v133
	buffer_store_dword v2, off, s[36:39], 0 offset:288 ; 4-byte Folded Spill
.LBB199_156:                            ;   in Loop: Header=BB199_149 Depth=1
	s_or_b64 exec, exec, s[0:1]
	v_add_co_u32_e32 v137, vcc, 1, v131
	v_addc_co_u32_e32 v138, vcc, 0, v132, vcc
	v_cmp_gt_i64_e32 vcc, s[12:13], v[137:138]
	v_mov_b32_e32 v134, 0
	v_mov_b32_e32 v148, 0
	;; [unrolled: 1-line block ×3, first 2 shown]
	s_and_saveexec_b64 s[0:1], vcc
	s_cbranch_execz .LBB199_158
; %bb.157:                              ;   in Loop: Header=BB199_149 Depth=1
	v_add_co_u32_e32 v137, vcc, v141, v4
	v_addc_co_u32_e32 v138, vcc, v142, v5, vcc
	v_add_co_u32_e32 v148, vcc, v143, v4
	v_addc_co_u32_e32 v149, vcc, v144, v5, vcc
	global_load_ushort v2, v[137:138], off
	s_nop 0
	global_load_ushort v137, v[148:149], off
	s_waitcnt vmcnt(1)
	v_lshlrev_b32_e32 v148, 16, v2
	s_waitcnt vmcnt(0)
	v_lshlrev_b32_e32 v149, 16, v137
.LBB199_158:                            ;   in Loop: Header=BB199_149 Depth=1
	s_or_b64 exec, exec, s[0:1]
	v_add_co_u32_e32 v137, vcc, 2, v131
	v_addc_co_u32_e32 v138, vcc, 0, v132, vcc
	v_cmp_gt_i64_e32 vcc, s[12:13], v[137:138]
	v_mov_b32_e32 v151, 0
	s_and_saveexec_b64 s[0:1], vcc
	s_cbranch_execz .LBB199_160
; %bb.159:                              ;   in Loop: Header=BB199_149 Depth=1
	buffer_load_dword v2, off, s[36:39], 0 offset:272 ; 4-byte Folded Reload
	s_waitcnt vmcnt(0)
	v_add_co_u32_e32 v137, vcc, v2, v4
	buffer_load_dword v2, off, s[36:39], 0 offset:276 ; 4-byte Folded Reload
	s_waitcnt vmcnt(0)
	v_addc_co_u32_e32 v138, vcc, v2, v5, vcc
	buffer_load_dword v2, off, s[36:39], 0 offset:280 ; 4-byte Folded Reload
	s_waitcnt vmcnt(0)
	v_add_co_u32_e32 v150, vcc, v2, v4
	buffer_load_dword v2, off, s[36:39], 0 offset:284 ; 4-byte Folded Reload
	s_waitcnt vmcnt(0)
	v_addc_co_u32_e32 v151, vcc, v2, v5, vcc
	global_load_ushort v2, v[137:138], off
	s_nop 0
	global_load_ushort v137, v[150:151], off
	s_waitcnt vmcnt(1)
	v_lshlrev_b32_e32 v134, 16, v2
	s_waitcnt vmcnt(0)
	v_lshlrev_b32_e32 v151, 16, v137
.LBB199_160:                            ;   in Loop: Header=BB199_149 Depth=1
	s_or_b64 exec, exec, s[0:1]
	v_add_co_u32_e32 v137, vcc, 3, v131
	v_addc_co_u32_e32 v138, vcc, 0, v132, vcc
	v_cmp_gt_i64_e32 vcc, s[12:13], v[137:138]
	v_mov_b32_e32 v150, 0
	v_mov_b32_e32 v152, 0
	v_mov_b32_e32 v153, 0
	s_and_saveexec_b64 s[0:1], vcc
	s_cbranch_execz .LBB199_162
; %bb.161:                              ;   in Loop: Header=BB199_149 Depth=1
	buffer_load_dword v2, off, s[36:39], 0 offset:256 ; 4-byte Folded Reload
	s_waitcnt vmcnt(0)
	v_add_co_u32_e32 v137, vcc, v2, v4
	buffer_load_dword v2, off, s[36:39], 0 offset:260 ; 4-byte Folded Reload
	s_waitcnt vmcnt(0)
	v_addc_co_u32_e32 v138, vcc, v2, v5, vcc
	buffer_load_dword v2, off, s[36:39], 0 offset:264 ; 4-byte Folded Reload
	s_waitcnt vmcnt(0)
	v_add_co_u32_e32 v152, vcc, v2, v4
	buffer_load_dword v2, off, s[36:39], 0 offset:268 ; 4-byte Folded Reload
	s_waitcnt vmcnt(0)
	v_addc_co_u32_e32 v153, vcc, v2, v5, vcc
	global_load_ushort v2, v[137:138], off
	s_nop 0
	global_load_ushort v137, v[152:153], off
	s_waitcnt vmcnt(1)
	v_lshlrev_b32_e32 v152, 16, v2
	s_waitcnt vmcnt(0)
	v_lshlrev_b32_e32 v153, 16, v137
.LBB199_162:                            ;   in Loop: Header=BB199_149 Depth=1
	s_or_b64 exec, exec, s[0:1]
	v_add_co_u32_e32 v137, vcc, 4, v131
	v_addc_co_u32_e32 v138, vcc, 0, v132, vcc
	v_cmp_gt_i64_e32 vcc, s[12:13], v[137:138]
	v_mov_b32_e32 v155, 0
	s_and_saveexec_b64 s[0:1], vcc
	s_cbranch_execz .LBB199_164
; %bb.163:                              ;   in Loop: Header=BB199_149 Depth=1
	buffer_load_dword v2, off, s[36:39], 0 offset:240 ; 4-byte Folded Reload
	s_waitcnt vmcnt(0)
	v_add_co_u32_e32 v137, vcc, v2, v4
	buffer_load_dword v2, off, s[36:39], 0 offset:244 ; 4-byte Folded Reload
	s_waitcnt vmcnt(0)
	v_addc_co_u32_e32 v138, vcc, v2, v5, vcc
	buffer_load_dword v2, off, s[36:39], 0 offset:248 ; 4-byte Folded Reload
	s_waitcnt vmcnt(0)
	v_add_co_u32_e32 v154, vcc, v2, v4
	buffer_load_dword v2, off, s[36:39], 0 offset:252 ; 4-byte Folded Reload
	s_waitcnt vmcnt(0)
	v_addc_co_u32_e32 v155, vcc, v2, v5, vcc
	global_load_ushort v2, v[137:138], off
	s_nop 0
	global_load_ushort v137, v[154:155], off
	s_waitcnt vmcnt(1)
	v_lshlrev_b32_e32 v150, 16, v2
	s_waitcnt vmcnt(0)
	v_lshlrev_b32_e32 v155, 16, v137
.LBB199_164:                            ;   in Loop: Header=BB199_149 Depth=1
	s_or_b64 exec, exec, s[0:1]
	v_add_co_u32_e32 v137, vcc, 5, v131
	v_addc_co_u32_e32 v138, vcc, 0, v132, vcc
	v_cmp_gt_i64_e32 vcc, s[12:13], v[137:138]
	v_mov_b32_e32 v154, 0
	v_mov_b32_e32 v156, 0
	v_mov_b32_e32 v2, 0
	s_and_saveexec_b64 s[0:1], vcc
	s_cbranch_execz .LBB199_166
; %bb.165:                              ;   in Loop: Header=BB199_149 Depth=1
	buffer_load_dword v2, off, s[36:39], 0 offset:224 ; 4-byte Folded Reload
	s_waitcnt vmcnt(0)
	v_add_co_u32_e32 v137, vcc, v2, v4
	buffer_load_dword v2, off, s[36:39], 0 offset:228 ; 4-byte Folded Reload
	s_waitcnt vmcnt(0)
	v_addc_co_u32_e32 v138, vcc, v2, v5, vcc
	buffer_load_dword v2, off, s[36:39], 0 offset:232 ; 4-byte Folded Reload
	s_waitcnt vmcnt(0)
	v_add_co_u32_e32 v156, vcc, v2, v4
	buffer_load_dword v2, off, s[36:39], 0 offset:236 ; 4-byte Folded Reload
	s_waitcnt vmcnt(0)
	v_addc_co_u32_e32 v157, vcc, v2, v5, vcc
	global_load_ushort v2, v[137:138], off
	s_nop 0
	global_load_ushort v137, v[156:157], off
	s_waitcnt vmcnt(1)
	v_lshlrev_b32_e32 v156, 16, v2
	s_waitcnt vmcnt(0)
	v_lshlrev_b32_e32 v2, 16, v137
.LBB199_166:                            ;   in Loop: Header=BB199_149 Depth=1
	;; [unrolled: 58-line block ×8, first 2 shown]
	s_or_b64 exec, exec, s[0:1]
	v_add_co_u32_e32 v178, vcc, 18, v131
	v_addc_co_u32_e32 v179, vcc, 0, v132, vcc
	v_cmp_gt_i64_e32 vcc, s[12:13], v[178:179]
	v_mov_b32_e32 v179, 0
	s_and_saveexec_b64 s[0:1], vcc
	s_cbranch_execz .LBB199_192
; %bb.191:                              ;   in Loop: Header=BB199_149 Depth=1
	buffer_load_dword v130, off, s[36:39], 0 offset:16 ; 4-byte Folded Reload
	s_waitcnt vmcnt(0)
	v_add_co_u32_e32 v178, vcc, v130, v4
	buffer_load_dword v130, off, s[36:39], 0 offset:20 ; 4-byte Folded Reload
	s_waitcnt vmcnt(0)
	v_addc_co_u32_e32 v179, vcc, v130, v5, vcc
	buffer_load_dword v130, off, s[36:39], 0 offset:24 ; 4-byte Folded Reload
	s_waitcnt vmcnt(0)
	v_add_co_u32_e32 v180, vcc, v130, v4
	buffer_load_dword v130, off, s[36:39], 0 offset:28 ; 4-byte Folded Reload
	s_waitcnt vmcnt(0)
	v_addc_co_u32_e32 v181, vcc, v130, v5, vcc
	global_load_ushort v174, v[178:179], off
	s_nop 0
	global_load_ushort v178, v[180:181], off
	s_waitcnt vmcnt(1)
	v_lshlrev_b32_e32 v174, 16, v174
	s_waitcnt vmcnt(0)
	v_lshlrev_b32_e32 v179, 16, v178
.LBB199_192:                            ;   in Loop: Header=BB199_149 Depth=1
	s_or_b64 exec, exec, s[0:1]
	v_add_co_u32_e32 v180, vcc, 19, v131
	v_addc_co_u32_e32 v181, vcc, 0, v132, vcc
	v_cmp_gt_i64_e32 vcc, s[12:13], v[180:181]
	v_mov_b32_e32 v178, 0
	v_mov_b32_e32 v180, 0
	;; [unrolled: 1-line block ×3, first 2 shown]
	s_and_saveexec_b64 s[0:1], vcc
	s_cbranch_execz .LBB199_194
; %bb.193:                              ;   in Loop: Header=BB199_149 Depth=1
	buffer_load_dword v130, off, s[36:39], 0 ; 4-byte Folded Reload
	s_waitcnt vmcnt(0)
	v_add_co_u32_e32 v180, vcc, v130, v4
	buffer_load_dword v130, off, s[36:39], 0 offset:4 ; 4-byte Folded Reload
	s_waitcnt vmcnt(0)
	v_addc_co_u32_e32 v181, vcc, v130, v5, vcc
	buffer_load_dword v130, off, s[36:39], 0 offset:8 ; 4-byte Folded Reload
	s_waitcnt vmcnt(0)
	v_add_co_u32_e32 v182, vcc, v130, v4
	buffer_load_dword v130, off, s[36:39], 0 offset:12 ; 4-byte Folded Reload
	s_waitcnt vmcnt(0)
	v_addc_co_u32_e32 v183, vcc, v130, v5, vcc
	global_load_ushort v180, v[180:181], off
	s_nop 0
	global_load_ushort v181, v[182:183], off
	s_waitcnt vmcnt(1)
	v_lshlrev_b32_e32 v180, 16, v180
	s_waitcnt vmcnt(0)
	v_lshlrev_b32_e32 v181, 16, v181
.LBB199_194:                            ;   in Loop: Header=BB199_149 Depth=1
	s_or_b64 exec, exec, s[0:1]
	v_add_co_u32_e32 v182, vcc, 20, v131
	v_addc_co_u32_e32 v183, vcc, 0, v132, vcc
	v_cmp_gt_i64_e32 vcc, s[12:13], v[182:183]
	v_mov_b32_e32 v183, 0
	s_and_saveexec_b64 s[0:1], vcc
	s_cbranch_execz .LBB199_196
; %bb.195:                              ;   in Loop: Header=BB199_149 Depth=1
	v_add_co_u32_e32 v182, vcc, v3, v4
	v_addc_co_u32_e32 v183, vcc, v140, v5, vcc
	v_add_co_u32_e32 v184, vcc, v208, v4
	v_addc_co_u32_e32 v185, vcc, v1, v5, vcc
	global_load_ushort v178, v[182:183], off
	s_nop 0
	global_load_ushort v182, v[184:185], off
	s_waitcnt vmcnt(1)
	v_lshlrev_b32_e32 v178, 16, v178
	s_waitcnt vmcnt(0)
	v_lshlrev_b32_e32 v183, 16, v182
.LBB199_196:                            ;   in Loop: Header=BB199_149 Depth=1
	s_or_b64 exec, exec, s[0:1]
	v_add_co_u32_e32 v184, vcc, 21, v131
	v_addc_co_u32_e32 v185, vcc, 0, v132, vcc
	v_cmp_gt_i64_e32 vcc, s[12:13], v[184:185]
	v_mov_b32_e32 v182, 0
	v_mov_b32_e32 v184, 0
	v_mov_b32_e32 v185, 0
	s_and_saveexec_b64 s[0:1], vcc
	s_cbranch_execz .LBB199_198
; %bb.197:                              ;   in Loop: Header=BB199_149 Depth=1
	v_add_co_u32_e32 v184, vcc, v252, v4
	v_addc_co_u32_e32 v185, vcc, v253, v5, vcc
	v_add_co_u32_e32 v186, vcc, v254, v4
	v_addc_co_u32_e32 v187, vcc, v255, v5, vcc
	global_load_ushort v184, v[184:185], off
	s_nop 0
	global_load_ushort v185, v[186:187], off
	s_waitcnt vmcnt(1)
	v_lshlrev_b32_e32 v184, 16, v184
	s_waitcnt vmcnt(0)
	v_lshlrev_b32_e32 v185, 16, v185
.LBB199_198:                            ;   in Loop: Header=BB199_149 Depth=1
	s_or_b64 exec, exec, s[0:1]
	v_add_co_u32_e32 v186, vcc, 22, v131
	v_addc_co_u32_e32 v187, vcc, 0, v132, vcc
	v_cmp_gt_i64_e32 vcc, s[12:13], v[186:187]
	v_mov_b32_e32 v187, 0
	s_and_saveexec_b64 s[0:1], vcc
	s_cbranch_execz .LBB199_200
; %bb.199:                              ;   in Loop: Header=BB199_149 Depth=1
	v_add_co_u32_e32 v186, vcc, v248, v4
	v_addc_co_u32_e32 v187, vcc, v249, v5, vcc
	v_add_co_u32_e32 v188, vcc, v250, v4
	v_addc_co_u32_e32 v189, vcc, v251, v5, vcc
	global_load_ushort v182, v[186:187], off
	s_nop 0
	global_load_ushort v186, v[188:189], off
	s_waitcnt vmcnt(1)
	v_lshlrev_b32_e32 v182, 16, v182
	s_waitcnt vmcnt(0)
	v_lshlrev_b32_e32 v187, 16, v186
.LBB199_200:                            ;   in Loop: Header=BB199_149 Depth=1
	s_or_b64 exec, exec, s[0:1]
	v_add_co_u32_e32 v188, vcc, 23, v131
	v_addc_co_u32_e32 v189, vcc, 0, v132, vcc
	v_cmp_gt_i64_e32 vcc, s[12:13], v[188:189]
	v_mov_b32_e32 v186, 0
	v_mov_b32_e32 v188, 0
	v_mov_b32_e32 v189, 0
	s_and_saveexec_b64 s[0:1], vcc
	s_cbranch_execz .LBB199_202
; %bb.201:                              ;   in Loop: Header=BB199_149 Depth=1
	v_add_co_u32_e32 v188, vcc, v244, v4
	v_addc_co_u32_e32 v189, vcc, v245, v5, vcc
	v_add_co_u32_e32 v190, vcc, v246, v4
	v_addc_co_u32_e32 v191, vcc, v247, v5, vcc
	global_load_ushort v188, v[188:189], off
	s_nop 0
	global_load_ushort v189, v[190:191], off
	s_waitcnt vmcnt(1)
	v_lshlrev_b32_e32 v188, 16, v188
	s_waitcnt vmcnt(0)
	v_lshlrev_b32_e32 v189, 16, v189
.LBB199_202:                            ;   in Loop: Header=BB199_149 Depth=1
	;; [unrolled: 42-line block ×5, first 2 shown]
	s_or_b64 exec, exec, s[0:1]
	v_add_co_u32_e32 v202, vcc, 30, v131
	v_addc_co_u32_e32 v203, vcc, 0, v132, vcc
	v_cmp_gt_i64_e32 vcc, s[12:13], v[202:203]
	v_mov_b32_e32 v202, 0
	s_and_saveexec_b64 s[0:1], vcc
	s_cbranch_execz .LBB199_216
; %bb.215:                              ;   in Loop: Header=BB199_149 Depth=1
	v_add_co_u32_e32 v202, vcc, v216, v4
	v_addc_co_u32_e32 v203, vcc, v217, v5, vcc
	v_add_co_u32_e32 v204, vcc, v218, v4
	v_addc_co_u32_e32 v205, vcc, v219, v5, vcc
	global_load_ushort v199, v[202:203], off
	s_nop 0
	global_load_ushort v202, v[204:205], off
	s_waitcnt vmcnt(1)
	v_lshlrev_b32_e32 v199, 16, v199
	s_waitcnt vmcnt(0)
	v_lshlrev_b32_e32 v202, 16, v202
.LBB199_216:                            ;   in Loop: Header=BB199_149 Depth=1
	s_or_b64 exec, exec, s[0:1]
	v_add_co_u32_e32 v203, vcc, 31, v131
	v_addc_co_u32_e32 v204, vcc, 0, v132, vcc
	v_cmp_gt_i64_e32 vcc, s[12:13], v[203:204]
	v_mov_b32_e32 v203, 0
	s_and_saveexec_b64 s[0:1], vcc
	s_cbranch_execz .LBB199_218
; %bb.217:                              ;   in Loop: Header=BB199_149 Depth=1
	v_add_co_u32_e32 v203, vcc, v212, v4
	v_addc_co_u32_e32 v204, vcc, v213, v5, vcc
	v_add_co_u32_e32 v205, vcc, v214, v4
	v_mov_b32_e32 v130, v1
	v_mov_b32_e32 v1, v208
	v_mov_b32_e32 v208, v140
	v_mov_b32_e32 v140, v3
	v_mov_b32_e32 v3, v255
	v_mov_b32_e32 v255, v254
	v_mov_b32_e32 v254, v253
	v_mov_b32_e32 v253, v252
	v_mov_b32_e32 v252, v251
	v_mov_b32_e32 v251, v250
	v_mov_b32_e32 v250, v249
	v_mov_b32_e32 v249, v248
	v_mov_b32_e32 v248, v247
	v_mov_b32_e32 v247, v246
	v_mov_b32_e32 v246, v245
	v_mov_b32_e32 v245, v244
	v_mov_b32_e32 v244, v243
	v_mov_b32_e32 v243, v242
	v_mov_b32_e32 v242, v241
	v_mov_b32_e32 v241, v240
	v_mov_b32_e32 v240, v239
	v_mov_b32_e32 v239, v238
	v_mov_b32_e32 v238, v237
	v_mov_b32_e32 v237, v236
	v_mov_b32_e32 v236, v235
	v_mov_b32_e32 v235, v234
	v_mov_b32_e32 v234, v233
	v_mov_b32_e32 v233, v232
	v_mov_b32_e32 v232, v231
	v_mov_b32_e32 v231, v230
	v_mov_b32_e32 v230, v229
	v_mov_b32_e32 v229, v228
	v_mov_b32_e32 v228, v227
	v_mov_b32_e32 v227, v226
	v_mov_b32_e32 v226, v225
	v_mov_b32_e32 v225, v224
	v_mov_b32_e32 v224, v223
	v_mov_b32_e32 v223, v222
	v_mov_b32_e32 v222, v221
	v_mov_b32_e32 v221, v220
	v_mov_b32_e32 v220, v219
	v_mov_b32_e32 v219, v218
	v_mov_b32_e32 v218, v217
	v_mov_b32_e32 v217, v216
	v_mov_b32_e32 v216, v135
	v_mov_b32_e32 v135, v214
	v_mov_b32_e32 v214, v213
	v_mov_b32_e32 v213, v212
	v_mov_b32_e32 v212, v211
	v_mov_b32_e32 v211, v210
	v_mov_b32_e32 v210, v136
	v_mov_b32_e32 v136, v209
	v_mov_b32_e32 v209, v206
	v_addc_co_u32_e32 v206, vcc, v215, v5, vcc
	global_load_ushort v205, v[205:206], off
	v_mov_b32_e32 v206, v209
	global_load_ushort v203, v[203:204], off
	v_mov_b32_e32 v209, v136
	v_mov_b32_e32 v136, v210
	;; [unrolled: 1-line block ×52, first 2 shown]
	s_waitcnt vmcnt(1)
	v_lshlrev_b32_e32 v204, 16, v205
	s_waitcnt vmcnt(0)
	v_lshlrev_b32_e32 v203, 16, v203
	v_mul_f32_e32 v203, v203, v204
.LBB199_218:                            ;   in Loop: Header=BB199_149 Depth=1
	s_or_b64 exec, exec, s[0:1]
	buffer_load_dword v130, off, s[36:39], 0 offset:288 ; 4-byte Folded Reload
	s_waitcnt vmcnt(1)
	ds_bpermute_b32 v204, v145, v147
	v_mul_f32_e32 v148, v148, v149
	v_mul_f32_e32 v134, v134, v151
	;; [unrolled: 1-line block ×3, first 2 shown]
	s_mov_b64 s[0:1], 0
	s_waitcnt vmcnt(0)
	v_mul_f32_e32 v130, v130, v133
	ds_bpermute_b32 v133, v145, v147 offset:4
	s_waitcnt lgkmcnt(1)
	v_fma_f32 v130, v130, v204, v146
	s_waitcnt lgkmcnt(0)
	v_fmac_f32_e32 v130, v148, v133
	ds_bpermute_b32 v133, v145, v147 offset:8
	s_waitcnt lgkmcnt(0)
	v_fmac_f32_e32 v130, v134, v133
	ds_bpermute_b32 v133, v145, v147 offset:12
	v_mul_f32_e32 v134, v152, v153
	s_waitcnt lgkmcnt(0)
	v_fmac_f32_e32 v130, v134, v133
	ds_bpermute_b32 v133, v145, v147 offset:16
	v_mul_f32_e32 v134, v150, v155
	s_waitcnt lgkmcnt(0)
	v_fmac_f32_e32 v130, v134, v133
	ds_bpermute_b32 v133, v145, v147 offset:20
	s_waitcnt lgkmcnt(0)
	v_fmac_f32_e32 v130, v2, v133
	ds_bpermute_b32 v2, v145, v147 offset:24
	v_mul_f32_e32 v133, v154, v158
	s_waitcnt lgkmcnt(0)
	v_fmac_f32_e32 v130, v133, v2
	ds_bpermute_b32 v2, v145, v147 offset:28
	v_mul_f32_e32 v133, v137, v159
	;; [unrolled: 4-line block ×25, first 2 shown]
	s_waitcnt lgkmcnt(0)
	v_fmac_f32_e32 v130, v133, v2
	ds_bpermute_b32 v2, v145, v147 offset:124
	s_waitcnt lgkmcnt(0)
	v_fmac_f32_e32 v130, v203, v2
.LBB199_219:                            ;   in Loop: Header=BB199_149 Depth=1
	s_and_b64 vcc, exec, s[0:1]
	s_cbranch_vccz .LBB199_225
; %bb.220:                              ;   in Loop: Header=BB199_149 Depth=1
	s_load_dword s0, s[10:11], 0x0
	buffer_load_dword v133, off, s[36:39], 0 offset:292 ; 4-byte Folded Reload
	buffer_load_dword v134, off, s[36:39], 0 offset:296 ; 4-byte Folded Reload
	s_waitcnt lgkmcnt(0)
	s_cmp_lt_u32 s6, s0
	s_cselect_b32 s0, 12, 18
	s_add_u32 s0, s10, s0
	s_addc_u32 s1, s11, 0
	s_waitcnt vmcnt(0)
	global_load_ushort v2, v134, s[0:1]
	s_waitcnt vmcnt(0)
	v_mad_u32_u24 v2, v207, v2, v0
	v_and_b32_e32 v130, 63, v2
	v_cmp_gt_u32_e32 vcc, 32, v130
	v_mov_b32_e32 v2, 0
	s_and_saveexec_b64 s[0:1], vcc
	s_cbranch_execz .LBB199_224
; %bb.221:                              ;   in Loop: Header=BB199_149 Depth=1
	v_add_co_u32_e32 v130, vcc, v131, v130
	v_addc_co_u32_e32 v131, vcc, 0, v132, vcc
	v_cmp_gt_i64_e32 vcc, s[12:13], v[130:131]
	v_mov_b32_e32 v2, 0
	s_and_saveexec_b64 s[18:19], vcc
	s_cbranch_execz .LBB199_223
; %bb.222:                              ;   in Loop: Header=BB199_149 Depth=1
	v_lshlrev_b64 v[130:131], 2, v[130:131]
	v_mov_b32_e32 v2, s21
	v_add_co_u32_e32 v130, vcc, s20, v130
	v_addc_co_u32_e32 v131, vcc, v2, v131, vcc
	global_load_dword v2, v[130:131], off
.LBB199_223:                            ;   in Loop: Header=BB199_149 Depth=1
	s_or_b64 exec, exec, s[18:19]
.LBB199_224:                            ;   in Loop: Header=BB199_149 Depth=1
	s_or_b64 exec, exec, s[0:1]
	v_add_co_u32_e32 v130, vcc, v206, v4
	v_addc_co_u32_e32 v131, vcc, v209, v5, vcc
	global_load_ushort v134, v[130:131], off
	v_add_co_u32_e32 v130, vcc, v210, v4
	v_addc_co_u32_e32 v131, vcc, v211, v5, vcc
	global_load_ushort v137, v[130:131], off
	;; [unrolled: 3-line block ×44, first 2 shown]
	v_add_co_u32_e32 v130, vcc, v48, v4
	v_addc_co_u32_e32 v131, vcc, v49, v5, vcc
	v_add_co_u32_e32 v132, vcc, v110, v4
	v_addc_co_u32_e32 v133, vcc, v111, v5, vcc
	global_load_ushort v187, v[130:131], off
	global_load_ushort v188, v[132:133], off
	v_add_co_u32_e32 v130, vcc, v50, v4
	v_addc_co_u32_e32 v131, vcc, v51, v5, vcc
	v_add_co_u32_e32 v132, vcc, v112, v4
	v_addc_co_u32_e32 v133, vcc, v113, v5, vcc
	global_load_ushort v189, v[130:131], off
	global_load_ushort v190, v[132:133], off
	;; [unrolled: 6-line block ×9, first 2 shown]
	v_add_co_u32_e32 v130, vcc, v66, v4
	v_addc_co_u32_e32 v131, vcc, v67, v5, vcc
	v_add_co_u32_e32 v132, vcc, v128, v4
	v_addc_co_u32_e32 v133, vcc, v129, v5, vcc
	global_load_ushort v132, v[132:133], off
	s_nop 0
	global_load_ushort v130, v[130:131], off
	s_waitcnt vmcnt(62)
	v_lshlrev_b32_e32 v133, 16, v137
	s_waitcnt vmcnt(60)
	v_lshlrev_b32_e32 v137, 16, v139
	;; [unrolled: 2-line block ×26, first 2 shown]
	v_lshlrev_b32_e32 v131, 16, v134
	v_lshlrev_b32_e32 v134, 16, v138
	;; [unrolled: 1-line block ×7, first 2 shown]
	s_waitcnt vmcnt(11)
	v_lshlrev_b32_e32 v194, 16, v195
	v_lshlrev_b32_e32 v155, 16, v157
	;; [unrolled: 1-line block ×10, first 2 shown]
	s_waitcnt vmcnt(8)
	v_lshlrev_b32_e32 v195, 16, v198
	v_lshlrev_b32_e32 v173, 16, v175
	;; [unrolled: 1-line block ×8, first 2 shown]
	s_waitcnt vmcnt(7)
	v_lshlrev_b32_e32 v198, 16, v199
	v_lshlrev_b32_e32 v188, 16, v189
	;; [unrolled: 1-line block ×6, first 2 shown]
	s_waitcnt vmcnt(6)
	v_lshlrev_b32_e32 v197, 16, v200
	v_mul_f32_e32 v131, v131, v133
	v_mul_f32_e32 v133, v134, v137
	s_waitcnt vmcnt(5)
	v_lshlrev_b32_e32 v200, 16, v201
	s_waitcnt vmcnt(4)
	v_lshlrev_b32_e32 v199, 16, v202
	v_mul_f32_e32 v134, v138, v139
	s_waitcnt vmcnt(3)
	v_lshlrev_b32_e32 v202, 16, v203
	ds_bpermute_b32 v203, v145, v2
	s_waitcnt vmcnt(2)
	v_lshlrev_b32_e32 v201, 16, v204
	ds_bpermute_b32 v204, v145, v2 offset:4
	s_waitcnt lgkmcnt(1)
	v_fmac_f32_e32 v146, v131, v203
	ds_bpermute_b32 v131, v145, v2 offset:8
	s_waitcnt lgkmcnt(1)
	v_fmac_f32_e32 v146, v133, v204
	ds_bpermute_b32 v133, v145, v2 offset:12
	s_waitcnt vmcnt(1)
	v_lshlrev_b32_e32 v132, 16, v132
	s_waitcnt vmcnt(0)
	v_lshlrev_b32_e32 v130, 16, v130
	s_waitcnt lgkmcnt(1)
	v_fmac_f32_e32 v146, v134, v131
	ds_bpermute_b32 v131, v145, v2 offset:16
	v_mul_f32_e32 v134, v147, v148
	s_waitcnt lgkmcnt(1)
	v_fmac_f32_e32 v146, v134, v133
	ds_bpermute_b32 v133, v145, v2 offset:20
	v_mul_f32_e32 v134, v149, v150
	;; [unrolled: 4-line block ×25, first 2 shown]
	s_waitcnt lgkmcnt(1)
	v_fmac_f32_e32 v146, v134, v133
	v_mul_f32_e32 v133, v198, v197
	ds_bpermute_b32 v134, v145, v2 offset:116
	s_waitcnt lgkmcnt(1)
	v_fmac_f32_e32 v146, v133, v131
	ds_bpermute_b32 v131, v145, v2 offset:120
	ds_bpermute_b32 v2, v145, v2 offset:124
	v_mul_f32_e32 v133, v200, v199
	s_waitcnt lgkmcnt(2)
	v_fmac_f32_e32 v146, v133, v134
	v_mul_f32_e32 v133, v202, v201
	s_waitcnt lgkmcnt(1)
	v_fmac_f32_e32 v146, v133, v131
	v_mul_f32_e32 v130, v130, v132
	s_waitcnt lgkmcnt(0)
	v_fmac_f32_e32 v146, v130, v2
	v_mov_b32_e32 v130, v146
.LBB199_225:                            ;   in Loop: Header=BB199_149 Depth=1
	v_add_co_u32_e32 v206, vcc, s24, v206
	v_mov_b32_e32 v2, s25
	v_addc_co_u32_e32 v209, vcc, v209, v2, vcc
	v_add_co_u32_e32 v210, vcc, s24, v210
	v_addc_co_u32_e32 v211, vcc, v211, v2, vcc
	v_add_co_u32_e32 v135, vcc, s7, v135
	;; [unrolled: 2-line block ×49, first 2 shown]
	buffer_load_dword v131, off, s[36:39], 0 ; 4-byte Folded Reload
	v_addc_co_u32_e32 v99, vcc, v99, v2, vcc
	v_add_co_u32_e32 v100, vcc, s24, v100
	v_addc_co_u32_e32 v101, vcc, v101, v2, vcc
	v_add_co_u32_e32 v102, vcc, s24, v102
	;; [unrolled: 2-line block ×39, first 2 shown]
	v_addc_co_u32_e32 v1, vcc, v1, v2, vcc
	s_waitcnt vmcnt(0)
	v_add_co_u32_e32 v131, vcc, s24, v131
	buffer_store_dword v131, off, s[36:39], 0 ; 4-byte Folded Spill
	buffer_load_dword v131, off, s[36:39], 0 offset:4 ; 4-byte Folded Reload
	s_add_u32 s16, s16, s7
	s_addc_u32 s17, s17, 0
	s_add_u32 s26, s26, s7
	s_addc_u32 s27, 0, s27
	s_waitcnt vmcnt(0)
	v_addc_co_u32_e32 v131, vcc, v131, v2, vcc
	buffer_store_dword v131, off, s[36:39], 0 offset:4 ; 4-byte Folded Spill
	buffer_load_dword v131, off, s[36:39], 0 offset:8 ; 4-byte Folded Reload
	s_waitcnt vmcnt(0)
	v_add_co_u32_e32 v131, vcc, s24, v131
	buffer_store_dword v131, off, s[36:39], 0 offset:8 ; 4-byte Folded Spill
	buffer_load_dword v131, off, s[36:39], 0 offset:12 ; 4-byte Folded Reload
	s_waitcnt vmcnt(0)
	v_addc_co_u32_e32 v131, vcc, v131, v2, vcc
	buffer_store_dword v131, off, s[36:39], 0 offset:12 ; 4-byte Folded Spill
	buffer_load_dword v131, off, s[36:39], 0 offset:16 ; 4-byte Folded Reload
	s_waitcnt vmcnt(0)
	v_add_co_u32_e32 v131, vcc, s24, v131
	buffer_store_dword v131, off, s[36:39], 0 offset:16 ; 4-byte Folded Spill
	buffer_load_dword v131, off, s[36:39], 0 offset:20 ; 4-byte Folded Reload
	;; [unrolled: 8-line block ×35, first 2 shown]
	s_waitcnt vmcnt(0)
	v_addc_co_u32_e32 v131, vcc, v131, v2, vcc
	v_add_co_u32_e32 v141, vcc, s24, v141
	v_addc_co_u32_e32 v142, vcc, v142, v2, vcc
	buffer_store_dword v131, off, s[36:39], 0 offset:284 ; 4-byte Folded Spill
	v_add_co_u32_e32 v143, vcc, s24, v143
	v_mov_b32_e32 v132, s13
	v_addc_co_u32_e32 v144, vcc, v144, v2, vcc
	v_mov_b32_e32 v131, s12
	v_cmp_ge_i64_e32 vcc, s[16:17], v[131:132]
	s_cbranch_vccnz .LBB199_227
; %bb.226:                              ;   in Loop: Header=BB199_149 Depth=1
	v_mov_b32_e32 v146, v130
	s_branch .LBB199_149
.LBB199_227:
	s_mov_b32 s7, 0
	s_lshl_b64 s[0:1], s[6:7], 5
	v_or_b32_e32 v3, s0, v0
	v_mov_b32_e32 v4, s1
	v_cmp_gt_i64_e32 vcc, s[14:15], v[3:4]
	s_waitcnt lgkmcnt(0)
	s_cmp_lg_u64 s[2:3], 0
	s_cselect_b64 s[0:1], -1, 0
	s_and_b64 s[0:1], vcc, s[0:1]
	s_and_saveexec_b64 s[6:7], s[0:1]
	s_cbranch_execz .LBB199_229
; %bb.228:
	s_load_dword s0, s[4:5], 0x4c
	v_mov_b32_e32 v208, 0
	v_mov_b32_e32 v0, s8
	v_bfe_u32 v2, v130, 16, 1
	v_mov_b32_e32 v7, 0x7fc0
	s_waitcnt lgkmcnt(0)
	s_lshr_b32 s0, s0, 16
	v_mad_u64_u32 v[0:1], s[0:1], s0, v0, v[207:208]
	s_movk_i32 s0, 0x7fff
	v_add3_u32 v2, v130, v2, s0
	v_mul_lo_u32 v5, v1, s14
	v_mul_lo_u32 v6, v0, s15
	v_mad_u64_u32 v[0:1], s[0:1], v0, s14, 0
	v_lshrrev_b32_e32 v2, 16, v2
	v_cmp_o_f32_e32 vcc, v130, v130
	v_add3_u32 v1, v1, v6, v5
	v_lshlrev_b64 v[0:1], 1, v[0:1]
	v_cndmask_b32_e32 v2, v7, v2, vcc
	v_mov_b32_e32 v5, s3
	v_add_co_u32_e32 v6, vcc, s2, v0
	v_addc_co_u32_e32 v5, vcc, v5, v1, vcc
	v_lshlrev_b64 v[0:1], 1, v[3:4]
	v_add_co_u32_e32 v0, vcc, v6, v0
	v_addc_co_u32_e32 v1, vcc, v5, v1, vcc
	global_store_short v[0:1], v2, off
.LBB199_229:
	s_endpgm
	.section	.rodata,"a",@progbits
	.p2align	6, 0x0
	.amdhsa_kernel _ZN2at6native12_GLOBAL__N_135GammaBetaBackwardCUDAKernelTemplateIN3c108BFloat16EfLj32ELj1ELj32ELb1ELb0ELb1EEEvllPKT_S7_PKT0_SA_PS5_SB_
		.amdhsa_group_segment_fixed_size 0
		.amdhsa_private_segment_fixed_size 304
		.amdhsa_kernarg_size 320
		.amdhsa_user_sgpr_count 6
		.amdhsa_user_sgpr_private_segment_buffer 1
		.amdhsa_user_sgpr_dispatch_ptr 0
		.amdhsa_user_sgpr_queue_ptr 0
		.amdhsa_user_sgpr_kernarg_segment_ptr 1
		.amdhsa_user_sgpr_dispatch_id 0
		.amdhsa_user_sgpr_flat_scratch_init 0
		.amdhsa_user_sgpr_private_segment_size 0
		.amdhsa_uses_dynamic_stack 0
		.amdhsa_system_sgpr_private_segment_wavefront_offset 1
		.amdhsa_system_sgpr_workgroup_id_x 1
		.amdhsa_system_sgpr_workgroup_id_y 1
		.amdhsa_system_sgpr_workgroup_id_z 0
		.amdhsa_system_sgpr_workgroup_info 0
		.amdhsa_system_vgpr_workitem_id 1
		.amdhsa_next_free_vgpr 256
		.amdhsa_next_free_sgpr 40
		.amdhsa_reserve_vcc 1
		.amdhsa_reserve_flat_scratch 0
		.amdhsa_float_round_mode_32 0
		.amdhsa_float_round_mode_16_64 0
		.amdhsa_float_denorm_mode_32 3
		.amdhsa_float_denorm_mode_16_64 3
		.amdhsa_dx10_clamp 1
		.amdhsa_ieee_mode 1
		.amdhsa_fp16_overflow 0
		.amdhsa_exception_fp_ieee_invalid_op 0
		.amdhsa_exception_fp_denorm_src 0
		.amdhsa_exception_fp_ieee_div_zero 0
		.amdhsa_exception_fp_ieee_overflow 0
		.amdhsa_exception_fp_ieee_underflow 0
		.amdhsa_exception_fp_ieee_inexact 0
		.amdhsa_exception_int_div_zero 0
	.end_amdhsa_kernel
	.section	.text._ZN2at6native12_GLOBAL__N_135GammaBetaBackwardCUDAKernelTemplateIN3c108BFloat16EfLj32ELj1ELj32ELb1ELb0ELb1EEEvllPKT_S7_PKT0_SA_PS5_SB_,"axG",@progbits,_ZN2at6native12_GLOBAL__N_135GammaBetaBackwardCUDAKernelTemplateIN3c108BFloat16EfLj32ELj1ELj32ELb1ELb0ELb1EEEvllPKT_S7_PKT0_SA_PS5_SB_,comdat
.Lfunc_end199:
	.size	_ZN2at6native12_GLOBAL__N_135GammaBetaBackwardCUDAKernelTemplateIN3c108BFloat16EfLj32ELj1ELj32ELb1ELb0ELb1EEEvllPKT_S7_PKT0_SA_PS5_SB_, .Lfunc_end199-_ZN2at6native12_GLOBAL__N_135GammaBetaBackwardCUDAKernelTemplateIN3c108BFloat16EfLj32ELj1ELj32ELb1ELb0ELb1EEEvllPKT_S7_PKT0_SA_PS5_SB_
                                        ; -- End function
	.set _ZN2at6native12_GLOBAL__N_135GammaBetaBackwardCUDAKernelTemplateIN3c108BFloat16EfLj32ELj1ELj32ELb1ELb0ELb1EEEvllPKT_S7_PKT0_SA_PS5_SB_.num_vgpr, 256
	.set _ZN2at6native12_GLOBAL__N_135GammaBetaBackwardCUDAKernelTemplateIN3c108BFloat16EfLj32ELj1ELj32ELb1ELb0ELb1EEEvllPKT_S7_PKT0_SA_PS5_SB_.num_agpr, 0
	.set _ZN2at6native12_GLOBAL__N_135GammaBetaBackwardCUDAKernelTemplateIN3c108BFloat16EfLj32ELj1ELj32ELb1ELb0ELb1EEEvllPKT_S7_PKT0_SA_PS5_SB_.numbered_sgpr, 40
	.set _ZN2at6native12_GLOBAL__N_135GammaBetaBackwardCUDAKernelTemplateIN3c108BFloat16EfLj32ELj1ELj32ELb1ELb0ELb1EEEvllPKT_S7_PKT0_SA_PS5_SB_.num_named_barrier, 0
	.set _ZN2at6native12_GLOBAL__N_135GammaBetaBackwardCUDAKernelTemplateIN3c108BFloat16EfLj32ELj1ELj32ELb1ELb0ELb1EEEvllPKT_S7_PKT0_SA_PS5_SB_.private_seg_size, 304
	.set _ZN2at6native12_GLOBAL__N_135GammaBetaBackwardCUDAKernelTemplateIN3c108BFloat16EfLj32ELj1ELj32ELb1ELb0ELb1EEEvllPKT_S7_PKT0_SA_PS5_SB_.uses_vcc, 1
	.set _ZN2at6native12_GLOBAL__N_135GammaBetaBackwardCUDAKernelTemplateIN3c108BFloat16EfLj32ELj1ELj32ELb1ELb0ELb1EEEvllPKT_S7_PKT0_SA_PS5_SB_.uses_flat_scratch, 0
	.set _ZN2at6native12_GLOBAL__N_135GammaBetaBackwardCUDAKernelTemplateIN3c108BFloat16EfLj32ELj1ELj32ELb1ELb0ELb1EEEvllPKT_S7_PKT0_SA_PS5_SB_.has_dyn_sized_stack, 0
	.set _ZN2at6native12_GLOBAL__N_135GammaBetaBackwardCUDAKernelTemplateIN3c108BFloat16EfLj32ELj1ELj32ELb1ELb0ELb1EEEvllPKT_S7_PKT0_SA_PS5_SB_.has_recursion, 0
	.set _ZN2at6native12_GLOBAL__N_135GammaBetaBackwardCUDAKernelTemplateIN3c108BFloat16EfLj32ELj1ELj32ELb1ELb0ELb1EEEvllPKT_S7_PKT0_SA_PS5_SB_.has_indirect_call, 0
	.section	.AMDGPU.csdata,"",@progbits
; Kernel info:
; codeLenInByte = 24276
; TotalNumSgprs: 44
; NumVgprs: 256
; ScratchSize: 304
; MemoryBound: 0
; FloatMode: 240
; IeeeMode: 1
; LDSByteSize: 0 bytes/workgroup (compile time only)
; SGPRBlocks: 5
; VGPRBlocks: 63
; NumSGPRsForWavesPerEU: 44
; NumVGPRsForWavesPerEU: 256
; Occupancy: 1
; WaveLimiterHint : 0
; COMPUTE_PGM_RSRC2:SCRATCH_EN: 1
; COMPUTE_PGM_RSRC2:USER_SGPR: 6
; COMPUTE_PGM_RSRC2:TRAP_HANDLER: 0
; COMPUTE_PGM_RSRC2:TGID_X_EN: 1
; COMPUTE_PGM_RSRC2:TGID_Y_EN: 1
; COMPUTE_PGM_RSRC2:TGID_Z_EN: 0
; COMPUTE_PGM_RSRC2:TIDIG_COMP_CNT: 1
	.section	.text._ZN2at6native12_GLOBAL__N_135GammaBetaBackwardCUDAKernelTemplateIN3c108BFloat16EfLj32ELj1ELj8ELb1ELb1ELb1EEEvllPKT_S7_PKT0_SA_PS5_SB_,"axG",@progbits,_ZN2at6native12_GLOBAL__N_135GammaBetaBackwardCUDAKernelTemplateIN3c108BFloat16EfLj32ELj1ELj8ELb1ELb1ELb1EEEvllPKT_S7_PKT0_SA_PS5_SB_,comdat
	.globl	_ZN2at6native12_GLOBAL__N_135GammaBetaBackwardCUDAKernelTemplateIN3c108BFloat16EfLj32ELj1ELj8ELb1ELb1ELb1EEEvllPKT_S7_PKT0_SA_PS5_SB_ ; -- Begin function _ZN2at6native12_GLOBAL__N_135GammaBetaBackwardCUDAKernelTemplateIN3c108BFloat16EfLj32ELj1ELj8ELb1ELb1ELb1EEEvllPKT_S7_PKT0_SA_PS5_SB_
	.p2align	8
	.type	_ZN2at6native12_GLOBAL__N_135GammaBetaBackwardCUDAKernelTemplateIN3c108BFloat16EfLj32ELj1ELj8ELb1ELb1ELb1EEEvllPKT_S7_PKT0_SA_PS5_SB_,@function
_ZN2at6native12_GLOBAL__N_135GammaBetaBackwardCUDAKernelTemplateIN3c108BFloat16EfLj32ELj1ELj8ELb1ELb1ELb1EEEvllPKT_S7_PKT0_SA_PS5_SB_: ; @_ZN2at6native12_GLOBAL__N_135GammaBetaBackwardCUDAKernelTemplateIN3c108BFloat16EfLj32ELj1ELj8ELb1ELb1ELb1EEEvllPKT_S7_PKT0_SA_PS5_SB_
; %bb.0:
	s_load_dwordx4 s[12:15], s[4:5], 0x0
	s_load_dwordx2 s[10:11], s[4:5], 0x30
	s_lshl_b32 s20, s7, 3
	s_mov_b32 s21, 0
	v_mov_b32_e32 v2, s20
	v_mov_b32_e32 v3, s21
	s_waitcnt lgkmcnt(0)
	v_cmp_le_i64_e32 vcc, s[12:13], v[2:3]
	s_mov_b32 s2, s7
	v_mov_b32_e32 v3, 0
	s_cbranch_vccnz .LBB200_7
; %bb.1:
	s_load_dword s0, s[4:5], 0x4c
	s_load_dword s3, s[4:5], 0x44
	s_load_dwordx4 s[16:19], s[4:5], 0x10
	s_load_dwordx2 s[8:9], s[4:5], 0x28
	v_lshlrev_b32_e32 v4, 3, v1
	s_waitcnt lgkmcnt(0)
	s_and_b32 s0, s0, 0xffff
	v_mad_u32_u24 v2, v1, s0, v0
	v_and_b32_e32 v5, 63, v2
	v_add_co_u32_e32 v9, vcc, s20, v4
	v_mbcnt_lo_u32_b32 v6, -1, 0
	v_addc_co_u32_e64 v10, s[22:23], 0, 0, vcc
	v_add_co_u32_e32 v4, vcc, v9, v5
	v_cmp_gt_u32_e64 s[0:1], 8, v5
	v_mbcnt_hi_u32_b32 v6, -1, v6
	v_addc_co_u32_e32 v5, vcc, 0, v10, vcc
	v_mul_lo_u32 v13, s15, v9
	v_mul_lo_u32 v14, s14, v10
	v_mad_u64_u32 v[10:11], s[22:23], s14, v9, 0
	v_lshlrev_b32_e32 v6, 2, v6
	v_and_b32_e32 v8, 0x100, v6
	v_lshlrev_b64 v[6:7], 2, v[4:5]
	v_mov_b32_e32 v3, 0
	v_lshl_or_b32 v2, s6, 5, v0
	v_mov_b32_e32 v12, s9
	v_add_co_u32_e32 v6, vcc, s8, v6
	v_add3_u32 v11, v11, v14, v13
	v_addc_co_u32_e32 v7, vcc, v12, v7, vcc
	v_lshlrev_b64 v[10:11], 1, v[10:11]
	v_lshlrev_b64 v[12:13], 1, v[2:3]
	s_lshl_b32 s22, s3, 3
	s_mul_i32 s3, s15, s22
	s_mul_hi_u32 s7, s14, s22
	v_add_co_u32_e32 v2, vcc, v10, v12
	s_mov_b32 s23, s21
	s_add_i32 s9, s7, s3
	s_mul_i32 s8, s14, s22
	v_or_b32_e32 v9, 20, v8
	v_addc_co_u32_e32 v10, vcc, v11, v13, vcc
	v_or_b32_e32 v11, 24, v8
	v_or_b32_e32 v12, 28, v8
	s_lshl_b64 s[24:25], s[22:23], 2
	s_lshl_b64 s[26:27], s[8:9], 1
	;; [unrolled: 1-line block ×3, first 2 shown]
	s_branch .LBB200_4
.LBB200_2:                              ;   in Loop: Header=BB200_4 Depth=1
	s_or_b64 exec, exec, s[30:31]
.LBB200_3:                              ;   in Loop: Header=BB200_4 Depth=1
	s_or_b64 exec, exec, s[8:9]
	v_mov_b32_e32 v15, s17
	v_add_co_u32_e32 v14, vcc, s16, v2
	v_addc_co_u32_e32 v15, vcc, v15, v10, vcc
	v_mov_b32_e32 v17, s19
	v_add_co_u32_e32 v16, vcc, s18, v2
	v_addc_co_u32_e32 v17, vcc, v17, v10, vcc
	;; [unrolled: 3-line block ×3, first 2 shown]
	global_load_ushort v21, v[16:17], off
	v_add_co_u32_e32 v16, vcc, s28, v14
	global_load_ushort v14, v[14:15], off
	v_addc_co_u32_e32 v17, vcc, v15, v20, vcc
	s_add_u32 s20, s20, s22
	s_addc_u32 s21, s21, 0
	v_add_co_u32_e64 v6, s[8:9], s24, v6
	s_waitcnt vmcnt(1)
	v_lshlrev_b32_e32 v15, 16, v21
	global_load_ushort v21, v[18:19], off
	s_waitcnt vmcnt(1)
	v_lshlrev_b32_e32 v14, 16, v14
	v_mul_f32_e32 v14, v14, v15
	ds_bpermute_b32 v15, v8, v13
	s_waitcnt lgkmcnt(0)
	v_fmac_f32_e32 v3, v14, v15
	v_add_co_u32_e32 v14, vcc, s28, v18
	v_addc_co_u32_e32 v15, vcc, v19, v20, vcc
	v_add_co_u32_e32 v18, vcc, s28, v16
	global_load_ushort v16, v[16:17], off
	v_addc_co_u32_e32 v19, vcc, v17, v20, vcc
	s_waitcnt vmcnt(1)
	v_lshlrev_b32_e32 v17, 16, v21
	global_load_ushort v21, v[14:15], off
	s_waitcnt vmcnt(1)
	v_lshlrev_b32_e32 v16, 16, v16
	v_mul_f32_e32 v16, v16, v17
	v_or_b32_e32 v17, 4, v8
	ds_bpermute_b32 v17, v17, v13
	s_waitcnt lgkmcnt(0)
	v_fmac_f32_e32 v3, v16, v17
	v_add_co_u32_e32 v16, vcc, s28, v14
	v_addc_co_u32_e32 v17, vcc, v15, v20, vcc
	v_add_co_u32_e32 v14, vcc, s28, v18
	global_load_ushort v18, v[18:19], off
	v_addc_co_u32_e32 v15, vcc, v19, v20, vcc
	s_waitcnt vmcnt(1)
	v_lshlrev_b32_e32 v19, 16, v21
	global_load_ushort v21, v[16:17], off
	s_waitcnt vmcnt(1)
	v_lshlrev_b32_e32 v18, 16, v18
	v_mul_f32_e32 v18, v18, v19
	v_or_b32_e32 v19, 8, v8
	;; [unrolled: 15-line block ×3, first 2 shown]
	ds_bpermute_b32 v15, v15, v13
	s_waitcnt lgkmcnt(0)
	v_fmac_f32_e32 v3, v14, v15
	v_add_co_u32_e32 v14, vcc, s28, v18
	v_addc_co_u32_e32 v15, vcc, v19, v20, vcc
	v_add_co_u32_e32 v18, vcc, s28, v16
	global_load_ushort v16, v[16:17], off
	v_addc_co_u32_e32 v19, vcc, v17, v20, vcc
	global_load_ushort v22, v[18:19], off
	s_waitcnt vmcnt(2)
	v_lshlrev_b32_e32 v17, 16, v21
	global_load_ushort v21, v[14:15], off
	s_waitcnt vmcnt(2)
	v_lshlrev_b32_e32 v16, 16, v16
	v_mul_f32_e32 v16, v16, v17
	v_or_b32_e32 v17, 16, v8
	ds_bpermute_b32 v17, v17, v13
	s_waitcnt lgkmcnt(0)
	v_fmac_f32_e32 v3, v16, v17
	v_add_co_u32_e32 v16, vcc, s28, v14
	v_addc_co_u32_e32 v17, vcc, v15, v20, vcc
	global_load_ushort v23, v[16:17], off
	v_add_co_u32_e32 v14, vcc, s28, v18
	v_addc_co_u32_e32 v15, vcc, v19, v20, vcc
	v_add_co_u32_e32 v18, vcc, s28, v16
	v_addc_co_u32_e32 v19, vcc, v17, v20, vcc
	;; [unrolled: 2-line block ×3, first 2 shown]
	global_load_ushort v14, v[14:15], off
	s_nop 0
	global_load_ushort v15, v[18:19], off
	global_load_ushort v20, v[16:17], off
	ds_bpermute_b32 v16, v9, v13
	s_waitcnt vmcnt(4)
	v_lshlrev_b32_e32 v17, 16, v21
	v_lshlrev_b32_e32 v18, 16, v22
	v_mul_f32_e32 v17, v18, v17
	s_waitcnt lgkmcnt(0)
	v_fmac_f32_e32 v3, v17, v16
	ds_bpermute_b32 v16, v11, v13
	ds_bpermute_b32 v13, v12, v13
	s_waitcnt vmcnt(3)
	v_lshlrev_b32_e32 v17, 16, v23
	s_waitcnt vmcnt(2)
	v_lshlrev_b32_e32 v14, 16, v14
	v_mul_f32_e32 v14, v14, v17
	s_waitcnt lgkmcnt(1)
	v_fmac_f32_e32 v3, v14, v16
	s_waitcnt vmcnt(1)
	v_lshlrev_b32_e32 v14, 16, v15
	s_waitcnt vmcnt(0)
	v_lshlrev_b32_e32 v15, 16, v20
	v_mul_f32_e32 v14, v15, v14
	s_waitcnt lgkmcnt(0)
	v_fmac_f32_e32 v3, v14, v13
	v_mov_b32_e32 v14, s13
	v_mov_b32_e32 v13, s12
	v_cmp_lt_i64_e32 vcc, s[20:21], v[13:14]
	v_mov_b32_e32 v13, s25
	v_addc_co_u32_e64 v7, s[8:9], v7, v13, s[8:9]
	v_mov_b32_e32 v13, s27
	v_add_co_u32_e64 v2, s[8:9], s26, v2
	v_addc_co_u32_e64 v10, s[8:9], v10, v13, s[8:9]
	v_add_co_u32_e64 v4, s[8:9], s22, v4
	v_addc_co_u32_e64 v5, s[8:9], 0, v5, s[8:9]
	s_cbranch_vccz .LBB200_7
.LBB200_4:                              ; =>This Inner Loop Header: Depth=1
	v_mov_b32_e32 v13, 0
	s_and_saveexec_b64 s[8:9], s[0:1]
	s_cbranch_execz .LBB200_3
; %bb.5:                                ;   in Loop: Header=BB200_4 Depth=1
	v_cmp_gt_i64_e32 vcc, s[12:13], v[4:5]
	v_mov_b32_e32 v13, 0
	s_and_saveexec_b64 s[30:31], vcc
	s_cbranch_execz .LBB200_2
; %bb.6:                                ;   in Loop: Header=BB200_4 Depth=1
	global_load_dword v13, v[6:7], off
	s_branch .LBB200_2
.LBB200_7:
	s_cmp_eq_u64 s[10:11], 0
	s_cbranch_scc1 .LBB200_9
; %bb.8:
	s_load_dword s0, s[4:5], 0x4c
	v_mov_b32_e32 v2, 0
	v_mov_b32_e32 v4, s2
	;; [unrolled: 1-line block ×3, first 2 shown]
	v_cmp_o_f32_e32 vcc, v3, v3
	s_waitcnt lgkmcnt(0)
	s_lshr_b32 s0, s0, 16
	v_mad_u64_u32 v[1:2], s[0:1], s0, v4, v[1:2]
	v_bfe_u32 v4, v3, 16, 1
	s_movk_i32 s0, 0x7fff
	v_add3_u32 v4, v3, v4, s0
	v_mul_lo_u32 v5, v2, s14
	v_mul_lo_u32 v6, v1, s15
	v_mad_u64_u32 v[1:2], s[0:1], v1, s14, 0
	v_lshrrev_b32_e32 v4, 16, v4
	s_mov_b32 s7, 0
	v_add3_u32 v2, v2, v6, v5
	v_lshlrev_b64 v[1:2], 1, v[1:2]
	v_cndmask_b32_e32 v3, v7, v4, vcc
	v_mov_b32_e32 v4, s11
	v_add_co_u32_e32 v1, vcc, s10, v1
	v_addc_co_u32_e32 v2, vcc, v4, v2, vcc
	s_lshl_b64 s[0:1], s[6:7], 6
	v_mov_b32_e32 v4, s1
	v_add_co_u32_e32 v1, vcc, s0, v1
	v_addc_co_u32_e32 v2, vcc, v2, v4, vcc
	v_lshlrev_b32_e32 v0, 1, v0
	v_add_co_u32_e32 v0, vcc, v1, v0
	v_addc_co_u32_e32 v1, vcc, 0, v2, vcc
	global_store_short v[0:1], v3, off
.LBB200_9:
	s_endpgm
	.section	.rodata,"a",@progbits
	.p2align	6, 0x0
	.amdhsa_kernel _ZN2at6native12_GLOBAL__N_135GammaBetaBackwardCUDAKernelTemplateIN3c108BFloat16EfLj32ELj1ELj8ELb1ELb1ELb1EEEvllPKT_S7_PKT0_SA_PS5_SB_
		.amdhsa_group_segment_fixed_size 0
		.amdhsa_private_segment_fixed_size 0
		.amdhsa_kernarg_size 320
		.amdhsa_user_sgpr_count 6
		.amdhsa_user_sgpr_private_segment_buffer 1
		.amdhsa_user_sgpr_dispatch_ptr 0
		.amdhsa_user_sgpr_queue_ptr 0
		.amdhsa_user_sgpr_kernarg_segment_ptr 1
		.amdhsa_user_sgpr_dispatch_id 0
		.amdhsa_user_sgpr_flat_scratch_init 0
		.amdhsa_user_sgpr_private_segment_size 0
		.amdhsa_uses_dynamic_stack 0
		.amdhsa_system_sgpr_private_segment_wavefront_offset 0
		.amdhsa_system_sgpr_workgroup_id_x 1
		.amdhsa_system_sgpr_workgroup_id_y 1
		.amdhsa_system_sgpr_workgroup_id_z 0
		.amdhsa_system_sgpr_workgroup_info 0
		.amdhsa_system_vgpr_workitem_id 1
		.amdhsa_next_free_vgpr 24
		.amdhsa_next_free_sgpr 32
		.amdhsa_reserve_vcc 1
		.amdhsa_reserve_flat_scratch 0
		.amdhsa_float_round_mode_32 0
		.amdhsa_float_round_mode_16_64 0
		.amdhsa_float_denorm_mode_32 3
		.amdhsa_float_denorm_mode_16_64 3
		.amdhsa_dx10_clamp 1
		.amdhsa_ieee_mode 1
		.amdhsa_fp16_overflow 0
		.amdhsa_exception_fp_ieee_invalid_op 0
		.amdhsa_exception_fp_denorm_src 0
		.amdhsa_exception_fp_ieee_div_zero 0
		.amdhsa_exception_fp_ieee_overflow 0
		.amdhsa_exception_fp_ieee_underflow 0
		.amdhsa_exception_fp_ieee_inexact 0
		.amdhsa_exception_int_div_zero 0
	.end_amdhsa_kernel
	.section	.text._ZN2at6native12_GLOBAL__N_135GammaBetaBackwardCUDAKernelTemplateIN3c108BFloat16EfLj32ELj1ELj8ELb1ELb1ELb1EEEvllPKT_S7_PKT0_SA_PS5_SB_,"axG",@progbits,_ZN2at6native12_GLOBAL__N_135GammaBetaBackwardCUDAKernelTemplateIN3c108BFloat16EfLj32ELj1ELj8ELb1ELb1ELb1EEEvllPKT_S7_PKT0_SA_PS5_SB_,comdat
.Lfunc_end200:
	.size	_ZN2at6native12_GLOBAL__N_135GammaBetaBackwardCUDAKernelTemplateIN3c108BFloat16EfLj32ELj1ELj8ELb1ELb1ELb1EEEvllPKT_S7_PKT0_SA_PS5_SB_, .Lfunc_end200-_ZN2at6native12_GLOBAL__N_135GammaBetaBackwardCUDAKernelTemplateIN3c108BFloat16EfLj32ELj1ELj8ELb1ELb1ELb1EEEvllPKT_S7_PKT0_SA_PS5_SB_
                                        ; -- End function
	.set _ZN2at6native12_GLOBAL__N_135GammaBetaBackwardCUDAKernelTemplateIN3c108BFloat16EfLj32ELj1ELj8ELb1ELb1ELb1EEEvllPKT_S7_PKT0_SA_PS5_SB_.num_vgpr, 24
	.set _ZN2at6native12_GLOBAL__N_135GammaBetaBackwardCUDAKernelTemplateIN3c108BFloat16EfLj32ELj1ELj8ELb1ELb1ELb1EEEvllPKT_S7_PKT0_SA_PS5_SB_.num_agpr, 0
	.set _ZN2at6native12_GLOBAL__N_135GammaBetaBackwardCUDAKernelTemplateIN3c108BFloat16EfLj32ELj1ELj8ELb1ELb1ELb1EEEvllPKT_S7_PKT0_SA_PS5_SB_.numbered_sgpr, 32
	.set _ZN2at6native12_GLOBAL__N_135GammaBetaBackwardCUDAKernelTemplateIN3c108BFloat16EfLj32ELj1ELj8ELb1ELb1ELb1EEEvllPKT_S7_PKT0_SA_PS5_SB_.num_named_barrier, 0
	.set _ZN2at6native12_GLOBAL__N_135GammaBetaBackwardCUDAKernelTemplateIN3c108BFloat16EfLj32ELj1ELj8ELb1ELb1ELb1EEEvllPKT_S7_PKT0_SA_PS5_SB_.private_seg_size, 0
	.set _ZN2at6native12_GLOBAL__N_135GammaBetaBackwardCUDAKernelTemplateIN3c108BFloat16EfLj32ELj1ELj8ELb1ELb1ELb1EEEvllPKT_S7_PKT0_SA_PS5_SB_.uses_vcc, 1
	.set _ZN2at6native12_GLOBAL__N_135GammaBetaBackwardCUDAKernelTemplateIN3c108BFloat16EfLj32ELj1ELj8ELb1ELb1ELb1EEEvllPKT_S7_PKT0_SA_PS5_SB_.uses_flat_scratch, 0
	.set _ZN2at6native12_GLOBAL__N_135GammaBetaBackwardCUDAKernelTemplateIN3c108BFloat16EfLj32ELj1ELj8ELb1ELb1ELb1EEEvllPKT_S7_PKT0_SA_PS5_SB_.has_dyn_sized_stack, 0
	.set _ZN2at6native12_GLOBAL__N_135GammaBetaBackwardCUDAKernelTemplateIN3c108BFloat16EfLj32ELj1ELj8ELb1ELb1ELb1EEEvllPKT_S7_PKT0_SA_PS5_SB_.has_recursion, 0
	.set _ZN2at6native12_GLOBAL__N_135GammaBetaBackwardCUDAKernelTemplateIN3c108BFloat16EfLj32ELj1ELj8ELb1ELb1ELb1EEEvllPKT_S7_PKT0_SA_PS5_SB_.has_indirect_call, 0
	.section	.AMDGPU.csdata,"",@progbits
; Kernel info:
; codeLenInByte = 1184
; TotalNumSgprs: 36
; NumVgprs: 24
; ScratchSize: 0
; MemoryBound: 0
; FloatMode: 240
; IeeeMode: 1
; LDSByteSize: 0 bytes/workgroup (compile time only)
; SGPRBlocks: 4
; VGPRBlocks: 5
; NumSGPRsForWavesPerEU: 36
; NumVGPRsForWavesPerEU: 24
; Occupancy: 10
; WaveLimiterHint : 0
; COMPUTE_PGM_RSRC2:SCRATCH_EN: 0
; COMPUTE_PGM_RSRC2:USER_SGPR: 6
; COMPUTE_PGM_RSRC2:TRAP_HANDLER: 0
; COMPUTE_PGM_RSRC2:TGID_X_EN: 1
; COMPUTE_PGM_RSRC2:TGID_Y_EN: 1
; COMPUTE_PGM_RSRC2:TGID_Z_EN: 0
; COMPUTE_PGM_RSRC2:TIDIG_COMP_CNT: 1
	.section	.text._ZN2at6native12_GLOBAL__N_135GammaBetaBackwardCUDAKernelTemplateIN3c108BFloat16EfLj32ELj1ELj8ELb1ELb0ELb1EEEvllPKT_S7_PKT0_SA_PS5_SB_,"axG",@progbits,_ZN2at6native12_GLOBAL__N_135GammaBetaBackwardCUDAKernelTemplateIN3c108BFloat16EfLj32ELj1ELj8ELb1ELb0ELb1EEEvllPKT_S7_PKT0_SA_PS5_SB_,comdat
	.globl	_ZN2at6native12_GLOBAL__N_135GammaBetaBackwardCUDAKernelTemplateIN3c108BFloat16EfLj32ELj1ELj8ELb1ELb0ELb1EEEvllPKT_S7_PKT0_SA_PS5_SB_ ; -- Begin function _ZN2at6native12_GLOBAL__N_135GammaBetaBackwardCUDAKernelTemplateIN3c108BFloat16EfLj32ELj1ELj8ELb1ELb0ELb1EEEvllPKT_S7_PKT0_SA_PS5_SB_
	.p2align	8
	.type	_ZN2at6native12_GLOBAL__N_135GammaBetaBackwardCUDAKernelTemplateIN3c108BFloat16EfLj32ELj1ELj8ELb1ELb0ELb1EEEvllPKT_S7_PKT0_SA_PS5_SB_,@function
_ZN2at6native12_GLOBAL__N_135GammaBetaBackwardCUDAKernelTemplateIN3c108BFloat16EfLj32ELj1ELj8ELb1ELb0ELb1EEEvllPKT_S7_PKT0_SA_PS5_SB_: ; @_ZN2at6native12_GLOBAL__N_135GammaBetaBackwardCUDAKernelTemplateIN3c108BFloat16EfLj32ELj1ELj8ELb1ELb0ELb1EEEvllPKT_S7_PKT0_SA_PS5_SB_
; %bb.0:
	s_mov_b32 s8, s7
	s_load_dwordx8 s[12:19], s[4:5], 0x0
	s_load_dwordx2 s[20:21], s[4:5], 0x28
	s_lshl_b32 s22, s8, 3
	s_lshl_b32 s7, s6, 5
	s_mov_b32 s23, 0
	v_mov_b32_e32 v2, s22
	s_or_b32 s0, s7, 31
	v_mov_b32_e32 v3, s23
	v_mov_b32_e32 v48, s0
	;; [unrolled: 1-line block ×3, first 2 shown]
	s_waitcnt lgkmcnt(0)
	v_cmp_gt_i64_e64 s[0:1], s[12:13], v[2:3]
	v_cmp_le_i64_e32 vcc, s[14:15], v[48:49]
	v_cndmask_b32_e64 v2, 0, 1, s[0:1]
	v_cmp_ne_u32_e64 s[0:1], 1, v2
	s_cbranch_vccz .LBB201_49
; %bb.1:
	s_and_b64 vcc, exec, s[0:1]
	s_cbranch_vccnz .LBB201_50
; %bb.2:
	v_lshlrev_b32_e32 v23, 3, v1
	v_add_co_u32_e32 v9, vcc, s22, v23
	v_addc_co_u32_e64 v10, s[2:3], 0, 0, vcc
	v_mul_lo_u32 v7, s15, v9
	v_mul_lo_u32 v8, s14, v10
	v_mad_u64_u32 v[5:6], s[2:3], s14, v9, 0
	v_mov_b32_e32 v2, 0
	s_load_dword s9, s[4:5], 0x44
	v_add_u32_e32 v3, s7, v0
	v_mov_b32_e32 v4, v2
	v_add3_u32 v6, v6, v8, v7
	v_cmp_gt_i64_e64 s[2:3], s[14:15], v[3:4]
	v_lshlrev_b64 v[19:20], 1, v[3:4]
	v_lshlrev_b64 v[3:4], 1, v[5:6]
	s_add_u32 s24, s4, 64
	v_mov_b32_e32 v7, s17
	v_add_co_u32_e32 v25, vcc, s16, v3
	s_addc_u32 s25, s5, 0
	s_waitcnt lgkmcnt(0)
	s_lshl_b32 s9, s9, 3
	v_addc_co_u32_e32 v26, vcc, v7, v4, vcc
	s_mul_i32 s10, s15, s9
	s_mul_hi_u32 s11, s14, s9
	v_add_co_u32_e32 v7, vcc, 7, v9
	s_add_i32 s11, s11, s10
	s_mul_i32 s10, s14, s9
	v_addc_co_u32_e32 v8, vcc, 0, v10, vcc
	s_lshl_b64 s[26:27], s[10:11], 1
	v_mul_lo_u32 v12, s15, v7
	v_mul_lo_u32 v13, s14, v8
	v_mad_u64_u32 v[7:8], s[10:11], s14, v7, 0
	v_mov_b32_e32 v11, s19
	v_add_co_u32_e32 v27, vcc, s18, v3
	v_add3_u32 v8, v8, v13, v12
	v_addc_co_u32_e32 v28, vcc, v11, v4, vcc
	v_lshlrev_b64 v[3:4], 1, v[7:8]
	v_mov_b32_e32 v7, s17
	v_add_co_u32_e32 v29, vcc, s16, v3
	v_addc_co_u32_e32 v30, vcc, v7, v4, vcc
	v_add_co_u32_e32 v7, vcc, 6, v9
	v_addc_co_u32_e32 v8, vcc, 0, v10, vcc
	v_mul_lo_u32 v12, s15, v7
	v_mul_lo_u32 v13, s14, v8
	v_mad_u64_u32 v[7:8], s[10:11], s14, v7, 0
	v_add_co_u32_e32 v31, vcc, s18, v3
	v_add3_u32 v8, v8, v13, v12
	v_addc_co_u32_e32 v32, vcc, v11, v4, vcc
	v_lshlrev_b64 v[3:4], 1, v[7:8]
	v_mov_b32_e32 v7, s17
	v_add_co_u32_e32 v33, vcc, s16, v3
	v_addc_co_u32_e32 v34, vcc, v7, v4, vcc
	v_add_co_u32_e32 v7, vcc, 5, v9
	v_addc_co_u32_e32 v8, vcc, 0, v10, vcc
	v_mul_lo_u32 v12, s15, v7
	v_mul_lo_u32 v13, s14, v8
	v_mad_u64_u32 v[7:8], s[10:11], s14, v7, 0
	;; [unrolled: 12-line block ×5, first 2 shown]
	v_add_co_u32_e32 v47, vcc, s18, v3
	v_add3_u32 v8, v8, v10, v9
	v_addc_co_u32_e32 v48, vcc, v11, v4, vcc
	v_lshlrev_b64 v[3:4], 1, v[7:8]
	v_mov_b32_e32 v7, s17
	v_add_co_u32_e32 v50, vcc, s16, v3
	v_addc_co_u32_e32 v51, vcc, v7, v4, vcc
	v_mov_b32_e32 v7, s19
	v_add_co_u32_e32 v52, vcc, s18, v3
	v_addc_co_u32_e32 v53, vcc, v7, v4, vcc
	;; [unrolled: 3-line block ×3, first 2 shown]
	v_lshlrev_b64 v[3:4], 1, v[3:4]
	v_mov_b32_e32 v5, s17
	v_add_co_u32_e32 v54, vcc, s16, v3
	v_addc_co_u32_e32 v55, vcc, v5, v4, vcc
	v_add_co_u32_e32 v56, vcc, s18, v3
	v_mbcnt_lo_u32_b32 v3, -1, 0
	v_mbcnt_hi_u32_b32 v3, -1, v3
	v_mov_b32_e32 v5, s19
	v_lshlrev_b32_e32 v3, 2, v3
	v_mov_b32_e32 v24, v2
	s_mov_b64 s[28:29], 7
	v_addc_co_u32_e32 v57, vcc, v5, v4, vcc
	v_and_b32_e32 v58, 0x100, v3
	s_mov_b64 s[30:31], s[22:23]
	v_mov_b32_e32 v59, 0
.LBB201_3:                              ; =>This Inner Loop Header: Depth=1
	s_add_u32 s10, s22, s28
	v_mov_b32_e32 v3, s12
	s_addc_u32 s11, 0, s29
	v_mov_b32_e32 v4, s13
	v_cmp_ge_i64_e32 vcc, s[10:11], v[3:4]
	v_add_co_u32_e64 v21, s[10:11], s22, v23
	v_addc_co_u32_e64 v22, s[10:11], 0, v24, s[10:11]
	s_mov_b64 s[10:11], -1
	s_and_b64 vcc, exec, vcc
                                        ; implicit-def: $vgpr3_vgpr4_vgpr5_vgpr6_vgpr7_vgpr8_vgpr9_vgpr10
                                        ; implicit-def: $vgpr49
                                        ; implicit-def: $vgpr11_vgpr12_vgpr13_vgpr14_vgpr15_vgpr16_vgpr17_vgpr18
                                        ; implicit-def: $vgpr3
	s_cbranch_vccz .LBB201_25
; %bb.4:                                ;   in Loop: Header=BB201_3 Depth=1
	s_load_dword s10, s[24:25], 0xc
	v_mov_b32_e32 v60, 0
	s_waitcnt lgkmcnt(0)
	s_and_b32 s10, s10, 0xffff
	v_mad_u32_u24 v3, v1, s10, v0
	v_and_b32_e32 v3, 63, v3
	v_cmp_gt_u32_e32 vcc, 8, v3
	s_and_saveexec_b64 s[10:11], vcc
	s_cbranch_execz .LBB201_8
; %bb.5:                                ;   in Loop: Header=BB201_3 Depth=1
	v_add_co_u32_e32 v3, vcc, v21, v3
	v_addc_co_u32_e32 v4, vcc, 0, v22, vcc
	v_cmp_gt_i64_e32 vcc, s[12:13], v[3:4]
	v_mov_b32_e32 v60, 0
	s_and_saveexec_b64 s[34:35], vcc
	s_cbranch_execz .LBB201_7
; %bb.6:                                ;   in Loop: Header=BB201_3 Depth=1
	v_lshlrev_b64 v[3:4], 2, v[3:4]
	v_mov_b32_e32 v5, s21
	v_add_co_u32_e32 v3, vcc, s20, v3
	v_addc_co_u32_e32 v4, vcc, v5, v4, vcc
	global_load_dword v60, v[3:4], off
.LBB201_7:                              ;   in Loop: Header=BB201_3 Depth=1
	s_or_b64 exec, exec, s[34:35]
.LBB201_8:                              ;   in Loop: Header=BB201_3 Depth=1
	s_or_b64 exec, exec, s[10:11]
	v_mov_b32_e32 v9, v2
	v_cmp_gt_i64_e32 vcc, s[12:13], v[21:22]
	v_mov_b32_e32 v3, v2
	v_mov_b32_e32 v4, v2
	;; [unrolled: 1-line block ×15, first 2 shown]
	s_and_b64 s[34:35], s[2:3], vcc
	v_mov_b32_e32 v9, v8
	v_mov_b32_e32 v8, v7
	;; [unrolled: 1-line block ×7, first 2 shown]
	s_and_saveexec_b64 s[10:11], s[34:35]
	s_cbranch_execz .LBB201_10
; %bb.9:                                ;   in Loop: Header=BB201_3 Depth=1
	v_add_co_u32_e32 v3, vcc, v25, v19
	v_addc_co_u32_e32 v4, vcc, v26, v20, vcc
	global_load_ushort v11, v[3:4], off
	v_add_co_u32_e32 v3, vcc, v27, v19
	v_addc_co_u32_e32 v4, vcc, v28, v20, vcc
	global_load_ushort v18, v[3:4], off
	v_mov_b32_e32 v4, v2
	v_mov_b32_e32 v5, v2
	;; [unrolled: 1-line block ×13, first 2 shown]
	s_waitcnt vmcnt(1)
	v_lshlrev_b32_e32 v3, 16, v11
	s_waitcnt vmcnt(0)
	v_lshlrev_b32_e32 v11, 16, v18
	v_mov_b32_e32 v18, v2
.LBB201_10:                             ;   in Loop: Header=BB201_3 Depth=1
	s_or_b64 exec, exec, s[10:11]
	v_add_co_u32_e32 v61, vcc, 1, v21
	v_addc_co_u32_e32 v62, vcc, 0, v22, vcc
	v_cmp_gt_i64_e32 vcc, s[12:13], v[61:62]
	s_and_b64 s[34:35], s[2:3], vcc
	s_and_saveexec_b64 s[10:11], s[34:35]
	s_cbranch_execz .LBB201_12
; %bb.11:                               ;   in Loop: Header=BB201_3 Depth=1
	v_add_co_u32_e32 v61, vcc, v54, v19
	v_addc_co_u32_e32 v62, vcc, v55, v20, vcc
	global_load_ushort v4, v[61:62], off
	v_add_co_u32_e32 v61, vcc, v56, v19
	v_addc_co_u32_e32 v62, vcc, v57, v20, vcc
	global_load_ushort v12, v[61:62], off
	s_waitcnt vmcnt(1)
	v_lshlrev_b32_e32 v4, 16, v4
	s_waitcnt vmcnt(0)
	v_lshlrev_b32_e32 v12, 16, v12
.LBB201_12:                             ;   in Loop: Header=BB201_3 Depth=1
	s_or_b64 exec, exec, s[10:11]
	v_add_co_u32_e32 v61, vcc, 2, v21
	v_addc_co_u32_e32 v62, vcc, 0, v22, vcc
	v_cmp_gt_i64_e32 vcc, s[12:13], v[61:62]
	s_and_b64 s[34:35], s[2:3], vcc
	s_and_saveexec_b64 s[10:11], s[34:35]
	s_cbranch_execz .LBB201_14
; %bb.13:                               ;   in Loop: Header=BB201_3 Depth=1
	v_add_co_u32_e32 v61, vcc, v50, v19
	v_addc_co_u32_e32 v62, vcc, v51, v20, vcc
	global_load_ushort v5, v[61:62], off
	v_add_co_u32_e32 v61, vcc, v52, v19
	v_addc_co_u32_e32 v62, vcc, v53, v20, vcc
	global_load_ushort v13, v[61:62], off
	s_waitcnt vmcnt(1)
	v_lshlrev_b32_e32 v5, 16, v5
	s_waitcnt vmcnt(0)
	v_lshlrev_b32_e32 v13, 16, v13
.LBB201_14:                             ;   in Loop: Header=BB201_3 Depth=1
	s_or_b64 exec, exec, s[10:11]
	v_add_co_u32_e32 v61, vcc, 3, v21
	v_addc_co_u32_e32 v62, vcc, 0, v22, vcc
	v_cmp_gt_i64_e32 vcc, s[12:13], v[61:62]
	s_and_b64 s[34:35], s[2:3], vcc
	s_and_saveexec_b64 s[10:11], s[34:35]
	s_cbranch_execz .LBB201_16
; %bb.15:                               ;   in Loop: Header=BB201_3 Depth=1
	v_add_co_u32_e32 v61, vcc, v45, v19
	v_addc_co_u32_e32 v62, vcc, v46, v20, vcc
	global_load_ushort v6, v[61:62], off
	v_add_co_u32_e32 v61, vcc, v47, v19
	v_addc_co_u32_e32 v62, vcc, v48, v20, vcc
	global_load_ushort v14, v[61:62], off
	s_waitcnt vmcnt(1)
	v_lshlrev_b32_e32 v6, 16, v6
	s_waitcnt vmcnt(0)
	v_lshlrev_b32_e32 v14, 16, v14
.LBB201_16:                             ;   in Loop: Header=BB201_3 Depth=1
	s_or_b64 exec, exec, s[10:11]
	v_add_co_u32_e32 v61, vcc, 4, v21
	v_addc_co_u32_e32 v62, vcc, 0, v22, vcc
	v_cmp_gt_i64_e32 vcc, s[12:13], v[61:62]
	s_and_b64 s[34:35], s[2:3], vcc
	s_and_saveexec_b64 s[10:11], s[34:35]
	s_cbranch_execz .LBB201_18
; %bb.17:                               ;   in Loop: Header=BB201_3 Depth=1
	v_add_co_u32_e32 v61, vcc, v41, v19
	v_addc_co_u32_e32 v62, vcc, v42, v20, vcc
	global_load_ushort v7, v[61:62], off
	v_add_co_u32_e32 v61, vcc, v43, v19
	v_addc_co_u32_e32 v62, vcc, v44, v20, vcc
	global_load_ushort v15, v[61:62], off
	s_waitcnt vmcnt(1)
	v_lshlrev_b32_e32 v7, 16, v7
	s_waitcnt vmcnt(0)
	v_lshlrev_b32_e32 v15, 16, v15
.LBB201_18:                             ;   in Loop: Header=BB201_3 Depth=1
	s_or_b64 exec, exec, s[10:11]
	v_add_co_u32_e32 v61, vcc, 5, v21
	v_addc_co_u32_e32 v62, vcc, 0, v22, vcc
	v_cmp_gt_i64_e32 vcc, s[12:13], v[61:62]
	s_and_b64 s[34:35], s[2:3], vcc
	s_and_saveexec_b64 s[10:11], s[34:35]
	s_cbranch_execz .LBB201_20
; %bb.19:                               ;   in Loop: Header=BB201_3 Depth=1
	v_add_co_u32_e32 v61, vcc, v37, v19
	v_addc_co_u32_e32 v62, vcc, v38, v20, vcc
	global_load_ushort v8, v[61:62], off
	v_add_co_u32_e32 v61, vcc, v39, v19
	v_addc_co_u32_e32 v62, vcc, v40, v20, vcc
	global_load_ushort v16, v[61:62], off
	s_waitcnt vmcnt(1)
	v_lshlrev_b32_e32 v8, 16, v8
	s_waitcnt vmcnt(0)
	v_lshlrev_b32_e32 v16, 16, v16
.LBB201_20:                             ;   in Loop: Header=BB201_3 Depth=1
	s_or_b64 exec, exec, s[10:11]
	v_add_co_u32_e32 v61, vcc, 6, v21
	v_addc_co_u32_e32 v62, vcc, 0, v22, vcc
	v_cmp_gt_i64_e32 vcc, s[12:13], v[61:62]
	s_and_b64 s[34:35], s[2:3], vcc
	s_and_saveexec_b64 s[10:11], s[34:35]
	s_cbranch_execz .LBB201_22
; %bb.21:                               ;   in Loop: Header=BB201_3 Depth=1
	v_add_co_u32_e32 v61, vcc, v33, v19
	v_addc_co_u32_e32 v62, vcc, v34, v20, vcc
	global_load_ushort v9, v[61:62], off
	v_add_co_u32_e32 v61, vcc, v35, v19
	v_addc_co_u32_e32 v62, vcc, v36, v20, vcc
	global_load_ushort v17, v[61:62], off
	s_waitcnt vmcnt(1)
	v_lshlrev_b32_e32 v9, 16, v9
	s_waitcnt vmcnt(0)
	v_lshlrev_b32_e32 v17, 16, v17
.LBB201_22:                             ;   in Loop: Header=BB201_3 Depth=1
	s_or_b64 exec, exec, s[10:11]
	v_add_co_u32_e32 v61, vcc, 7, v21
	v_addc_co_u32_e32 v62, vcc, 0, v22, vcc
	v_cmp_gt_i64_e32 vcc, s[12:13], v[61:62]
	s_and_b64 s[34:35], s[2:3], vcc
	s_and_saveexec_b64 s[10:11], s[34:35]
	s_cbranch_execz .LBB201_24
; %bb.23:                               ;   in Loop: Header=BB201_3 Depth=1
	v_add_co_u32_e32 v61, vcc, v29, v19
	v_addc_co_u32_e32 v62, vcc, v30, v20, vcc
	global_load_ushort v10, v[61:62], off
	v_add_co_u32_e32 v61, vcc, v31, v19
	v_addc_co_u32_e32 v62, vcc, v32, v20, vcc
	global_load_ushort v18, v[61:62], off
	s_waitcnt vmcnt(1)
	v_lshlrev_b32_e32 v10, 16, v10
	s_waitcnt vmcnt(0)
	v_lshlrev_b32_e32 v18, 16, v18
.LBB201_24:                             ;   in Loop: Header=BB201_3 Depth=1
	s_or_b64 exec, exec, s[10:11]
	s_waitcnt vmcnt(0)
	ds_bpermute_b32 v49, v58, v60
	ds_bpermute_b32 v61, v58, v60 offset:4
	v_mul_f32_e32 v3, v11, v3
	ds_bpermute_b32 v11, v58, v60 offset:8
	v_mul_f32_e32 v4, v12, v4
	s_waitcnt lgkmcnt(2)
	v_fma_f32 v49, v3, v49, v59
	s_waitcnt lgkmcnt(1)
	v_fmac_f32_e32 v49, v4, v61
	ds_bpermute_b32 v3, v58, v60 offset:12
	v_mul_f32_e32 v4, v13, v5
	s_waitcnt lgkmcnt(1)
	v_fmac_f32_e32 v49, v4, v11
	ds_bpermute_b32 v4, v58, v60 offset:16
	v_mul_f32_e32 v5, v14, v6
	s_waitcnt lgkmcnt(1)
	v_fmac_f32_e32 v49, v5, v3
	v_mul_f32_e32 v3, v15, v7
	ds_bpermute_b32 v5, v58, v60 offset:20
	s_waitcnt lgkmcnt(1)
	v_fmac_f32_e32 v49, v3, v4
	ds_bpermute_b32 v4, v58, v60 offset:24
	ds_bpermute_b32 v3, v58, v60 offset:28
	v_mul_f32_e32 v6, v16, v8
	s_waitcnt lgkmcnt(2)
	v_fmac_f32_e32 v49, v6, v5
	v_mul_f32_e32 v5, v17, v9
	s_waitcnt lgkmcnt(1)
	v_fmac_f32_e32 v49, v5, v4
	s_mov_b64 s[10:11], 0
.LBB201_25:                             ;   in Loop: Header=BB201_3 Depth=1
	s_and_b64 vcc, exec, s[10:11]
	s_cbranch_vccz .LBB201_40
; %bb.26:                               ;   in Loop: Header=BB201_3 Depth=1
	s_load_dword s10, s[24:25], 0x0
	v_mov_b32_e32 v49, 0
	s_waitcnt lgkmcnt(0)
	s_cmp_lt_u32 s6, s10
	s_cselect_b32 s10, 12, 18
	s_add_u32 s10, s24, s10
	s_addc_u32 s11, s25, 0
	global_load_ushort v3, v2, s[10:11]
	s_waitcnt vmcnt(0)
	v_mad_u32_u24 v3, v1, v3, v0
	v_and_b32_e32 v3, 63, v3
	v_cmp_gt_u32_e32 vcc, 8, v3
	s_and_saveexec_b64 s[10:11], vcc
	s_cbranch_execz .LBB201_30
; %bb.27:                               ;   in Loop: Header=BB201_3 Depth=1
	v_add_co_u32_e32 v3, vcc, v21, v3
	v_addc_co_u32_e32 v4, vcc, 0, v22, vcc
	v_cmp_gt_i64_e32 vcc, s[12:13], v[3:4]
	v_mov_b32_e32 v49, 0
	s_and_saveexec_b64 s[34:35], vcc
	s_cbranch_execz .LBB201_29
; %bb.28:                               ;   in Loop: Header=BB201_3 Depth=1
	v_lshlrev_b64 v[3:4], 2, v[3:4]
	v_mov_b32_e32 v5, s21
	v_add_co_u32_e32 v3, vcc, s20, v3
	v_addc_co_u32_e32 v4, vcc, v5, v4, vcc
	global_load_dword v49, v[3:4], off
.LBB201_29:                             ;   in Loop: Header=BB201_3 Depth=1
	s_or_b64 exec, exec, s[34:35]
.LBB201_30:                             ;   in Loop: Header=BB201_3 Depth=1
	s_or_b64 exec, exec, s[10:11]
	v_mov_b32_e32 v9, v2
	v_mov_b32_e32 v3, v2
	v_mov_b32_e32 v4, v2
	v_mov_b32_e32 v5, v2
	v_mov_b32_e32 v6, v2
	v_mov_b32_e32 v7, v2
	v_mov_b32_e32 v8, v2
	v_mov_b32_e32 v18, v9
	v_mov_b32_e32 v17, v8
	v_mov_b32_e32 v16, v7
	v_mov_b32_e32 v15, v6
	v_mov_b32_e32 v14, v5
	v_mov_b32_e32 v13, v4
	v_mov_b32_e32 v12, v3
	v_mov_b32_e32 v11, v2
	v_mov_b32_e32 v10, v9
	v_mov_b32_e32 v9, v8
	v_mov_b32_e32 v8, v7
	v_mov_b32_e32 v7, v6
	v_mov_b32_e32 v6, v5
	v_mov_b32_e32 v5, v4
	v_mov_b32_e32 v4, v3
	v_mov_b32_e32 v3, v2
	s_and_saveexec_b64 s[10:11], s[2:3]
	s_cbranch_execnz .LBB201_42
; %bb.31:                               ;   in Loop: Header=BB201_3 Depth=1
	s_or_b64 exec, exec, s[10:11]
	s_and_saveexec_b64 s[10:11], s[2:3]
	s_cbranch_execnz .LBB201_43
.LBB201_32:                             ;   in Loop: Header=BB201_3 Depth=1
	s_or_b64 exec, exec, s[10:11]
	s_and_saveexec_b64 s[10:11], s[2:3]
	s_cbranch_execnz .LBB201_44
.LBB201_33:                             ;   in Loop: Header=BB201_3 Depth=1
	s_or_b64 exec, exec, s[10:11]
	s_and_saveexec_b64 s[10:11], s[2:3]
	s_cbranch_execnz .LBB201_45
.LBB201_34:                             ;   in Loop: Header=BB201_3 Depth=1
	s_or_b64 exec, exec, s[10:11]
	s_and_saveexec_b64 s[10:11], s[2:3]
	s_cbranch_execnz .LBB201_46
.LBB201_35:                             ;   in Loop: Header=BB201_3 Depth=1
	s_or_b64 exec, exec, s[10:11]
	s_and_saveexec_b64 s[10:11], s[2:3]
	s_cbranch_execnz .LBB201_47
.LBB201_36:                             ;   in Loop: Header=BB201_3 Depth=1
	s_or_b64 exec, exec, s[10:11]
	s_and_saveexec_b64 s[10:11], s[2:3]
	s_cbranch_execnz .LBB201_48
.LBB201_37:                             ;   in Loop: Header=BB201_3 Depth=1
	s_or_b64 exec, exec, s[10:11]
	s_and_saveexec_b64 s[10:11], s[2:3]
	s_cbranch_execz .LBB201_39
.LBB201_38:                             ;   in Loop: Header=BB201_3 Depth=1
	v_add_co_u32_e32 v21, vcc, v29, v19
	v_addc_co_u32_e32 v22, vcc, v30, v20, vcc
	global_load_ushort v10, v[21:22], off
	v_add_co_u32_e32 v21, vcc, v31, v19
	v_addc_co_u32_e32 v22, vcc, v32, v20, vcc
	global_load_ushort v18, v[21:22], off
	s_waitcnt vmcnt(1)
	v_lshlrev_b32_e32 v10, 16, v10
	s_waitcnt vmcnt(0)
	v_lshlrev_b32_e32 v18, 16, v18
.LBB201_39:                             ;   in Loop: Header=BB201_3 Depth=1
	s_or_b64 exec, exec, s[10:11]
	s_waitcnt vmcnt(0)
	ds_bpermute_b32 v21, v58, v49
	ds_bpermute_b32 v22, v58, v49 offset:4
	v_mul_f32_e32 v3, v11, v3
	ds_bpermute_b32 v11, v58, v49 offset:8
	v_mul_f32_e32 v4, v12, v4
	s_waitcnt lgkmcnt(2)
	v_fmac_f32_e32 v59, v3, v21
	s_waitcnt lgkmcnt(1)
	v_fmac_f32_e32 v59, v4, v22
	ds_bpermute_b32 v3, v58, v49 offset:12
	v_mul_f32_e32 v4, v13, v5
	s_waitcnt lgkmcnt(1)
	v_fmac_f32_e32 v59, v4, v11
	ds_bpermute_b32 v4, v58, v49 offset:16
	v_mul_f32_e32 v5, v14, v6
	s_waitcnt lgkmcnt(1)
	v_fmac_f32_e32 v59, v5, v3
	v_mul_f32_e32 v3, v15, v7
	ds_bpermute_b32 v5, v58, v49 offset:20
	s_waitcnt lgkmcnt(1)
	v_fmac_f32_e32 v59, v3, v4
	ds_bpermute_b32 v4, v58, v49 offset:24
	ds_bpermute_b32 v3, v58, v49 offset:28
	v_mul_f32_e32 v6, v16, v8
	s_waitcnt lgkmcnt(2)
	v_fmac_f32_e32 v59, v6, v5
	v_mul_f32_e32 v5, v17, v9
	s_waitcnt lgkmcnt(1)
	v_fmac_f32_e32 v59, v5, v4
	v_mov_b32_e32 v49, v59
.LBB201_40:                             ;   in Loop: Header=BB201_3 Depth=1
	v_mul_f32_e32 v4, v10, v18
	s_waitcnt lgkmcnt(0)
	v_fmac_f32_e32 v49, v4, v3
	v_mov_b32_e32 v3, s27
	v_add_co_u32_e32 v25, vcc, s26, v25
	v_addc_co_u32_e32 v26, vcc, v26, v3, vcc
	v_add_co_u32_e32 v27, vcc, s26, v27
	v_addc_co_u32_e32 v28, vcc, v28, v3, vcc
	;; [unrolled: 2-line block ×16, first 2 shown]
	s_add_u32 s30, s30, s9
	v_add_co_u32_e32 v23, vcc, s9, v23
	v_mov_b32_e32 v3, s12
	s_addc_u32 s31, s31, 0
	v_addc_co_u32_e32 v24, vcc, 0, v24, vcc
	v_mov_b32_e32 v4, s13
	v_cmp_lt_i64_e32 vcc, s[30:31], v[3:4]
	s_add_u32 s28, s28, s9
	s_addc_u32 s29, 0, s29
	s_cbranch_vccz .LBB201_50
; %bb.41:                               ;   in Loop: Header=BB201_3 Depth=1
	v_mov_b32_e32 v59, v49
	s_branch .LBB201_3
.LBB201_42:                             ;   in Loop: Header=BB201_3 Depth=1
	v_add_co_u32_e32 v3, vcc, v25, v19
	v_addc_co_u32_e32 v4, vcc, v26, v20, vcc
	global_load_ushort v11, v[3:4], off
	v_add_co_u32_e32 v3, vcc, v27, v19
	v_addc_co_u32_e32 v4, vcc, v28, v20, vcc
	global_load_ushort v18, v[3:4], off
	v_mov_b32_e32 v4, v2
	v_mov_b32_e32 v5, v2
	;; [unrolled: 1-line block ×13, first 2 shown]
	s_waitcnt vmcnt(1)
	v_lshlrev_b32_e32 v3, 16, v11
	s_waitcnt vmcnt(0)
	v_lshlrev_b32_e32 v11, 16, v18
	v_mov_b32_e32 v18, v2
	s_or_b64 exec, exec, s[10:11]
	s_and_saveexec_b64 s[10:11], s[2:3]
	s_cbranch_execz .LBB201_32
.LBB201_43:                             ;   in Loop: Header=BB201_3 Depth=1
	v_add_co_u32_e32 v21, vcc, v54, v19
	v_addc_co_u32_e32 v22, vcc, v55, v20, vcc
	global_load_ushort v4, v[21:22], off
	v_add_co_u32_e32 v21, vcc, v56, v19
	v_addc_co_u32_e32 v22, vcc, v57, v20, vcc
	global_load_ushort v12, v[21:22], off
	s_waitcnt vmcnt(1)
	v_lshlrev_b32_e32 v4, 16, v4
	s_waitcnt vmcnt(0)
	v_lshlrev_b32_e32 v12, 16, v12
	s_or_b64 exec, exec, s[10:11]
	s_and_saveexec_b64 s[10:11], s[2:3]
	s_cbranch_execz .LBB201_33
.LBB201_44:                             ;   in Loop: Header=BB201_3 Depth=1
	v_add_co_u32_e32 v21, vcc, v50, v19
	v_addc_co_u32_e32 v22, vcc, v51, v20, vcc
	global_load_ushort v5, v[21:22], off
	v_add_co_u32_e32 v21, vcc, v52, v19
	v_addc_co_u32_e32 v22, vcc, v53, v20, vcc
	global_load_ushort v13, v[21:22], off
	s_waitcnt vmcnt(1)
	v_lshlrev_b32_e32 v5, 16, v5
	s_waitcnt vmcnt(0)
	v_lshlrev_b32_e32 v13, 16, v13
	s_or_b64 exec, exec, s[10:11]
	s_and_saveexec_b64 s[10:11], s[2:3]
	s_cbranch_execz .LBB201_34
.LBB201_45:                             ;   in Loop: Header=BB201_3 Depth=1
	v_add_co_u32_e32 v21, vcc, v45, v19
	v_addc_co_u32_e32 v22, vcc, v46, v20, vcc
	global_load_ushort v6, v[21:22], off
	v_add_co_u32_e32 v21, vcc, v47, v19
	v_addc_co_u32_e32 v22, vcc, v48, v20, vcc
	global_load_ushort v14, v[21:22], off
	s_waitcnt vmcnt(1)
	v_lshlrev_b32_e32 v6, 16, v6
	s_waitcnt vmcnt(0)
	v_lshlrev_b32_e32 v14, 16, v14
	s_or_b64 exec, exec, s[10:11]
	s_and_saveexec_b64 s[10:11], s[2:3]
	s_cbranch_execz .LBB201_35
.LBB201_46:                             ;   in Loop: Header=BB201_3 Depth=1
	v_add_co_u32_e32 v21, vcc, v41, v19
	v_addc_co_u32_e32 v22, vcc, v42, v20, vcc
	global_load_ushort v7, v[21:22], off
	v_add_co_u32_e32 v21, vcc, v43, v19
	v_addc_co_u32_e32 v22, vcc, v44, v20, vcc
	global_load_ushort v15, v[21:22], off
	s_waitcnt vmcnt(1)
	v_lshlrev_b32_e32 v7, 16, v7
	s_waitcnt vmcnt(0)
	v_lshlrev_b32_e32 v15, 16, v15
	s_or_b64 exec, exec, s[10:11]
	s_and_saveexec_b64 s[10:11], s[2:3]
	s_cbranch_execz .LBB201_36
.LBB201_47:                             ;   in Loop: Header=BB201_3 Depth=1
	v_add_co_u32_e32 v21, vcc, v37, v19
	v_addc_co_u32_e32 v22, vcc, v38, v20, vcc
	global_load_ushort v8, v[21:22], off
	v_add_co_u32_e32 v21, vcc, v39, v19
	v_addc_co_u32_e32 v22, vcc, v40, v20, vcc
	global_load_ushort v16, v[21:22], off
	s_waitcnt vmcnt(1)
	v_lshlrev_b32_e32 v8, 16, v8
	s_waitcnt vmcnt(0)
	v_lshlrev_b32_e32 v16, 16, v16
	s_or_b64 exec, exec, s[10:11]
	s_and_saveexec_b64 s[10:11], s[2:3]
	s_cbranch_execz .LBB201_37
.LBB201_48:                             ;   in Loop: Header=BB201_3 Depth=1
	v_add_co_u32_e32 v21, vcc, v33, v19
	v_addc_co_u32_e32 v22, vcc, v34, v20, vcc
	global_load_ushort v9, v[21:22], off
	v_add_co_u32_e32 v21, vcc, v35, v19
	v_addc_co_u32_e32 v22, vcc, v36, v20, vcc
	global_load_ushort v17, v[21:22], off
	s_waitcnt vmcnt(1)
	v_lshlrev_b32_e32 v9, 16, v9
	s_waitcnt vmcnt(0)
	v_lshlrev_b32_e32 v17, 16, v17
	s_or_b64 exec, exec, s[10:11]
	s_and_saveexec_b64 s[10:11], s[2:3]
	s_cbranch_execnz .LBB201_38
	s_branch .LBB201_39
.LBB201_49:
                                        ; implicit-def: $vgpr49
	s_load_dwordx2 s[2:3], s[4:5], 0x30
	s_branch .LBB201_51
.LBB201_50:
	s_load_dwordx2 s[2:3], s[4:5], 0x30
	s_cbranch_execnz .LBB201_83
.LBB201_51:
	s_and_b64 vcc, exec, s[0:1]
	v_mov_b32_e32 v49, 0
	s_cbranch_vccnz .LBB201_83
; %bb.52:
	v_lshlrev_b32_e32 v52, 3, v1
	v_add_co_u32_e32 v8, vcc, s22, v52
	v_addc_co_u32_e64 v9, s[0:1], 0, 0, vcc
	v_mul_lo_u32 v4, s15, v8
	v_mul_lo_u32 v5, s14, v9
	v_mad_u64_u32 v[2:3], s[0:1], s14, v8, 0
	v_mov_b32_e32 v6, s17
	s_add_u32 s10, s4, 64
	v_add3_u32 v3, v3, v5, v4
	v_lshlrev_b64 v[4:5], 1, v[2:3]
	s_addc_u32 s11, s5, 0
	v_add_co_u32_e32 v53, vcc, s16, v4
	v_addc_co_u32_e32 v54, vcc, v6, v5, vcc
	v_mov_b32_e32 v6, s19
	v_add_co_u32_e32 v55, vcc, s18, v4
	v_addc_co_u32_e32 v56, vcc, v6, v5, vcc
	v_lshlrev_b32_e32 v4, 4, v1
	s_lshl_b64 s[0:1], s[22:23], 1
	v_mov_b32_e32 v5, s1
	v_add_co_u32_e32 v10, vcc, s0, v4
	v_addc_co_u32_e32 v11, vcc, 0, v5, vcc
	v_add_co_u32_e32 v12, vcc, 2, v10
	v_addc_co_u32_e32 v6, vcc, 0, v11, vcc
	v_mov_b32_e32 v4, s16
	v_mul_lo_u32 v14, s14, v6
	v_mov_b32_e32 v6, s18
	v_mov_b32_e32 v5, s17
	;; [unrolled: 1-line block ×3, first 2 shown]
	v_mad_u64_u32 v[19:20], s[0:1], s14, v12, v[4:5]
	v_mul_lo_u32 v15, s15, v12
	v_mad_u64_u32 v[21:22], s[0:1], s14, v12, v[6:7]
	v_add_co_u32_e32 v12, vcc, 4, v10
	v_addc_co_u32_e32 v16, vcc, 0, v11, vcc
	v_mov_b32_e32 v13, s15
	v_add_co_u32_e32 v2, vcc, s14, v2
	v_addc_co_u32_e32 v3, vcc, v3, v13, vcc
	v_mul_lo_u32 v17, s15, v12
	v_mad_u64_u32 v[23:24], s[0:1], s14, v12, v[4:5]
	v_mad_u64_u32 v[25:26], s[0:1], s14, v12, v[6:7]
	v_add_co_u32_e32 v12, vcc, 6, v10
	v_addc_co_u32_e32 v13, vcc, 0, v11, vcc
	v_add3_u32 v20, v15, v20, v14
	v_add3_u32 v22, v15, v22, v14
	v_mul_lo_u32 v13, s14, v13
	v_mul_lo_u32 v14, s15, v12
	v_mad_u64_u32 v[27:28], s[0:1], s14, v12, v[4:5]
	v_mad_u64_u32 v[29:30], s[0:1], s14, v12, v[6:7]
	v_add_co_u32_e32 v12, vcc, 8, v10
	v_mul_lo_u32 v16, s14, v16
	v_addc_co_u32_e32 v15, vcc, 0, v11, vcc
	v_mul_lo_u32 v18, s15, v12
	v_mad_u64_u32 v[31:32], s[0:1], s14, v12, v[4:5]
	v_mad_u64_u32 v[33:34], s[0:1], s14, v12, v[6:7]
	v_add_co_u32_e32 v12, vcc, 10, v10
	v_add3_u32 v28, v14, v28, v13
	v_add3_u32 v30, v14, v30, v13
	v_addc_co_u32_e32 v13, vcc, 0, v11, vcc
	v_mul_lo_u32 v14, s15, v12
	v_mad_u64_u32 v[35:36], s[0:1], s14, v12, v[4:5]
	v_mad_u64_u32 v[37:38], s[0:1], s14, v12, v[6:7]
	v_add_co_u32_e32 v12, vcc, 12, v10
	v_add3_u32 v24, v17, v24, v16
	v_add3_u32 v26, v17, v26, v16
	v_addc_co_u32_e32 v16, vcc, 0, v11, vcc
	v_add_co_u32_e32 v10, vcc, 14, v10
	v_addc_co_u32_e32 v11, vcc, 0, v11, vcc
	v_mad_u64_u32 v[39:40], s[0:1], s14, v12, v[4:5]
	v_mad_u64_u32 v[43:44], s[0:1], s14, v10, v[4:5]
	v_add_co_u32_e32 v4, vcc, 7, v8
	v_addc_co_u32_e32 v5, vcc, 0, v9, vcc
	v_mad_u64_u32 v[41:42], s[0:1], s14, v12, v[6:7]
	v_mad_u64_u32 v[45:46], s[0:1], s14, v10, v[6:7]
	v_mul_lo_u32 v6, s15, v10
	v_mul_lo_u32 v7, s14, v5
	;; [unrolled: 1-line block ×3, first 2 shown]
	v_mad_u64_u32 v[4:5], s[0:1], s14, v4, 0
	v_mul_lo_u32 v11, s14, v11
	v_mul_lo_u32 v17, s15, v12
	v_add3_u32 v5, v5, v7, v10
	v_lshlrev_b64 v[4:5], 1, v[4:5]
	v_add3_u32 v44, v6, v44, v11
	v_add3_u32 v46, v6, v46, v11
	v_mov_b32_e32 v6, s17
	v_add_co_u32_e32 v57, vcc, s16, v4
	v_addc_co_u32_e32 v58, vcc, v6, v5, vcc
	v_add_co_u32_e32 v6, vcc, 6, v8
	v_addc_co_u32_e32 v7, vcc, 0, v9, vcc
	v_mul_lo_u32 v11, s14, v7
	v_mul_lo_u32 v12, s15, v6
	v_mad_u64_u32 v[6:7], s[0:1], s14, v6, 0
	v_mov_b32_e32 v10, s19
	v_add_co_u32_e32 v59, vcc, s18, v4
	v_add3_u32 v7, v7, v11, v12
	v_addc_co_u32_e32 v60, vcc, v10, v5, vcc
	v_lshlrev_b64 v[4:5], 1, v[6:7]
	v_mov_b32_e32 v6, s17
	v_add_co_u32_e32 v61, vcc, s16, v4
	v_addc_co_u32_e32 v62, vcc, v6, v5, vcc
	v_add_co_u32_e32 v6, vcc, 5, v8
	v_addc_co_u32_e32 v7, vcc, 0, v9, vcc
	v_mul_lo_u32 v11, s14, v7
	v_mul_lo_u32 v12, s15, v6
	v_mad_u64_u32 v[6:7], s[0:1], s14, v6, 0
	v_add_co_u32_e32 v63, vcc, s18, v4
	v_add3_u32 v7, v7, v11, v12
	v_addc_co_u32_e32 v64, vcc, v10, v5, vcc
	v_lshlrev_b64 v[4:5], 1, v[6:7]
	v_mov_b32_e32 v6, s17
	v_add_co_u32_e32 v65, vcc, s16, v4
	v_addc_co_u32_e32 v66, vcc, v6, v5, vcc
	v_add_co_u32_e32 v6, vcc, 4, v8
	v_addc_co_u32_e32 v7, vcc, 0, v9, vcc
	v_mul_lo_u32 v11, s14, v7
	v_mul_lo_u32 v12, s15, v6
	v_mad_u64_u32 v[6:7], s[0:1], s14, v6, 0
	;; [unrolled: 12-line block ×4, first 2 shown]
	v_add_co_u32_e32 v75, vcc, s18, v4
	v_add3_u32 v7, v7, v8, v9
	v_addc_co_u32_e32 v76, vcc, v10, v5, vcc
	v_lshlrev_b64 v[4:5], 1, v[6:7]
	v_mov_b32_e32 v6, s17
	v_add_co_u32_e32 v77, vcc, s16, v4
	v_addc_co_u32_e32 v78, vcc, v6, v5, vcc
	v_mov_b32_e32 v6, s19
	v_add_co_u32_e32 v79, vcc, s18, v4
	v_lshlrev_b64 v[2:3], 1, v[2:3]
	v_addc_co_u32_e32 v80, vcc, v6, v5, vcc
	s_load_dword s0, s[4:5], 0x44
	v_mov_b32_e32 v4, s17
	v_add_co_u32_e32 v81, vcc, s16, v2
	v_addc_co_u32_e32 v82, vcc, v4, v3, vcc
	v_mov_b32_e32 v4, s19
	v_add_co_u32_e32 v83, vcc, s18, v2
	v_mov_b32_e32 v2, 0
	v_mul_lo_u32 v15, s14, v15
	v_mul_lo_u32 v13, s14, v13
	;; [unrolled: 1-line block ×3, first 2 shown]
	v_addc_co_u32_e32 v84, vcc, v4, v3, vcc
	v_add_u32_e32 v3, s7, v0
	v_mov_b32_e32 v4, v2
	s_waitcnt lgkmcnt(0)
	s_lshl_b32 s7, s0, 3
	v_lshlrev_b64 v[47:48], 1, v[3:4]
	v_mbcnt_lo_u32_b32 v3, -1, 0
	s_mul_i32 s0, s15, s7
	s_mul_hi_u32 s1, s14, s7
	v_mbcnt_hi_u32_b32 v3, -1, v3
	s_add_i32 s1, s1, s0
	s_mul_i32 s0, s14, s7
	v_lshlrev_b32_e32 v3, 2, v3
	v_add3_u32 v32, v18, v32, v15
	v_add3_u32 v34, v18, v34, v15
	;; [unrolled: 1-line block ×6, first 2 shown]
	s_lshl_b64 s[16:17], s[0:1], 1
	s_mov_b64 s[18:19], 7
	v_and_b32_e32 v85, 0x100, v3
	s_mov_b64 s[24:25], s[22:23]
	v_mov_b32_e32 v86, v2
	v_mov_b32_e32 v87, 0
.LBB201_53:                             ; =>This Inner Loop Header: Depth=1
	s_add_u32 s0, s22, s18
	v_mov_b32_e32 v3, s12
	s_addc_u32 s1, 0, s19
	v_mov_b32_e32 v4, s13
	v_cmp_ge_i64_e32 vcc, s[0:1], v[3:4]
	v_add_co_u32_e64 v50, s[0:1], s22, v52
	v_addc_co_u32_e64 v51, s[0:1], 0, v86, s[0:1]
	s_mov_b64 s[0:1], -1
                                        ; implicit-def: $vgpr49
	s_cbranch_vccz .LBB201_75
; %bb.54:                               ;   in Loop: Header=BB201_53 Depth=1
	s_load_dword s0, s[10:11], 0xc
	v_mov_b32_e32 v88, 0
	s_waitcnt lgkmcnt(0)
	s_and_b32 s0, s0, 0xffff
	v_mad_u32_u24 v3, v1, s0, v0
	v_and_b32_e32 v3, 63, v3
	v_cmp_gt_u32_e32 vcc, 8, v3
	s_and_saveexec_b64 s[0:1], vcc
	s_cbranch_execz .LBB201_58
; %bb.55:                               ;   in Loop: Header=BB201_53 Depth=1
	v_add_co_u32_e32 v3, vcc, v50, v3
	v_addc_co_u32_e32 v4, vcc, 0, v51, vcc
	v_cmp_gt_i64_e32 vcc, s[12:13], v[3:4]
	v_mov_b32_e32 v88, 0
	s_and_saveexec_b64 s[26:27], vcc
	s_cbranch_execz .LBB201_57
; %bb.56:                               ;   in Loop: Header=BB201_53 Depth=1
	v_lshlrev_b64 v[3:4], 2, v[3:4]
	v_mov_b32_e32 v5, s21
	v_add_co_u32_e32 v3, vcc, s20, v3
	v_addc_co_u32_e32 v4, vcc, v5, v4, vcc
	global_load_dword v88, v[3:4], off
.LBB201_57:                             ;   in Loop: Header=BB201_53 Depth=1
	s_or_b64 exec, exec, s[26:27]
.LBB201_58:                             ;   in Loop: Header=BB201_53 Depth=1
	s_or_b64 exec, exec, s[0:1]
	v_mov_b32_e32 v9, v2
	v_mov_b32_e32 v3, v2
	;; [unrolled: 1-line block ×8, first 2 shown]
	v_cmp_gt_i64_e32 vcc, s[12:13], v[50:51]
	v_mov_b32_e32 v17, v8
	v_mov_b32_e32 v16, v7
	;; [unrolled: 1-line block ×15, first 2 shown]
	s_and_saveexec_b64 s[0:1], vcc
	s_cbranch_execz .LBB201_60
; %bb.59:                               ;   in Loop: Header=BB201_53 Depth=1
	v_add_co_u32_e32 v3, vcc, v53, v47
	v_addc_co_u32_e32 v4, vcc, v54, v48, vcc
	global_load_ushort v11, v[3:4], off
	v_add_co_u32_e32 v3, vcc, v55, v47
	v_addc_co_u32_e32 v4, vcc, v56, v48, vcc
	global_load_ushort v18, v[3:4], off
	v_mov_b32_e32 v4, v2
	v_mov_b32_e32 v5, v2
	;; [unrolled: 1-line block ×13, first 2 shown]
	s_waitcnt vmcnt(1)
	v_lshlrev_b32_e32 v3, 16, v11
	s_waitcnt vmcnt(0)
	v_lshlrev_b32_e32 v11, 16, v18
	v_mov_b32_e32 v18, v2
.LBB201_60:                             ;   in Loop: Header=BB201_53 Depth=1
	s_or_b64 exec, exec, s[0:1]
	v_add_co_u32_e32 v89, vcc, 1, v50
	v_addc_co_u32_e32 v90, vcc, 0, v51, vcc
	v_cmp_gt_i64_e32 vcc, s[12:13], v[89:90]
	s_and_saveexec_b64 s[0:1], vcc
	s_cbranch_execz .LBB201_62
; %bb.61:                               ;   in Loop: Header=BB201_53 Depth=1
	v_add_co_u32_e32 v89, vcc, v81, v47
	v_addc_co_u32_e32 v90, vcc, v82, v48, vcc
	global_load_ushort v4, v[89:90], off
	v_add_co_u32_e32 v89, vcc, v83, v47
	v_addc_co_u32_e32 v90, vcc, v84, v48, vcc
	global_load_ushort v12, v[89:90], off
	s_waitcnt vmcnt(1)
	v_lshlrev_b32_e32 v4, 16, v4
	s_waitcnt vmcnt(0)
	v_lshlrev_b32_e32 v12, 16, v12
.LBB201_62:                             ;   in Loop: Header=BB201_53 Depth=1
	s_or_b64 exec, exec, s[0:1]
	v_add_co_u32_e32 v89, vcc, 2, v50
	v_addc_co_u32_e32 v90, vcc, 0, v51, vcc
	v_cmp_gt_i64_e32 vcc, s[12:13], v[89:90]
	s_and_saveexec_b64 s[0:1], vcc
	s_cbranch_execz .LBB201_64
; %bb.63:                               ;   in Loop: Header=BB201_53 Depth=1
	v_add_co_u32_e32 v89, vcc, v77, v47
	v_addc_co_u32_e32 v90, vcc, v78, v48, vcc
	global_load_ushort v5, v[89:90], off
	v_add_co_u32_e32 v89, vcc, v79, v47
	v_addc_co_u32_e32 v90, vcc, v80, v48, vcc
	global_load_ushort v13, v[89:90], off
	s_waitcnt vmcnt(1)
	v_lshlrev_b32_e32 v5, 16, v5
	s_waitcnt vmcnt(0)
	v_lshlrev_b32_e32 v13, 16, v13
.LBB201_64:                             ;   in Loop: Header=BB201_53 Depth=1
	;; [unrolled: 18-line block ×7, first 2 shown]
	s_or_b64 exec, exec, s[0:1]
	s_waitcnt vmcnt(0)
	ds_bpermute_b32 v49, v85, v88
	ds_bpermute_b32 v89, v85, v88 offset:4
	v_mul_f32_e32 v3, v11, v3
	ds_bpermute_b32 v11, v85, v88 offset:8
	v_mul_f32_e32 v4, v12, v4
	s_waitcnt lgkmcnt(2)
	v_fma_f32 v49, v3, v49, v87
	s_waitcnt lgkmcnt(1)
	v_fmac_f32_e32 v49, v4, v89
	ds_bpermute_b32 v3, v85, v88 offset:12
	v_mul_f32_e32 v4, v13, v5
	s_waitcnt lgkmcnt(1)
	v_fmac_f32_e32 v49, v4, v11
	ds_bpermute_b32 v4, v85, v88 offset:16
	v_mul_f32_e32 v5, v14, v6
	s_waitcnt lgkmcnt(1)
	v_fmac_f32_e32 v49, v5, v3
	v_mul_f32_e32 v3, v15, v7
	ds_bpermute_b32 v5, v85, v88 offset:20
	s_waitcnt lgkmcnt(1)
	v_fmac_f32_e32 v49, v3, v4
	ds_bpermute_b32 v3, v85, v88 offset:24
	ds_bpermute_b32 v6, v85, v88 offset:28
	v_mul_f32_e32 v4, v16, v8
	s_waitcnt lgkmcnt(2)
	v_fmac_f32_e32 v49, v4, v5
	v_mul_f32_e32 v4, v17, v9
	s_waitcnt lgkmcnt(1)
	v_fmac_f32_e32 v49, v4, v3
	;; [unrolled: 3-line block ×3, first 2 shown]
	s_mov_b64 s[0:1], 0
.LBB201_75:                             ;   in Loop: Header=BB201_53 Depth=1
	s_and_b64 vcc, exec, s[0:1]
	s_cbranch_vccz .LBB201_81
; %bb.76:                               ;   in Loop: Header=BB201_53 Depth=1
	s_load_dword s0, s[10:11], 0x0
	v_mov_b32_e32 v5, 0
	s_waitcnt lgkmcnt(0)
	s_cmp_lt_u32 s6, s0
	s_cselect_b32 s0, 12, 18
	s_add_u32 s0, s10, s0
	s_addc_u32 s1, s11, 0
	global_load_ushort v3, v2, s[0:1]
	s_waitcnt vmcnt(0)
	v_mad_u32_u24 v3, v1, v3, v0
	v_and_b32_e32 v3, 63, v3
	v_cmp_gt_u32_e32 vcc, 8, v3
	s_and_saveexec_b64 s[0:1], vcc
	s_cbranch_execz .LBB201_80
; %bb.77:                               ;   in Loop: Header=BB201_53 Depth=1
	v_add_co_u32_e32 v3, vcc, v50, v3
	v_addc_co_u32_e32 v4, vcc, 0, v51, vcc
	v_cmp_gt_i64_e32 vcc, s[12:13], v[3:4]
	v_mov_b32_e32 v5, 0
	s_and_saveexec_b64 s[26:27], vcc
	s_cbranch_execz .LBB201_79
; %bb.78:                               ;   in Loop: Header=BB201_53 Depth=1
	v_lshlrev_b64 v[3:4], 2, v[3:4]
	v_mov_b32_e32 v5, s21
	v_add_co_u32_e32 v3, vcc, s20, v3
	v_addc_co_u32_e32 v4, vcc, v5, v4, vcc
	global_load_dword v5, v[3:4], off
.LBB201_79:                             ;   in Loop: Header=BB201_53 Depth=1
	s_or_b64 exec, exec, s[26:27]
.LBB201_80:                             ;   in Loop: Header=BB201_53 Depth=1
	s_or_b64 exec, exec, s[0:1]
	v_add_co_u32_e32 v3, vcc, v53, v47
	v_addc_co_u32_e32 v4, vcc, v54, v48, vcc
	v_add_co_u32_e32 v6, vcc, v55, v47
	v_addc_co_u32_e32 v7, vcc, v56, v48, vcc
	global_load_ushort v8, v[3:4], off
	global_load_ushort v9, v[6:7], off
	v_add_co_u32_e32 v3, vcc, v19, v47
	v_addc_co_u32_e32 v4, vcc, v20, v48, vcc
	v_add_co_u32_e32 v6, vcc, v21, v47
	v_addc_co_u32_e32 v7, vcc, v22, v48, vcc
	global_load_ushort v10, v[3:4], off
	global_load_ushort v11, v[6:7], off
	v_add_co_u32_e32 v3, vcc, v23, v47
	v_addc_co_u32_e32 v4, vcc, v24, v48, vcc
	v_add_co_u32_e32 v6, vcc, v25, v47
	v_addc_co_u32_e32 v7, vcc, v26, v48, vcc
	global_load_ushort v12, v[3:4], off
	global_load_ushort v13, v[6:7], off
	v_add_co_u32_e32 v3, vcc, v27, v47
	v_addc_co_u32_e32 v4, vcc, v28, v48, vcc
	v_add_co_u32_e32 v6, vcc, v29, v47
	v_addc_co_u32_e32 v7, vcc, v30, v48, vcc
	global_load_ushort v14, v[3:4], off
	global_load_ushort v15, v[6:7], off
	v_add_co_u32_e32 v3, vcc, v31, v47
	v_addc_co_u32_e32 v4, vcc, v32, v48, vcc
	v_add_co_u32_e32 v6, vcc, v33, v47
	v_addc_co_u32_e32 v7, vcc, v34, v48, vcc
	global_load_ushort v16, v[3:4], off
	global_load_ushort v17, v[6:7], off
	v_add_co_u32_e32 v3, vcc, v35, v47
	v_addc_co_u32_e32 v4, vcc, v36, v48, vcc
	v_add_co_u32_e32 v6, vcc, v37, v47
	v_addc_co_u32_e32 v7, vcc, v38, v48, vcc
	global_load_ushort v18, v[3:4], off
	global_load_ushort v49, v[6:7], off
	v_add_co_u32_e32 v3, vcc, v39, v47
	v_addc_co_u32_e32 v4, vcc, v40, v48, vcc
	v_add_co_u32_e32 v6, vcc, v41, v47
	v_addc_co_u32_e32 v7, vcc, v42, v48, vcc
	global_load_ushort v50, v[3:4], off
	global_load_ushort v51, v[6:7], off
	v_add_co_u32_e32 v3, vcc, v43, v47
	v_addc_co_u32_e32 v4, vcc, v44, v48, vcc
	v_add_co_u32_e32 v6, vcc, v45, v47
	v_addc_co_u32_e32 v7, vcc, v46, v48, vcc
	global_load_ushort v88, v[6:7], off
	global_load_ushort v89, v[3:4], off
	s_waitcnt vmcnt(15)
	v_lshlrev_b32_e32 v4, 16, v8
	s_waitcnt vmcnt(14)
	v_lshlrev_b32_e32 v3, 16, v9
	v_mul_f32_e32 v3, v4, v3
	s_waitcnt vmcnt(13)
	v_lshlrev_b32_e32 v7, 16, v10
	s_waitcnt vmcnt(12)
	v_lshlrev_b32_e32 v6, 16, v11
	v_mul_f32_e32 v4, v7, v6
	;; [unrolled: 5-line block ×3, first 2 shown]
	s_waitcnt vmcnt(9)
	v_lshlrev_b32_e32 v11, 16, v14
	s_waitcnt vmcnt(8)
	v_lshlrev_b32_e32 v10, 16, v15
	s_waitcnt vmcnt(7)
	v_lshlrev_b32_e32 v13, 16, v16
	s_waitcnt vmcnt(6)
	v_lshlrev_b32_e32 v12, 16, v17
	s_waitcnt vmcnt(5)
	v_lshlrev_b32_e32 v15, 16, v18
	ds_bpermute_b32 v18, v85, v5
	s_waitcnt vmcnt(4)
	v_lshlrev_b32_e32 v14, 16, v49
	s_waitcnt lgkmcnt(0)
	v_fmac_f32_e32 v87, v3, v18
	ds_bpermute_b32 v3, v85, v5 offset:8
	s_waitcnt vmcnt(3)
	v_lshlrev_b32_e32 v17, 16, v50
	s_waitcnt vmcnt(2)
	v_lshlrev_b32_e32 v16, 16, v51
	ds_bpermute_b32 v51, v85, v5 offset:4
	s_waitcnt lgkmcnt(0)
	v_fmac_f32_e32 v87, v4, v51
	ds_bpermute_b32 v4, v85, v5 offset:12
	v_fmac_f32_e32 v87, v6, v3
	ds_bpermute_b32 v3, v85, v5 offset:16
	v_mul_f32_e32 v6, v11, v10
	s_waitcnt vmcnt(1)
	v_lshlrev_b32_e32 v49, 16, v88
	s_waitcnt lgkmcnt(1)
	v_fmac_f32_e32 v87, v6, v4
	v_mul_f32_e32 v4, v13, v12
	ds_bpermute_b32 v6, v85, v5 offset:20
	s_waitcnt lgkmcnt(1)
	v_fmac_f32_e32 v87, v4, v3
	ds_bpermute_b32 v3, v85, v5 offset:24
	ds_bpermute_b32 v5, v85, v5 offset:28
	v_mul_f32_e32 v4, v15, v14
	s_waitcnt vmcnt(0)
	v_lshlrev_b32_e32 v50, 16, v89
	s_waitcnt lgkmcnt(2)
	v_fmac_f32_e32 v87, v4, v6
	v_mul_f32_e32 v4, v17, v16
	s_waitcnt lgkmcnt(1)
	v_fmac_f32_e32 v87, v4, v3
	v_mul_f32_e32 v3, v50, v49
	s_waitcnt lgkmcnt(0)
	v_fmac_f32_e32 v87, v3, v5
	v_mov_b32_e32 v49, v87
.LBB201_81:                             ;   in Loop: Header=BB201_53 Depth=1
	v_mov_b32_e32 v3, s17
	v_add_co_u32_e32 v53, vcc, s16, v53
	v_addc_co_u32_e32 v54, vcc, v54, v3, vcc
	v_add_co_u32_e32 v55, vcc, s16, v55
	v_addc_co_u32_e32 v56, vcc, v56, v3, vcc
	v_add_co_u32_e32 v52, vcc, s7, v52
	v_addc_co_u32_e32 v86, vcc, 0, v86, vcc
	v_add_co_u32_e32 v19, vcc, s16, v19
	v_addc_co_u32_e32 v20, vcc, v20, v3, vcc
	v_add_co_u32_e32 v23, vcc, s16, v23
	v_addc_co_u32_e32 v24, vcc, v24, v3, vcc
	v_add_co_u32_e32 v27, vcc, s16, v27
	v_addc_co_u32_e32 v28, vcc, v28, v3, vcc
	v_add_co_u32_e32 v31, vcc, s16, v31
	v_addc_co_u32_e32 v32, vcc, v32, v3, vcc
	v_add_co_u32_e32 v35, vcc, s16, v35
	v_addc_co_u32_e32 v36, vcc, v36, v3, vcc
	v_add_co_u32_e32 v39, vcc, s16, v39
	v_addc_co_u32_e32 v40, vcc, v40, v3, vcc
	v_add_co_u32_e32 v43, vcc, s16, v43
	v_addc_co_u32_e32 v44, vcc, v44, v3, vcc
	v_add_co_u32_e32 v21, vcc, s16, v21
	v_addc_co_u32_e32 v22, vcc, v22, v3, vcc
	v_add_co_u32_e32 v25, vcc, s16, v25
	v_addc_co_u32_e32 v26, vcc, v26, v3, vcc
	v_add_co_u32_e32 v29, vcc, s16, v29
	v_addc_co_u32_e32 v30, vcc, v30, v3, vcc
	v_add_co_u32_e32 v33, vcc, s16, v33
	v_addc_co_u32_e32 v34, vcc, v34, v3, vcc
	v_add_co_u32_e32 v37, vcc, s16, v37
	v_addc_co_u32_e32 v38, vcc, v38, v3, vcc
	v_add_co_u32_e32 v41, vcc, s16, v41
	v_addc_co_u32_e32 v42, vcc, v42, v3, vcc
	v_add_co_u32_e32 v45, vcc, s16, v45
	v_addc_co_u32_e32 v46, vcc, v46, v3, vcc
	v_add_co_u32_e32 v57, vcc, s16, v57
	v_addc_co_u32_e32 v58, vcc, v58, v3, vcc
	v_add_co_u32_e32 v59, vcc, s16, v59
	v_addc_co_u32_e32 v60, vcc, v60, v3, vcc
	v_add_co_u32_e32 v61, vcc, s16, v61
	v_addc_co_u32_e32 v62, vcc, v62, v3, vcc
	v_add_co_u32_e32 v63, vcc, s16, v63
	v_addc_co_u32_e32 v64, vcc, v64, v3, vcc
	v_add_co_u32_e32 v65, vcc, s16, v65
	v_addc_co_u32_e32 v66, vcc, v66, v3, vcc
	v_add_co_u32_e32 v67, vcc, s16, v67
	v_addc_co_u32_e32 v68, vcc, v68, v3, vcc
	v_add_co_u32_e32 v69, vcc, s16, v69
	v_addc_co_u32_e32 v70, vcc, v70, v3, vcc
	v_add_co_u32_e32 v71, vcc, s16, v71
	v_addc_co_u32_e32 v72, vcc, v72, v3, vcc
	v_add_co_u32_e32 v73, vcc, s16, v73
	v_addc_co_u32_e32 v74, vcc, v74, v3, vcc
	v_add_co_u32_e32 v75, vcc, s16, v75
	v_addc_co_u32_e32 v76, vcc, v76, v3, vcc
	v_add_co_u32_e32 v77, vcc, s16, v77
	v_addc_co_u32_e32 v78, vcc, v78, v3, vcc
	v_add_co_u32_e32 v79, vcc, s16, v79
	v_addc_co_u32_e32 v80, vcc, v80, v3, vcc
	v_add_co_u32_e32 v81, vcc, s16, v81
	v_addc_co_u32_e32 v82, vcc, v82, v3, vcc
	v_add_co_u32_e32 v83, vcc, s16, v83
	s_add_u32 s24, s24, s7
	v_addc_co_u32_e32 v84, vcc, v84, v3, vcc
	v_mov_b32_e32 v3, s12
	s_addc_u32 s25, s25, 0
	v_mov_b32_e32 v4, s13
	v_cmp_ge_i64_e32 vcc, s[24:25], v[3:4]
	s_add_u32 s18, s18, s7
	s_addc_u32 s19, 0, s19
	s_cbranch_vccnz .LBB201_83
; %bb.82:                               ;   in Loop: Header=BB201_53 Depth=1
	v_mov_b32_e32 v87, v49
	s_branch .LBB201_53
.LBB201_83:
	s_mov_b32 s7, 0
	s_lshl_b64 s[0:1], s[6:7], 5
	v_or_b32_e32 v3, s0, v0
	v_mov_b32_e32 v4, s1
	v_cmp_gt_i64_e32 vcc, s[14:15], v[3:4]
	s_waitcnt lgkmcnt(0)
	s_cmp_lg_u64 s[2:3], 0
	s_cselect_b64 s[0:1], -1, 0
	s_and_b64 s[0:1], vcc, s[0:1]
	s_and_saveexec_b64 s[6:7], s[0:1]
	s_cbranch_execz .LBB201_85
; %bb.84:
	s_load_dword s0, s[4:5], 0x4c
	v_mov_b32_e32 v2, 0
	v_mov_b32_e32 v0, s8
	v_bfe_u32 v5, v49, 16, 1
	v_mov_b32_e32 v7, 0x7fc0
	s_waitcnt lgkmcnt(0)
	s_lshr_b32 s0, s0, 16
	v_mad_u64_u32 v[0:1], s[0:1], s0, v0, v[1:2]
	s_movk_i32 s0, 0x7fff
	v_add3_u32 v2, v49, v5, s0
	v_mul_lo_u32 v5, v1, s14
	v_mul_lo_u32 v6, v0, s15
	v_mad_u64_u32 v[0:1], s[0:1], v0, s14, 0
	v_lshrrev_b32_e32 v2, 16, v2
	v_cmp_o_f32_e32 vcc, v49, v49
	v_add3_u32 v1, v1, v6, v5
	v_lshlrev_b64 v[0:1], 1, v[0:1]
	v_cndmask_b32_e32 v2, v7, v2, vcc
	v_mov_b32_e32 v5, s3
	v_add_co_u32_e32 v6, vcc, s2, v0
	v_addc_co_u32_e32 v5, vcc, v5, v1, vcc
	v_lshlrev_b64 v[0:1], 1, v[3:4]
	v_add_co_u32_e32 v0, vcc, v6, v0
	v_addc_co_u32_e32 v1, vcc, v5, v1, vcc
	global_store_short v[0:1], v2, off
.LBB201_85:
	s_endpgm
	.section	.rodata,"a",@progbits
	.p2align	6, 0x0
	.amdhsa_kernel _ZN2at6native12_GLOBAL__N_135GammaBetaBackwardCUDAKernelTemplateIN3c108BFloat16EfLj32ELj1ELj8ELb1ELb0ELb1EEEvllPKT_S7_PKT0_SA_PS5_SB_
		.amdhsa_group_segment_fixed_size 0
		.amdhsa_private_segment_fixed_size 0
		.amdhsa_kernarg_size 320
		.amdhsa_user_sgpr_count 6
		.amdhsa_user_sgpr_private_segment_buffer 1
		.amdhsa_user_sgpr_dispatch_ptr 0
		.amdhsa_user_sgpr_queue_ptr 0
		.amdhsa_user_sgpr_kernarg_segment_ptr 1
		.amdhsa_user_sgpr_dispatch_id 0
		.amdhsa_user_sgpr_flat_scratch_init 0
		.amdhsa_user_sgpr_private_segment_size 0
		.amdhsa_uses_dynamic_stack 0
		.amdhsa_system_sgpr_private_segment_wavefront_offset 0
		.amdhsa_system_sgpr_workgroup_id_x 1
		.amdhsa_system_sgpr_workgroup_id_y 1
		.amdhsa_system_sgpr_workgroup_id_z 0
		.amdhsa_system_sgpr_workgroup_info 0
		.amdhsa_system_vgpr_workitem_id 1
		.amdhsa_next_free_vgpr 91
		.amdhsa_next_free_sgpr 36
		.amdhsa_reserve_vcc 1
		.amdhsa_reserve_flat_scratch 0
		.amdhsa_float_round_mode_32 0
		.amdhsa_float_round_mode_16_64 0
		.amdhsa_float_denorm_mode_32 3
		.amdhsa_float_denorm_mode_16_64 3
		.amdhsa_dx10_clamp 1
		.amdhsa_ieee_mode 1
		.amdhsa_fp16_overflow 0
		.amdhsa_exception_fp_ieee_invalid_op 0
		.amdhsa_exception_fp_denorm_src 0
		.amdhsa_exception_fp_ieee_div_zero 0
		.amdhsa_exception_fp_ieee_overflow 0
		.amdhsa_exception_fp_ieee_underflow 0
		.amdhsa_exception_fp_ieee_inexact 0
		.amdhsa_exception_int_div_zero 0
	.end_amdhsa_kernel
	.section	.text._ZN2at6native12_GLOBAL__N_135GammaBetaBackwardCUDAKernelTemplateIN3c108BFloat16EfLj32ELj1ELj8ELb1ELb0ELb1EEEvllPKT_S7_PKT0_SA_PS5_SB_,"axG",@progbits,_ZN2at6native12_GLOBAL__N_135GammaBetaBackwardCUDAKernelTemplateIN3c108BFloat16EfLj32ELj1ELj8ELb1ELb0ELb1EEEvllPKT_S7_PKT0_SA_PS5_SB_,comdat
.Lfunc_end201:
	.size	_ZN2at6native12_GLOBAL__N_135GammaBetaBackwardCUDAKernelTemplateIN3c108BFloat16EfLj32ELj1ELj8ELb1ELb0ELb1EEEvllPKT_S7_PKT0_SA_PS5_SB_, .Lfunc_end201-_ZN2at6native12_GLOBAL__N_135GammaBetaBackwardCUDAKernelTemplateIN3c108BFloat16EfLj32ELj1ELj8ELb1ELb0ELb1EEEvllPKT_S7_PKT0_SA_PS5_SB_
                                        ; -- End function
	.set _ZN2at6native12_GLOBAL__N_135GammaBetaBackwardCUDAKernelTemplateIN3c108BFloat16EfLj32ELj1ELj8ELb1ELb0ELb1EEEvllPKT_S7_PKT0_SA_PS5_SB_.num_vgpr, 91
	.set _ZN2at6native12_GLOBAL__N_135GammaBetaBackwardCUDAKernelTemplateIN3c108BFloat16EfLj32ELj1ELj8ELb1ELb0ELb1EEEvllPKT_S7_PKT0_SA_PS5_SB_.num_agpr, 0
	.set _ZN2at6native12_GLOBAL__N_135GammaBetaBackwardCUDAKernelTemplateIN3c108BFloat16EfLj32ELj1ELj8ELb1ELb0ELb1EEEvllPKT_S7_PKT0_SA_PS5_SB_.numbered_sgpr, 36
	.set _ZN2at6native12_GLOBAL__N_135GammaBetaBackwardCUDAKernelTemplateIN3c108BFloat16EfLj32ELj1ELj8ELb1ELb0ELb1EEEvllPKT_S7_PKT0_SA_PS5_SB_.num_named_barrier, 0
	.set _ZN2at6native12_GLOBAL__N_135GammaBetaBackwardCUDAKernelTemplateIN3c108BFloat16EfLj32ELj1ELj8ELb1ELb0ELb1EEEvllPKT_S7_PKT0_SA_PS5_SB_.private_seg_size, 0
	.set _ZN2at6native12_GLOBAL__N_135GammaBetaBackwardCUDAKernelTemplateIN3c108BFloat16EfLj32ELj1ELj8ELb1ELb0ELb1EEEvllPKT_S7_PKT0_SA_PS5_SB_.uses_vcc, 1
	.set _ZN2at6native12_GLOBAL__N_135GammaBetaBackwardCUDAKernelTemplateIN3c108BFloat16EfLj32ELj1ELj8ELb1ELb0ELb1EEEvllPKT_S7_PKT0_SA_PS5_SB_.uses_flat_scratch, 0
	.set _ZN2at6native12_GLOBAL__N_135GammaBetaBackwardCUDAKernelTemplateIN3c108BFloat16EfLj32ELj1ELj8ELb1ELb0ELb1EEEvllPKT_S7_PKT0_SA_PS5_SB_.has_dyn_sized_stack, 0
	.set _ZN2at6native12_GLOBAL__N_135GammaBetaBackwardCUDAKernelTemplateIN3c108BFloat16EfLj32ELj1ELj8ELb1ELb0ELb1EEEvllPKT_S7_PKT0_SA_PS5_SB_.has_recursion, 0
	.set _ZN2at6native12_GLOBAL__N_135GammaBetaBackwardCUDAKernelTemplateIN3c108BFloat16EfLj32ELj1ELj8ELb1ELb0ELb1EEEvllPKT_S7_PKT0_SA_PS5_SB_.has_indirect_call, 0
	.section	.AMDGPU.csdata,"",@progbits
; Kernel info:
; codeLenInByte = 6332
; TotalNumSgprs: 40
; NumVgprs: 91
; ScratchSize: 0
; MemoryBound: 0
; FloatMode: 240
; IeeeMode: 1
; LDSByteSize: 0 bytes/workgroup (compile time only)
; SGPRBlocks: 4
; VGPRBlocks: 22
; NumSGPRsForWavesPerEU: 40
; NumVGPRsForWavesPerEU: 91
; Occupancy: 2
; WaveLimiterHint : 0
; COMPUTE_PGM_RSRC2:SCRATCH_EN: 0
; COMPUTE_PGM_RSRC2:USER_SGPR: 6
; COMPUTE_PGM_RSRC2:TRAP_HANDLER: 0
; COMPUTE_PGM_RSRC2:TGID_X_EN: 1
; COMPUTE_PGM_RSRC2:TGID_Y_EN: 1
; COMPUTE_PGM_RSRC2:TGID_Z_EN: 0
; COMPUTE_PGM_RSRC2:TIDIG_COMP_CNT: 1
	.section	.text._ZN2at6native12_GLOBAL__N_135GammaBetaBackwardCUDAKernelTemplateIN3c108BFloat16EfLj32ELj8ELj64ELb0ELb1ELb1EEEvllPKT_S7_PKT0_SA_PS5_SB_,"axG",@progbits,_ZN2at6native12_GLOBAL__N_135GammaBetaBackwardCUDAKernelTemplateIN3c108BFloat16EfLj32ELj8ELj64ELb0ELb1ELb1EEEvllPKT_S7_PKT0_SA_PS5_SB_,comdat
	.globl	_ZN2at6native12_GLOBAL__N_135GammaBetaBackwardCUDAKernelTemplateIN3c108BFloat16EfLj32ELj8ELj64ELb0ELb1ELb1EEEvllPKT_S7_PKT0_SA_PS5_SB_ ; -- Begin function _ZN2at6native12_GLOBAL__N_135GammaBetaBackwardCUDAKernelTemplateIN3c108BFloat16EfLj32ELj8ELj64ELb0ELb1ELb1EEEvllPKT_S7_PKT0_SA_PS5_SB_
	.p2align	8
	.type	_ZN2at6native12_GLOBAL__N_135GammaBetaBackwardCUDAKernelTemplateIN3c108BFloat16EfLj32ELj8ELj64ELb0ELb1ELb1EEEvllPKT_S7_PKT0_SA_PS5_SB_,@function
_ZN2at6native12_GLOBAL__N_135GammaBetaBackwardCUDAKernelTemplateIN3c108BFloat16EfLj32ELj8ELj64ELb0ELb1ELb1EEEvllPKT_S7_PKT0_SA_PS5_SB_: ; @_ZN2at6native12_GLOBAL__N_135GammaBetaBackwardCUDAKernelTemplateIN3c108BFloat16EfLj32ELj8ELj64ELb0ELb1ELb1EEEvllPKT_S7_PKT0_SA_PS5_SB_
; %bb.0:
	s_load_dwordx4 s[8:11], s[4:5], 0x0
	s_lshl_b32 s18, s7, 6
	s_mov_b32 s19, 0
	v_mov_b32_e32 v2, s18
	v_mov_b32_e32 v3, s19
	s_waitcnt lgkmcnt(0)
	v_cmp_gt_i64_e32 vcc, s[8:9], v[2:3]
	s_cbranch_vccnz .LBB202_2
; %bb.1:
	s_mov_b64 s[0:1], 0
	s_branch .LBB202_3
.LBB202_2:
	s_mov_b64 s[0:1], -1
.LBB202_3:
	s_load_dwordx2 s[16:17], s[4:5], 0x30
	v_mov_b32_e32 v3, 0
	s_andn2_b64 vcc, exec, s[0:1]
	v_mbcnt_lo_u32_b32 v8, -1, 0
	s_cbranch_vccnz .LBB202_10
; %bb.4:
	s_load_dword s0, s[4:5], 0x4c
	s_load_dword s7, s[4:5], 0x44
	s_load_dwordx4 s[12:15], s[4:5], 0x10
	s_load_dwordx2 s[2:3], s[4:5], 0x28
	v_lshlrev_b32_e32 v4, 3, v1
	s_waitcnt lgkmcnt(0)
	s_and_b32 s0, s0, 0xffff
	v_mad_u32_u24 v2, v1, s0, v0
	v_and_b32_e32 v5, 63, v2
	v_add_co_u32_e32 v10, vcc, s18, v4
	v_addc_co_u32_e64 v11, s[20:21], 0, 0, vcc
	v_add_co_u32_e32 v4, vcc, v10, v5
	v_cmp_gt_u32_e64 s[0:1], 8, v5
	v_mbcnt_hi_u32_b32 v6, -1, v8
	v_addc_co_u32_e32 v5, vcc, 0, v11, vcc
	v_mul_lo_u32 v14, s11, v10
	v_mul_lo_u32 v15, s10, v11
	v_mad_u64_u32 v[11:12], s[20:21], s10, v10, 0
	v_lshlrev_b32_e32 v6, 2, v6
	v_and_b32_e32 v9, 0x100, v6
	v_lshlrev_b64 v[6:7], 2, v[4:5]
	v_mov_b32_e32 v3, 0
	v_lshl_add_u32 v2, s6, 5, v0
	v_mov_b32_e32 v13, s3
	v_add_co_u32_e32 v6, vcc, s2, v6
	v_add3_u32 v12, v12, v15, v14
	v_addc_co_u32_e32 v7, vcc, v13, v7, vcc
	v_lshlrev_b64 v[11:12], 1, v[11:12]
	v_lshlrev_b64 v[13:14], 1, v[2:3]
	s_lshl_b32 s4, s7, 6
	s_mul_i32 s2, s11, s4
	s_mul_hi_u32 s3, s10, s4
	s_mov_b32 s5, 0
	v_add_co_u32_e32 v2, vcc, v11, v13
	s_add_i32 s3, s3, s2
	s_mul_i32 s2, s10, s4
	v_or_b32_e32 v10, 20, v9
	v_addc_co_u32_e32 v11, vcc, v12, v14, vcc
	v_or_b32_e32 v12, 24, v9
	v_or_b32_e32 v13, 28, v9
	s_lshl_b64 s[20:21], s[4:5], 2
	s_lshl_b64 s[22:23], s[2:3], 1
	;; [unrolled: 1-line block ×3, first 2 shown]
	s_branch .LBB202_7
.LBB202_5:                              ;   in Loop: Header=BB202_7 Depth=1
	s_or_b64 exec, exec, s[24:25]
.LBB202_6:                              ;   in Loop: Header=BB202_7 Depth=1
	s_or_b64 exec, exec, s[2:3]
	v_mov_b32_e32 v16, s13
	v_add_co_u32_e32 v15, vcc, s12, v2
	v_addc_co_u32_e32 v16, vcc, v16, v11, vcc
	v_mov_b32_e32 v18, s15
	v_add_co_u32_e32 v17, vcc, s14, v2
	v_addc_co_u32_e32 v18, vcc, v18, v11, vcc
	v_mov_b32_e32 v21, s11
	v_add_co_u32_e32 v19, vcc, s10, v17
	v_addc_co_u32_e32 v20, vcc, v18, v21, vcc
	global_load_ushort v22, v[17:18], off
	v_add_co_u32_e32 v17, vcc, s10, v15
	global_load_ushort v15, v[15:16], off
	v_addc_co_u32_e32 v18, vcc, v16, v21, vcc
	s_add_u32 s18, s18, s4
	s_addc_u32 s19, s19, 0
	v_add_co_u32_e64 v6, s[2:3], s20, v6
	s_waitcnt vmcnt(1)
	v_lshlrev_b32_e32 v16, 16, v22
	global_load_ushort v22, v[19:20], off
	s_waitcnt vmcnt(1)
	v_lshlrev_b32_e32 v15, 16, v15
	v_mul_f32_e32 v15, v15, v16
	ds_bpermute_b32 v16, v9, v14
	s_waitcnt lgkmcnt(0)
	v_fmac_f32_e32 v3, v15, v16
	v_add_co_u32_e32 v15, vcc, s10, v19
	v_addc_co_u32_e32 v16, vcc, v20, v21, vcc
	v_add_co_u32_e32 v19, vcc, s10, v17
	global_load_ushort v17, v[17:18], off
	v_addc_co_u32_e32 v20, vcc, v18, v21, vcc
	s_waitcnt vmcnt(1)
	v_lshlrev_b32_e32 v18, 16, v22
	global_load_ushort v22, v[15:16], off
	s_waitcnt vmcnt(1)
	v_lshlrev_b32_e32 v17, 16, v17
	v_mul_f32_e32 v17, v17, v18
	v_or_b32_e32 v18, 4, v9
	ds_bpermute_b32 v18, v18, v14
	s_waitcnt lgkmcnt(0)
	v_fmac_f32_e32 v3, v17, v18
	v_add_co_u32_e32 v17, vcc, s10, v15
	v_addc_co_u32_e32 v18, vcc, v16, v21, vcc
	v_add_co_u32_e32 v15, vcc, s10, v19
	global_load_ushort v19, v[19:20], off
	v_addc_co_u32_e32 v16, vcc, v20, v21, vcc
	s_waitcnt vmcnt(1)
	v_lshlrev_b32_e32 v20, 16, v22
	global_load_ushort v22, v[17:18], off
	s_waitcnt vmcnt(1)
	v_lshlrev_b32_e32 v19, 16, v19
	v_mul_f32_e32 v19, v19, v20
	v_or_b32_e32 v20, 8, v9
	ds_bpermute_b32 v20, v20, v14
	s_waitcnt lgkmcnt(0)
	v_fmac_f32_e32 v3, v19, v20
	v_add_co_u32_e32 v19, vcc, s10, v17
	v_addc_co_u32_e32 v20, vcc, v18, v21, vcc
	v_add_co_u32_e32 v17, vcc, s10, v15
	global_load_ushort v15, v[15:16], off
	v_addc_co_u32_e32 v18, vcc, v16, v21, vcc
	s_waitcnt vmcnt(1)
	v_lshlrev_b32_e32 v16, 16, v22
	global_load_ushort v22, v[19:20], off
	s_waitcnt vmcnt(1)
	v_lshlrev_b32_e32 v15, 16, v15
	v_mul_f32_e32 v15, v15, v16
	v_or_b32_e32 v16, 12, v9
	ds_bpermute_b32 v16, v16, v14
	s_waitcnt lgkmcnt(0)
	v_fmac_f32_e32 v3, v15, v16
	v_add_co_u32_e32 v15, vcc, s10, v19
	v_addc_co_u32_e32 v16, vcc, v20, v21, vcc
	v_add_co_u32_e32 v19, vcc, s10, v17
	global_load_ushort v17, v[17:18], off
	v_addc_co_u32_e32 v20, vcc, v18, v21, vcc
	s_waitcnt vmcnt(1)
	v_lshlrev_b32_e32 v18, 16, v22
	global_load_ushort v22, v[15:16], off
	s_waitcnt vmcnt(1)
	v_lshlrev_b32_e32 v17, 16, v17
	v_mul_f32_e32 v17, v17, v18
	v_or_b32_e32 v18, 16, v9
	ds_bpermute_b32 v18, v18, v14
	s_waitcnt lgkmcnt(0)
	v_fmac_f32_e32 v3, v17, v18
	v_add_co_u32_e32 v17, vcc, s10, v15
	v_addc_co_u32_e32 v18, vcc, v16, v21, vcc
	v_add_co_u32_e32 v15, vcc, s10, v19
	global_load_ushort v19, v[19:20], off
	v_addc_co_u32_e32 v16, vcc, v20, v21, vcc
	s_waitcnt vmcnt(1)
	v_lshlrev_b32_e32 v20, 16, v22
	global_load_ushort v22, v[17:18], off
	s_waitcnt vmcnt(1)
	v_lshlrev_b32_e32 v19, 16, v19
	v_mul_f32_e32 v19, v19, v20
	ds_bpermute_b32 v20, v10, v14
	s_waitcnt lgkmcnt(0)
	v_fmac_f32_e32 v3, v19, v20
	v_add_co_u32_e32 v19, vcc, s10, v17
	v_addc_co_u32_e32 v20, vcc, v18, v21, vcc
	v_add_co_u32_e32 v17, vcc, s10, v15
	global_load_ushort v15, v[15:16], off
	v_addc_co_u32_e32 v18, vcc, v16, v21, vcc
	s_waitcnt vmcnt(1)
	v_lshlrev_b32_e32 v16, 16, v22
	s_waitcnt vmcnt(0)
	v_lshlrev_b32_e32 v15, 16, v15
	v_mul_f32_e32 v15, v15, v16
	ds_bpermute_b32 v16, v12, v14
	ds_bpermute_b32 v14, v13, v14
	s_waitcnt lgkmcnt(1)
	v_fmac_f32_e32 v3, v15, v16
	global_load_ushort v15, v[19:20], off
	global_load_ushort v16, v[17:18], off
	s_waitcnt vmcnt(1)
	v_lshlrev_b32_e32 v15, 16, v15
	s_waitcnt vmcnt(0)
	v_lshlrev_b32_e32 v16, 16, v16
	v_mul_f32_e32 v15, v16, v15
	s_waitcnt lgkmcnt(0)
	v_fmac_f32_e32 v3, v15, v14
	v_mov_b32_e32 v15, s9
	v_mov_b32_e32 v14, s8
	v_cmp_lt_i64_e32 vcc, s[18:19], v[14:15]
	v_mov_b32_e32 v14, s21
	v_addc_co_u32_e64 v7, s[2:3], v7, v14, s[2:3]
	v_add_co_u32_e64 v2, s[2:3], s22, v2
	v_mov_b32_e32 v14, s23
	v_addc_co_u32_e64 v11, s[2:3], v11, v14, s[2:3]
	v_add_co_u32_e64 v4, s[2:3], s4, v4
	v_addc_co_u32_e64 v5, s[2:3], 0, v5, s[2:3]
	s_cbranch_vccz .LBB202_10
.LBB202_7:                              ; =>This Inner Loop Header: Depth=1
	v_mov_b32_e32 v14, 0
	s_and_saveexec_b64 s[2:3], s[0:1]
	s_cbranch_execz .LBB202_6
; %bb.8:                                ;   in Loop: Header=BB202_7 Depth=1
	v_cmp_gt_i64_e32 vcc, s[8:9], v[4:5]
	v_mov_b32_e32 v14, 0
	s_and_saveexec_b64 s[24:25], vcc
	s_cbranch_execz .LBB202_5
; %bb.9:                                ;   in Loop: Header=BB202_7 Depth=1
	global_load_dword v14, v[6:7], off
	s_branch .LBB202_5
.LBB202_10:
	v_mad_u32_u24 v2, v1, 33, v0
	v_lshl_add_u32 v4, v2, 2, 0
	ds_write_b32 v4, v3
	v_mov_b32_e32 v3, 0
	ds_write_b32 v4, v3 offset:1056
	v_sub_u32_e32 v3, v2, v1
	s_movk_i32 s0, 0x800
	v_cmp_gt_u32_e32 vcc, s0, v3
	s_waitcnt lgkmcnt(0)
	s_barrier
	s_and_saveexec_b64 s[0:1], vcc
	s_cbranch_execz .LBB202_50
; %bb.11:
	v_and_b32_e32 v2, 63, v3
	v_lshrrev_b32_e32 v1, 6, v3
	v_cmp_gt_u32_e64 s[0:1], 8, v2
	v_mul_u32_u24_e32 v2, 33, v2
                                        ; implicit-def: $vgpr5
	s_and_saveexec_b64 s[2:3], s[0:1]
; %bb.12:
	v_lshlrev_b32_e32 v4, 2, v1
	v_lshlrev_b32_e32 v5, 2, v2
	v_add3_u32 v4, 0, v4, v5
	ds_read_b32 v5, v4
; %bb.13:
	s_or_b64 exec, exec, s[2:3]
	v_mbcnt_hi_u32_b32 v6, -1, v8
	v_and_b32_e32 v4, 64, v6
	v_add_u32_e32 v7, 64, v4
	v_xor_b32_e32 v4, 4, v6
	v_cmp_lt_i32_e32 vcc, v4, v7
	v_cndmask_b32_e32 v4, v6, v4, vcc
	v_lshlrev_b32_e32 v4, 2, v4
	s_waitcnt lgkmcnt(0)
	ds_bpermute_b32 v8, v4, v5
	v_xor_b32_e32 v9, 2, v6
	v_cmp_lt_i32_e32 vcc, v9, v7
	s_cmp_lg_u64 s[16:17], 0
	s_mov_b32 s7, 0
	s_waitcnt lgkmcnt(0)
	v_add_f32_e32 v8, v5, v8
	v_cndmask_b32_e32 v5, v6, v9, vcc
	v_lshlrev_b32_e32 v5, 2, v5
	ds_bpermute_b32 v9, v5, v8
	v_cmp_eq_u32_e32 vcc, 0, v0
	v_xor_b32_e32 v0, 1, v6
	v_cmp_lt_i32_e64 s[2:3], v0, v7
	v_cndmask_b32_e64 v0, v6, v0, s[2:3]
	s_waitcnt lgkmcnt(0)
	v_add_f32_e32 v8, v8, v9
	v_lshlrev_b32_e32 v0, 2, v0
	ds_bpermute_b32 v6, v0, v8
	s_cselect_b64 s[4:5], -1, 0
	s_and_b64 s[4:5], vcc, s[4:5]
	s_lshl_b64 s[2:3], s[6:7], 6
	s_add_u32 s2, s16, s2
	s_addc_u32 s3, s17, s3
	s_waitcnt lgkmcnt(0)
	v_add_f32_e32 v6, v8, v6
	s_and_saveexec_b64 s[6:7], s[4:5]
	s_cbranch_execz .LBB202_15
; %bb.14:
	v_bfe_u32 v7, v6, 16, 1
	s_movk_i32 s8, 0x7fff
	v_add3_u32 v7, v6, v7, s8
	v_cmp_o_f32_e32 vcc, v6, v6
	v_mov_b32_e32 v8, 0x7fc0
	v_cndmask_b32_sdwa v7, v8, v7, vcc dst_sel:DWORD dst_unused:UNUSED_PAD src0_sel:DWORD src1_sel:WORD_1
	v_lshlrev_b32_e32 v8, 1, v1
	global_store_short v8, v7, s[2:3]
.LBB202_15:
	s_or_b64 exec, exec, s[6:7]
	s_movk_i32 s6, 0x700
	v_cmp_gt_u32_e32 vcc, s6, v3
	s_and_b64 exec, exec, vcc
	s_cbranch_execz .LBB202_50
; %bb.16:
	s_and_saveexec_b64 s[6:7], s[0:1]
; %bb.17:
	v_lshlrev_b32_e32 v6, 2, v1
	v_lshlrev_b32_e32 v7, 2, v2
	v_add3_u32 v6, 0, v6, v7
	ds_read_b32 v6, v6 offset:16
; %bb.18:
	s_or_b64 exec, exec, s[6:7]
	s_waitcnt lgkmcnt(0)
	ds_bpermute_b32 v7, v4, v6
	s_waitcnt lgkmcnt(0)
	v_add_f32_e32 v6, v6, v7
	ds_bpermute_b32 v7, v5, v6
	s_waitcnt lgkmcnt(0)
	v_add_f32_e32 v6, v6, v7
	ds_bpermute_b32 v7, v0, v6
	s_waitcnt lgkmcnt(0)
	v_add_f32_e32 v6, v6, v7
	s_and_saveexec_b64 s[6:7], s[4:5]
	s_cbranch_execz .LBB202_20
; %bb.19:
	v_bfe_u32 v7, v6, 16, 1
	s_movk_i32 s8, 0x7fff
	v_add3_u32 v7, v6, v7, s8
	v_cmp_o_f32_e32 vcc, v6, v6
	v_mov_b32_e32 v8, 0x7fc0
	v_cndmask_b32_sdwa v7, v8, v7, vcc dst_sel:DWORD dst_unused:UNUSED_PAD src0_sel:DWORD src1_sel:WORD_1
	v_lshlrev_b32_e32 v8, 1, v1
	global_store_short v8, v7, s[2:3] offset:8
.LBB202_20:
	s_or_b64 exec, exec, s[6:7]
	s_movk_i32 s6, 0x600
	v_cmp_gt_u32_e32 vcc, s6, v3
	s_and_b64 exec, exec, vcc
	s_cbranch_execz .LBB202_50
; %bb.21:
	s_and_saveexec_b64 s[6:7], s[0:1]
; %bb.22:
	v_lshlrev_b32_e32 v6, 2, v1
	v_lshlrev_b32_e32 v7, 2, v2
	v_add3_u32 v6, 0, v6, v7
	ds_read_b32 v6, v6 offset:32
; %bb.23:
	s_or_b64 exec, exec, s[6:7]
	s_waitcnt lgkmcnt(0)
	ds_bpermute_b32 v7, v4, v6
	s_waitcnt lgkmcnt(0)
	v_add_f32_e32 v6, v6, v7
	ds_bpermute_b32 v7, v5, v6
	s_waitcnt lgkmcnt(0)
	v_add_f32_e32 v6, v6, v7
	ds_bpermute_b32 v7, v0, v6
	s_waitcnt lgkmcnt(0)
	v_add_f32_e32 v6, v6, v7
	s_and_saveexec_b64 s[6:7], s[4:5]
	s_cbranch_execz .LBB202_25
; %bb.24:
	v_bfe_u32 v7, v6, 16, 1
	s_movk_i32 s8, 0x7fff
	v_add3_u32 v7, v6, v7, s8
	v_cmp_o_f32_e32 vcc, v6, v6
	v_mov_b32_e32 v8, 0x7fc0
	v_cndmask_b32_sdwa v7, v8, v7, vcc dst_sel:DWORD dst_unused:UNUSED_PAD src0_sel:DWORD src1_sel:WORD_1
	v_lshlrev_b32_e32 v8, 1, v1
	global_store_short v8, v7, s[2:3] offset:16
.LBB202_25:
	;; [unrolled: 36-line block ×6, first 2 shown]
	s_or_b64 exec, exec, s[6:7]
	s_movk_i32 s6, 0x100
	v_cmp_gt_u32_e32 vcc, s6, v3
	s_and_b64 exec, exec, vcc
	s_cbranch_execz .LBB202_50
; %bb.46:
	s_and_saveexec_b64 s[6:7], s[0:1]
; %bb.47:
	v_lshlrev_b32_e32 v3, 2, v1
	v_lshlrev_b32_e32 v2, 2, v2
	v_add3_u32 v2, 0, v3, v2
	ds_read_b32 v6, v2 offset:112
; %bb.48:
	s_or_b64 exec, exec, s[6:7]
	s_waitcnt lgkmcnt(0)
	ds_bpermute_b32 v2, v4, v6
	s_waitcnt lgkmcnt(0)
	v_add_f32_e32 v2, v6, v2
	ds_bpermute_b32 v3, v5, v2
	s_waitcnt lgkmcnt(0)
	v_add_f32_e32 v2, v2, v3
	ds_bpermute_b32 v0, v0, v2
	s_and_saveexec_b64 s[0:1], s[4:5]
	s_xor_b64 s[0:1], exec, s[0:1]
	s_cbranch_execz .LBB202_50
; %bb.49:
	s_waitcnt lgkmcnt(0)
	v_add_f32_e32 v0, v2, v0
	v_bfe_u32 v2, v0, 16, 1
	s_movk_i32 s0, 0x7fff
	v_add3_u32 v2, v0, v2, s0
	v_cmp_o_f32_e32 vcc, v0, v0
	v_mov_b32_e32 v0, 0x7fc0
	v_cndmask_b32_sdwa v0, v0, v2, vcc dst_sel:DWORD dst_unused:UNUSED_PAD src0_sel:DWORD src1_sel:WORD_1
	v_lshlrev_b32_e32 v1, 1, v1
	global_store_short v1, v0, s[2:3] offset:56
.LBB202_50:
	s_endpgm
	.section	.rodata,"a",@progbits
	.p2align	6, 0x0
	.amdhsa_kernel _ZN2at6native12_GLOBAL__N_135GammaBetaBackwardCUDAKernelTemplateIN3c108BFloat16EfLj32ELj8ELj64ELb0ELb1ELb1EEEvllPKT_S7_PKT0_SA_PS5_SB_
		.amdhsa_group_segment_fixed_size 0
		.amdhsa_private_segment_fixed_size 0
		.amdhsa_kernarg_size 320
		.amdhsa_user_sgpr_count 6
		.amdhsa_user_sgpr_private_segment_buffer 1
		.amdhsa_user_sgpr_dispatch_ptr 0
		.amdhsa_user_sgpr_queue_ptr 0
		.amdhsa_user_sgpr_kernarg_segment_ptr 1
		.amdhsa_user_sgpr_dispatch_id 0
		.amdhsa_user_sgpr_flat_scratch_init 0
		.amdhsa_user_sgpr_private_segment_size 0
		.amdhsa_uses_dynamic_stack 0
		.amdhsa_system_sgpr_private_segment_wavefront_offset 0
		.amdhsa_system_sgpr_workgroup_id_x 1
		.amdhsa_system_sgpr_workgroup_id_y 1
		.amdhsa_system_sgpr_workgroup_id_z 0
		.amdhsa_system_sgpr_workgroup_info 0
		.amdhsa_system_vgpr_workitem_id 1
		.amdhsa_next_free_vgpr 23
		.amdhsa_next_free_sgpr 26
		.amdhsa_reserve_vcc 1
		.amdhsa_reserve_flat_scratch 0
		.amdhsa_float_round_mode_32 0
		.amdhsa_float_round_mode_16_64 0
		.amdhsa_float_denorm_mode_32 3
		.amdhsa_float_denorm_mode_16_64 3
		.amdhsa_dx10_clamp 1
		.amdhsa_ieee_mode 1
		.amdhsa_fp16_overflow 0
		.amdhsa_exception_fp_ieee_invalid_op 0
		.amdhsa_exception_fp_denorm_src 0
		.amdhsa_exception_fp_ieee_div_zero 0
		.amdhsa_exception_fp_ieee_overflow 0
		.amdhsa_exception_fp_ieee_underflow 0
		.amdhsa_exception_fp_ieee_inexact 0
		.amdhsa_exception_int_div_zero 0
	.end_amdhsa_kernel
	.section	.text._ZN2at6native12_GLOBAL__N_135GammaBetaBackwardCUDAKernelTemplateIN3c108BFloat16EfLj32ELj8ELj64ELb0ELb1ELb1EEEvllPKT_S7_PKT0_SA_PS5_SB_,"axG",@progbits,_ZN2at6native12_GLOBAL__N_135GammaBetaBackwardCUDAKernelTemplateIN3c108BFloat16EfLj32ELj8ELj64ELb0ELb1ELb1EEEvllPKT_S7_PKT0_SA_PS5_SB_,comdat
.Lfunc_end202:
	.size	_ZN2at6native12_GLOBAL__N_135GammaBetaBackwardCUDAKernelTemplateIN3c108BFloat16EfLj32ELj8ELj64ELb0ELb1ELb1EEEvllPKT_S7_PKT0_SA_PS5_SB_, .Lfunc_end202-_ZN2at6native12_GLOBAL__N_135GammaBetaBackwardCUDAKernelTemplateIN3c108BFloat16EfLj32ELj8ELj64ELb0ELb1ELb1EEEvllPKT_S7_PKT0_SA_PS5_SB_
                                        ; -- End function
	.set _ZN2at6native12_GLOBAL__N_135GammaBetaBackwardCUDAKernelTemplateIN3c108BFloat16EfLj32ELj8ELj64ELb0ELb1ELb1EEEvllPKT_S7_PKT0_SA_PS5_SB_.num_vgpr, 23
	.set _ZN2at6native12_GLOBAL__N_135GammaBetaBackwardCUDAKernelTemplateIN3c108BFloat16EfLj32ELj8ELj64ELb0ELb1ELb1EEEvllPKT_S7_PKT0_SA_PS5_SB_.num_agpr, 0
	.set _ZN2at6native12_GLOBAL__N_135GammaBetaBackwardCUDAKernelTemplateIN3c108BFloat16EfLj32ELj8ELj64ELb0ELb1ELb1EEEvllPKT_S7_PKT0_SA_PS5_SB_.numbered_sgpr, 26
	.set _ZN2at6native12_GLOBAL__N_135GammaBetaBackwardCUDAKernelTemplateIN3c108BFloat16EfLj32ELj8ELj64ELb0ELb1ELb1EEEvllPKT_S7_PKT0_SA_PS5_SB_.num_named_barrier, 0
	.set _ZN2at6native12_GLOBAL__N_135GammaBetaBackwardCUDAKernelTemplateIN3c108BFloat16EfLj32ELj8ELj64ELb0ELb1ELb1EEEvllPKT_S7_PKT0_SA_PS5_SB_.private_seg_size, 0
	.set _ZN2at6native12_GLOBAL__N_135GammaBetaBackwardCUDAKernelTemplateIN3c108BFloat16EfLj32ELj8ELj64ELb0ELb1ELb1EEEvllPKT_S7_PKT0_SA_PS5_SB_.uses_vcc, 1
	.set _ZN2at6native12_GLOBAL__N_135GammaBetaBackwardCUDAKernelTemplateIN3c108BFloat16EfLj32ELj8ELj64ELb0ELb1ELb1EEEvllPKT_S7_PKT0_SA_PS5_SB_.uses_flat_scratch, 0
	.set _ZN2at6native12_GLOBAL__N_135GammaBetaBackwardCUDAKernelTemplateIN3c108BFloat16EfLj32ELj8ELj64ELb0ELb1ELb1EEEvllPKT_S7_PKT0_SA_PS5_SB_.has_dyn_sized_stack, 0
	.set _ZN2at6native12_GLOBAL__N_135GammaBetaBackwardCUDAKernelTemplateIN3c108BFloat16EfLj32ELj8ELj64ELb0ELb1ELb1EEEvllPKT_S7_PKT0_SA_PS5_SB_.has_recursion, 0
	.set _ZN2at6native12_GLOBAL__N_135GammaBetaBackwardCUDAKernelTemplateIN3c108BFloat16EfLj32ELj8ELj64ELb0ELb1ELb1EEEvllPKT_S7_PKT0_SA_PS5_SB_.has_indirect_call, 0
	.section	.AMDGPU.csdata,"",@progbits
; Kernel info:
; codeLenInByte = 2512
; TotalNumSgprs: 30
; NumVgprs: 23
; ScratchSize: 0
; MemoryBound: 0
; FloatMode: 240
; IeeeMode: 1
; LDSByteSize: 0 bytes/workgroup (compile time only)
; SGPRBlocks: 3
; VGPRBlocks: 5
; NumSGPRsForWavesPerEU: 30
; NumVGPRsForWavesPerEU: 23
; Occupancy: 10
; WaveLimiterHint : 0
; COMPUTE_PGM_RSRC2:SCRATCH_EN: 0
; COMPUTE_PGM_RSRC2:USER_SGPR: 6
; COMPUTE_PGM_RSRC2:TRAP_HANDLER: 0
; COMPUTE_PGM_RSRC2:TGID_X_EN: 1
; COMPUTE_PGM_RSRC2:TGID_Y_EN: 1
; COMPUTE_PGM_RSRC2:TGID_Z_EN: 0
; COMPUTE_PGM_RSRC2:TIDIG_COMP_CNT: 1
	.section	.text._ZN2at6native12_GLOBAL__N_135GammaBetaBackwardCUDAKernelTemplateIN3c108BFloat16EfLj32ELj8ELj64ELb0ELb0ELb1EEEvllPKT_S7_PKT0_SA_PS5_SB_,"axG",@progbits,_ZN2at6native12_GLOBAL__N_135GammaBetaBackwardCUDAKernelTemplateIN3c108BFloat16EfLj32ELj8ELj64ELb0ELb0ELb1EEEvllPKT_S7_PKT0_SA_PS5_SB_,comdat
	.globl	_ZN2at6native12_GLOBAL__N_135GammaBetaBackwardCUDAKernelTemplateIN3c108BFloat16EfLj32ELj8ELj64ELb0ELb0ELb1EEEvllPKT_S7_PKT0_SA_PS5_SB_ ; -- Begin function _ZN2at6native12_GLOBAL__N_135GammaBetaBackwardCUDAKernelTemplateIN3c108BFloat16EfLj32ELj8ELj64ELb0ELb0ELb1EEEvllPKT_S7_PKT0_SA_PS5_SB_
	.p2align	8
	.type	_ZN2at6native12_GLOBAL__N_135GammaBetaBackwardCUDAKernelTemplateIN3c108BFloat16EfLj32ELj8ELj64ELb0ELb0ELb1EEEvllPKT_S7_PKT0_SA_PS5_SB_,@function
_ZN2at6native12_GLOBAL__N_135GammaBetaBackwardCUDAKernelTemplateIN3c108BFloat16EfLj32ELj8ELj64ELb0ELb0ELb1EEEvllPKT_S7_PKT0_SA_PS5_SB_: ; @_ZN2at6native12_GLOBAL__N_135GammaBetaBackwardCUDAKernelTemplateIN3c108BFloat16EfLj32ELj8ELj64ELb0ELb0ELb1EEEvllPKT_S7_PKT0_SA_PS5_SB_
; %bb.0:
	s_load_dwordx8 s[12:19], s[4:5], 0x0
	s_load_dwordx2 s[10:11], s[4:5], 0x28
	s_lshl_b32 s20, s7, 6
	s_lshl_b32 s33, s6, 5
	s_mov_b32 s21, 0
	v_mov_b32_e32 v2, s20
	s_or_b32 s0, s33, 31
	v_mov_b32_e32 v3, s21
	v_mov_b32_e32 v48, s0
	;; [unrolled: 1-line block ×3, first 2 shown]
	s_waitcnt lgkmcnt(0)
	v_cmp_gt_i64_e64 s[0:1], s[12:13], v[2:3]
	v_cmp_le_i64_e32 vcc, s[14:15], v[48:49]
	v_cndmask_b32_e64 v2, 0, 1, s[0:1]
	v_cmp_ne_u32_e64 s[0:1], 1, v2
	s_cbranch_vccz .LBB203_49
; %bb.1:
	s_and_b64 vcc, exec, s[0:1]
	s_cbranch_vccnz .LBB203_50
; %bb.2:
	v_lshlrev_b32_e32 v21, 3, v1
	v_add_co_u32_e32 v9, vcc, s20, v21
	v_addc_co_u32_e64 v10, s[2:3], 0, 0, vcc
	v_mul_lo_u32 v7, s15, v9
	v_mul_lo_u32 v8, s14, v10
	v_mad_u64_u32 v[5:6], s[2:3], s14, v9, 0
	v_mov_b32_e32 v2, 0
	s_load_dword s7, s[4:5], 0x44
	v_add_u32_e32 v3, s33, v0
	v_mov_b32_e32 v4, v2
	v_add3_u32 v6, v6, v8, v7
	v_cmp_gt_i64_e64 s[2:3], s[14:15], v[3:4]
	v_lshlrev_b64 v[19:20], 1, v[3:4]
	v_lshlrev_b64 v[3:4], 1, v[5:6]
	s_add_u32 s22, s4, 64
	v_mov_b32_e32 v7, s17
	v_add_co_u32_e32 v22, vcc, s16, v3
	s_addc_u32 s23, s5, 0
	s_waitcnt lgkmcnt(0)
	s_lshl_b32 s7, s7, 6
	v_addc_co_u32_e32 v23, vcc, v7, v4, vcc
	s_mul_i32 s8, s15, s7
	s_mul_hi_u32 s9, s14, s7
	v_add_co_u32_e32 v7, vcc, 7, v9
	s_add_i32 s9, s9, s8
	s_mul_i32 s8, s14, s7
	v_addc_co_u32_e32 v8, vcc, 0, v10, vcc
	s_lshl_b64 s[24:25], s[8:9], 1
	v_mul_lo_u32 v12, s15, v7
	v_mul_lo_u32 v13, s14, v8
	v_mad_u64_u32 v[7:8], s[8:9], s14, v7, 0
	v_mov_b32_e32 v11, s19
	v_add_co_u32_e32 v24, vcc, s18, v3
	v_add3_u32 v8, v8, v13, v12
	v_addc_co_u32_e32 v25, vcc, v11, v4, vcc
	v_lshlrev_b64 v[3:4], 1, v[7:8]
	v_mov_b32_e32 v7, s17
	v_add_co_u32_e32 v26, vcc, s16, v3
	v_addc_co_u32_e32 v27, vcc, v7, v4, vcc
	v_add_co_u32_e32 v7, vcc, 6, v9
	v_addc_co_u32_e32 v8, vcc, 0, v10, vcc
	v_mul_lo_u32 v12, s15, v7
	v_mul_lo_u32 v13, s14, v8
	v_mad_u64_u32 v[7:8], s[8:9], s14, v7, 0
	v_add_co_u32_e32 v28, vcc, s18, v3
	v_add3_u32 v8, v8, v13, v12
	v_addc_co_u32_e32 v29, vcc, v11, v4, vcc
	v_lshlrev_b64 v[3:4], 1, v[7:8]
	v_mov_b32_e32 v7, s17
	v_add_co_u32_e32 v30, vcc, s16, v3
	v_addc_co_u32_e32 v31, vcc, v7, v4, vcc
	v_add_co_u32_e32 v7, vcc, 5, v9
	v_addc_co_u32_e32 v8, vcc, 0, v10, vcc
	v_mul_lo_u32 v12, s15, v7
	v_mul_lo_u32 v13, s14, v8
	v_mad_u64_u32 v[7:8], s[8:9], s14, v7, 0
	;; [unrolled: 12-line block ×5, first 2 shown]
	v_add_co_u32_e32 v44, vcc, s18, v3
	v_add3_u32 v8, v8, v10, v9
	v_addc_co_u32_e32 v45, vcc, v11, v4, vcc
	v_lshlrev_b64 v[3:4], 1, v[7:8]
	v_mov_b32_e32 v7, s17
	v_add_co_u32_e32 v46, vcc, s16, v3
	v_addc_co_u32_e32 v47, vcc, v7, v4, vcc
	v_mov_b32_e32 v7, s19
	v_add_co_u32_e32 v48, vcc, s18, v3
	v_addc_co_u32_e32 v50, vcc, v7, v4, vcc
	v_mov_b32_e32 v4, s15
	v_add_co_u32_e32 v3, vcc, s14, v5
	v_addc_co_u32_e32 v4, vcc, v6, v4, vcc
	v_lshlrev_b64 v[3:4], 1, v[3:4]
	v_mov_b32_e32 v5, s17
	v_add_co_u32_e32 v51, vcc, s16, v3
	v_addc_co_u32_e32 v52, vcc, v5, v4, vcc
	v_add_co_u32_e32 v53, vcc, s18, v3
	v_mbcnt_lo_u32_b32 v3, -1, 0
	v_mbcnt_hi_u32_b32 v3, -1, v3
	v_mov_b32_e32 v5, s19
	s_add_u32 s26, s20, 63
	v_lshlrev_b32_e32 v3, 2, v3
	v_addc_co_u32_e32 v54, vcc, v5, v4, vcc
	s_addc_u32 s27, 0, 0
	v_and_b32_e32 v55, 0x100, v3
	s_mov_b64 s[28:29], s[20:21]
	v_mov_b32_e32 v56, 0
.LBB203_3:                              ; =>This Inner Loop Header: Depth=1
	v_mov_b32_e32 v3, s12
	v_mov_b32_e32 v4, s13
	v_cmp_ge_i64_e32 vcc, s[26:27], v[3:4]
	v_mov_b32_e32 v3, s27
	v_add_co_u32_e64 v57, s[8:9], s26, v21
	v_addc_co_u32_e64 v58, s[8:9], 0, v3, s[8:9]
	s_mov_b64 s[8:9], -1
	s_and_b64 vcc, exec, vcc
                                        ; implicit-def: $vgpr3_vgpr4_vgpr5_vgpr6_vgpr7_vgpr8_vgpr9_vgpr10
                                        ; implicit-def: $vgpr49
                                        ; implicit-def: $vgpr11_vgpr12_vgpr13_vgpr14_vgpr15_vgpr16_vgpr17_vgpr18
                                        ; implicit-def: $vgpr3
	s_cbranch_vccz .LBB203_25
; %bb.4:                                ;   in Loop: Header=BB203_3 Depth=1
	s_load_dword s8, s[22:23], 0xc
	v_mov_b32_e32 v59, 0
	s_waitcnt lgkmcnt(0)
	s_and_b32 s8, s8, 0xffff
	v_mad_u32_u24 v3, v1, s8, v0
	v_and_b32_e32 v3, 63, v3
	v_cmp_gt_u32_e32 vcc, 8, v3
	s_and_saveexec_b64 s[8:9], vcc
	s_cbranch_execz .LBB203_8
; %bb.5:                                ;   in Loop: Header=BB203_3 Depth=1
	v_add_co_u32_e32 v3, vcc, v57, v3
	v_addc_co_u32_e32 v4, vcc, 0, v58, vcc
	v_add_co_u32_e32 v3, vcc, 0xffffffc1, v3
	v_addc_co_u32_e32 v4, vcc, -1, v4, vcc
	v_cmp_gt_i64_e32 vcc, s[12:13], v[3:4]
	v_mov_b32_e32 v59, 0
	s_and_saveexec_b64 s[30:31], vcc
	s_cbranch_execz .LBB203_7
; %bb.6:                                ;   in Loop: Header=BB203_3 Depth=1
	v_lshlrev_b64 v[3:4], 2, v[3:4]
	v_mov_b32_e32 v5, s11
	v_add_co_u32_e32 v3, vcc, s10, v3
	v_addc_co_u32_e32 v4, vcc, v5, v4, vcc
	global_load_dword v59, v[3:4], off
.LBB203_7:                              ;   in Loop: Header=BB203_3 Depth=1
	s_or_b64 exec, exec, s[30:31]
.LBB203_8:                              ;   in Loop: Header=BB203_3 Depth=1
	s_or_b64 exec, exec, s[8:9]
	v_add_co_u32_e32 v3, vcc, 0xffffffc1, v57
	v_addc_co_u32_e32 v4, vcc, -1, v58, vcc
	v_mov_b32_e32 v9, v2
	v_cmp_gt_i64_e32 vcc, s[12:13], v[3:4]
	v_mov_b32_e32 v3, v2
	v_mov_b32_e32 v4, v2
	;; [unrolled: 1-line block ×15, first 2 shown]
	s_and_b64 s[30:31], s[2:3], vcc
	v_mov_b32_e32 v9, v8
	v_mov_b32_e32 v8, v7
	;; [unrolled: 1-line block ×7, first 2 shown]
	s_and_saveexec_b64 s[8:9], s[30:31]
	s_cbranch_execz .LBB203_10
; %bb.9:                                ;   in Loop: Header=BB203_3 Depth=1
	v_add_co_u32_e32 v3, vcc, v22, v19
	v_addc_co_u32_e32 v4, vcc, v23, v20, vcc
	global_load_ushort v11, v[3:4], off
	v_add_co_u32_e32 v3, vcc, v24, v19
	v_addc_co_u32_e32 v4, vcc, v25, v20, vcc
	global_load_ushort v18, v[3:4], off
	v_mov_b32_e32 v4, v2
	v_mov_b32_e32 v5, v2
	;; [unrolled: 1-line block ×13, first 2 shown]
	s_waitcnt vmcnt(1)
	v_lshlrev_b32_e32 v3, 16, v11
	s_waitcnt vmcnt(0)
	v_lshlrev_b32_e32 v11, 16, v18
	v_mov_b32_e32 v18, v2
.LBB203_10:                             ;   in Loop: Header=BB203_3 Depth=1
	s_or_b64 exec, exec, s[8:9]
	v_add_co_u32_e32 v60, vcc, 0xffffffc2, v57
	v_addc_co_u32_e32 v61, vcc, -1, v58, vcc
	v_cmp_gt_i64_e32 vcc, s[12:13], v[60:61]
	s_and_b64 s[30:31], s[2:3], vcc
	s_and_saveexec_b64 s[8:9], s[30:31]
	s_cbranch_execz .LBB203_12
; %bb.11:                               ;   in Loop: Header=BB203_3 Depth=1
	v_add_co_u32_e32 v60, vcc, v51, v19
	v_addc_co_u32_e32 v61, vcc, v52, v20, vcc
	global_load_ushort v4, v[60:61], off
	v_add_co_u32_e32 v60, vcc, v53, v19
	v_addc_co_u32_e32 v61, vcc, v54, v20, vcc
	global_load_ushort v12, v[60:61], off
	s_waitcnt vmcnt(1)
	v_lshlrev_b32_e32 v4, 16, v4
	s_waitcnt vmcnt(0)
	v_lshlrev_b32_e32 v12, 16, v12
.LBB203_12:                             ;   in Loop: Header=BB203_3 Depth=1
	s_or_b64 exec, exec, s[8:9]
	v_add_co_u32_e32 v60, vcc, 0xffffffc3, v57
	v_addc_co_u32_e32 v61, vcc, -1, v58, vcc
	v_cmp_gt_i64_e32 vcc, s[12:13], v[60:61]
	s_and_b64 s[30:31], s[2:3], vcc
	s_and_saveexec_b64 s[8:9], s[30:31]
	s_cbranch_execz .LBB203_14
; %bb.13:                               ;   in Loop: Header=BB203_3 Depth=1
	v_add_co_u32_e32 v60, vcc, v46, v19
	v_addc_co_u32_e32 v61, vcc, v47, v20, vcc
	global_load_ushort v5, v[60:61], off
	v_add_co_u32_e32 v60, vcc, v48, v19
	v_addc_co_u32_e32 v61, vcc, v50, v20, vcc
	global_load_ushort v13, v[60:61], off
	s_waitcnt vmcnt(1)
	v_lshlrev_b32_e32 v5, 16, v5
	s_waitcnt vmcnt(0)
	v_lshlrev_b32_e32 v13, 16, v13
.LBB203_14:                             ;   in Loop: Header=BB203_3 Depth=1
	;; [unrolled: 19-line block ×7, first 2 shown]
	s_or_b64 exec, exec, s[8:9]
	s_waitcnt vmcnt(0)
	ds_bpermute_b32 v49, v55, v59
	ds_bpermute_b32 v60, v55, v59 offset:4
	v_mul_f32_e32 v3, v11, v3
	ds_bpermute_b32 v11, v55, v59 offset:8
	v_mul_f32_e32 v4, v12, v4
	s_waitcnt lgkmcnt(2)
	v_fma_f32 v49, v3, v49, v56
	s_waitcnt lgkmcnt(1)
	v_fmac_f32_e32 v49, v4, v60
	ds_bpermute_b32 v3, v55, v59 offset:12
	v_mul_f32_e32 v4, v13, v5
	s_waitcnt lgkmcnt(1)
	v_fmac_f32_e32 v49, v4, v11
	ds_bpermute_b32 v4, v55, v59 offset:16
	v_mul_f32_e32 v5, v14, v6
	s_waitcnt lgkmcnt(1)
	v_fmac_f32_e32 v49, v5, v3
	v_mul_f32_e32 v3, v15, v7
	ds_bpermute_b32 v5, v55, v59 offset:20
	s_waitcnt lgkmcnt(1)
	v_fmac_f32_e32 v49, v3, v4
	ds_bpermute_b32 v4, v55, v59 offset:24
	ds_bpermute_b32 v3, v55, v59 offset:28
	v_mul_f32_e32 v6, v16, v8
	s_waitcnt lgkmcnt(2)
	v_fmac_f32_e32 v49, v6, v5
	v_mul_f32_e32 v5, v17, v9
	s_waitcnt lgkmcnt(1)
	v_fmac_f32_e32 v49, v5, v4
	s_mov_b64 s[8:9], 0
.LBB203_25:                             ;   in Loop: Header=BB203_3 Depth=1
	s_and_b64 vcc, exec, s[8:9]
	s_cbranch_vccz .LBB203_40
; %bb.26:                               ;   in Loop: Header=BB203_3 Depth=1
	s_load_dword s8, s[22:23], 0x0
	v_mov_b32_e32 v49, 0
	s_waitcnt lgkmcnt(0)
	s_cmp_lt_u32 s6, s8
	s_cselect_b32 s8, 12, 18
	s_add_u32 s8, s22, s8
	s_addc_u32 s9, s23, 0
	global_load_ushort v3, v2, s[8:9]
	s_waitcnt vmcnt(0)
	v_mad_u32_u24 v3, v1, v3, v0
	v_and_b32_e32 v3, 63, v3
	v_cmp_gt_u32_e32 vcc, 8, v3
	s_and_saveexec_b64 s[8:9], vcc
	s_cbranch_execz .LBB203_30
; %bb.27:                               ;   in Loop: Header=BB203_3 Depth=1
	v_add_co_u32_e32 v3, vcc, v57, v3
	v_addc_co_u32_e32 v4, vcc, 0, v58, vcc
	v_add_co_u32_e32 v3, vcc, 0xffffffc1, v3
	v_addc_co_u32_e32 v4, vcc, -1, v4, vcc
	v_cmp_gt_i64_e32 vcc, s[12:13], v[3:4]
	v_mov_b32_e32 v49, 0
	s_and_saveexec_b64 s[30:31], vcc
	s_cbranch_execz .LBB203_29
; %bb.28:                               ;   in Loop: Header=BB203_3 Depth=1
	v_lshlrev_b64 v[3:4], 2, v[3:4]
	v_mov_b32_e32 v5, s11
	v_add_co_u32_e32 v3, vcc, s10, v3
	v_addc_co_u32_e32 v4, vcc, v5, v4, vcc
	global_load_dword v49, v[3:4], off
.LBB203_29:                             ;   in Loop: Header=BB203_3 Depth=1
	s_or_b64 exec, exec, s[30:31]
.LBB203_30:                             ;   in Loop: Header=BB203_3 Depth=1
	s_or_b64 exec, exec, s[8:9]
	v_mov_b32_e32 v9, v2
	v_mov_b32_e32 v3, v2
	;; [unrolled: 1-line block ×23, first 2 shown]
	s_and_saveexec_b64 s[8:9], s[2:3]
	s_cbranch_execnz .LBB203_42
; %bb.31:                               ;   in Loop: Header=BB203_3 Depth=1
	s_or_b64 exec, exec, s[8:9]
	s_and_saveexec_b64 s[8:9], s[2:3]
	s_cbranch_execnz .LBB203_43
.LBB203_32:                             ;   in Loop: Header=BB203_3 Depth=1
	s_or_b64 exec, exec, s[8:9]
	s_and_saveexec_b64 s[8:9], s[2:3]
	s_cbranch_execnz .LBB203_44
.LBB203_33:                             ;   in Loop: Header=BB203_3 Depth=1
	s_or_b64 exec, exec, s[8:9]
	s_and_saveexec_b64 s[8:9], s[2:3]
	s_cbranch_execnz .LBB203_45
.LBB203_34:                             ;   in Loop: Header=BB203_3 Depth=1
	s_or_b64 exec, exec, s[8:9]
	s_and_saveexec_b64 s[8:9], s[2:3]
	s_cbranch_execnz .LBB203_46
.LBB203_35:                             ;   in Loop: Header=BB203_3 Depth=1
	s_or_b64 exec, exec, s[8:9]
	s_and_saveexec_b64 s[8:9], s[2:3]
	s_cbranch_execnz .LBB203_47
.LBB203_36:                             ;   in Loop: Header=BB203_3 Depth=1
	s_or_b64 exec, exec, s[8:9]
	s_and_saveexec_b64 s[8:9], s[2:3]
	s_cbranch_execnz .LBB203_48
.LBB203_37:                             ;   in Loop: Header=BB203_3 Depth=1
	s_or_b64 exec, exec, s[8:9]
	s_and_saveexec_b64 s[8:9], s[2:3]
	s_cbranch_execz .LBB203_39
.LBB203_38:                             ;   in Loop: Header=BB203_3 Depth=1
	v_add_co_u32_e32 v57, vcc, v26, v19
	v_addc_co_u32_e32 v58, vcc, v27, v20, vcc
	global_load_ushort v10, v[57:58], off
	v_add_co_u32_e32 v57, vcc, v28, v19
	v_addc_co_u32_e32 v58, vcc, v29, v20, vcc
	global_load_ushort v18, v[57:58], off
	s_waitcnt vmcnt(1)
	v_lshlrev_b32_e32 v10, 16, v10
	s_waitcnt vmcnt(0)
	v_lshlrev_b32_e32 v18, 16, v18
.LBB203_39:                             ;   in Loop: Header=BB203_3 Depth=1
	s_or_b64 exec, exec, s[8:9]
	s_waitcnt vmcnt(0)
	ds_bpermute_b32 v57, v55, v49
	ds_bpermute_b32 v58, v55, v49 offset:4
	v_mul_f32_e32 v3, v11, v3
	ds_bpermute_b32 v11, v55, v49 offset:8
	v_mul_f32_e32 v4, v12, v4
	s_waitcnt lgkmcnt(2)
	v_fmac_f32_e32 v56, v3, v57
	s_waitcnt lgkmcnt(1)
	v_fmac_f32_e32 v56, v4, v58
	ds_bpermute_b32 v3, v55, v49 offset:12
	v_mul_f32_e32 v4, v13, v5
	s_waitcnt lgkmcnt(1)
	v_fmac_f32_e32 v56, v4, v11
	ds_bpermute_b32 v4, v55, v49 offset:16
	v_mul_f32_e32 v5, v14, v6
	s_waitcnt lgkmcnt(1)
	v_fmac_f32_e32 v56, v5, v3
	v_mul_f32_e32 v3, v15, v7
	ds_bpermute_b32 v5, v55, v49 offset:20
	s_waitcnt lgkmcnt(1)
	v_fmac_f32_e32 v56, v3, v4
	ds_bpermute_b32 v4, v55, v49 offset:24
	ds_bpermute_b32 v3, v55, v49 offset:28
	v_mul_f32_e32 v6, v16, v8
	s_waitcnt lgkmcnt(2)
	v_fmac_f32_e32 v56, v6, v5
	v_mul_f32_e32 v5, v17, v9
	s_waitcnt lgkmcnt(1)
	v_fmac_f32_e32 v56, v5, v4
	v_mov_b32_e32 v49, v56
.LBB203_40:                             ;   in Loop: Header=BB203_3 Depth=1
	v_mul_f32_e32 v4, v10, v18
	s_waitcnt lgkmcnt(0)
	v_fmac_f32_e32 v49, v4, v3
	v_mov_b32_e32 v3, s25
	v_add_co_u32_e32 v22, vcc, s24, v22
	v_addc_co_u32_e32 v23, vcc, v23, v3, vcc
	v_add_co_u32_e32 v24, vcc, s24, v24
	v_addc_co_u32_e32 v25, vcc, v25, v3, vcc
	;; [unrolled: 2-line block ×15, first 2 shown]
	v_add_co_u32_e32 v53, vcc, s24, v53
	s_add_u32 s28, s28, s7
	v_addc_co_u32_e32 v54, vcc, v54, v3, vcc
	v_mov_b32_e32 v3, s12
	s_addc_u32 s29, s29, 0
	v_mov_b32_e32 v4, s13
	v_cmp_lt_i64_e32 vcc, s[28:29], v[3:4]
	s_add_u32 s26, s26, s7
	s_addc_u32 s27, s27, 0
	s_cbranch_vccz .LBB203_50
; %bb.41:                               ;   in Loop: Header=BB203_3 Depth=1
	v_mov_b32_e32 v56, v49
	s_branch .LBB203_3
.LBB203_42:                             ;   in Loop: Header=BB203_3 Depth=1
	v_add_co_u32_e32 v3, vcc, v22, v19
	v_addc_co_u32_e32 v4, vcc, v23, v20, vcc
	global_load_ushort v11, v[3:4], off
	v_add_co_u32_e32 v3, vcc, v24, v19
	v_addc_co_u32_e32 v4, vcc, v25, v20, vcc
	global_load_ushort v18, v[3:4], off
	v_mov_b32_e32 v4, v2
	v_mov_b32_e32 v5, v2
	;; [unrolled: 1-line block ×13, first 2 shown]
	s_waitcnt vmcnt(1)
	v_lshlrev_b32_e32 v3, 16, v11
	s_waitcnt vmcnt(0)
	v_lshlrev_b32_e32 v11, 16, v18
	v_mov_b32_e32 v18, v2
	s_or_b64 exec, exec, s[8:9]
	s_and_saveexec_b64 s[8:9], s[2:3]
	s_cbranch_execz .LBB203_32
.LBB203_43:                             ;   in Loop: Header=BB203_3 Depth=1
	v_add_co_u32_e32 v57, vcc, v51, v19
	v_addc_co_u32_e32 v58, vcc, v52, v20, vcc
	global_load_ushort v4, v[57:58], off
	v_add_co_u32_e32 v57, vcc, v53, v19
	v_addc_co_u32_e32 v58, vcc, v54, v20, vcc
	global_load_ushort v12, v[57:58], off
	s_waitcnt vmcnt(1)
	v_lshlrev_b32_e32 v4, 16, v4
	s_waitcnt vmcnt(0)
	v_lshlrev_b32_e32 v12, 16, v12
	s_or_b64 exec, exec, s[8:9]
	s_and_saveexec_b64 s[8:9], s[2:3]
	s_cbranch_execz .LBB203_33
.LBB203_44:                             ;   in Loop: Header=BB203_3 Depth=1
	v_add_co_u32_e32 v57, vcc, v46, v19
	v_addc_co_u32_e32 v58, vcc, v47, v20, vcc
	global_load_ushort v5, v[57:58], off
	v_add_co_u32_e32 v57, vcc, v48, v19
	v_addc_co_u32_e32 v58, vcc, v50, v20, vcc
	global_load_ushort v13, v[57:58], off
	s_waitcnt vmcnt(1)
	v_lshlrev_b32_e32 v5, 16, v5
	s_waitcnt vmcnt(0)
	v_lshlrev_b32_e32 v13, 16, v13
	s_or_b64 exec, exec, s[8:9]
	s_and_saveexec_b64 s[8:9], s[2:3]
	s_cbranch_execz .LBB203_34
.LBB203_45:                             ;   in Loop: Header=BB203_3 Depth=1
	v_add_co_u32_e32 v57, vcc, v42, v19
	v_addc_co_u32_e32 v58, vcc, v43, v20, vcc
	global_load_ushort v6, v[57:58], off
	v_add_co_u32_e32 v57, vcc, v44, v19
	v_addc_co_u32_e32 v58, vcc, v45, v20, vcc
	global_load_ushort v14, v[57:58], off
	s_waitcnt vmcnt(1)
	v_lshlrev_b32_e32 v6, 16, v6
	s_waitcnt vmcnt(0)
	v_lshlrev_b32_e32 v14, 16, v14
	s_or_b64 exec, exec, s[8:9]
	s_and_saveexec_b64 s[8:9], s[2:3]
	s_cbranch_execz .LBB203_35
.LBB203_46:                             ;   in Loop: Header=BB203_3 Depth=1
	v_add_co_u32_e32 v57, vcc, v38, v19
	v_addc_co_u32_e32 v58, vcc, v39, v20, vcc
	global_load_ushort v7, v[57:58], off
	v_add_co_u32_e32 v57, vcc, v40, v19
	v_addc_co_u32_e32 v58, vcc, v41, v20, vcc
	global_load_ushort v15, v[57:58], off
	s_waitcnt vmcnt(1)
	v_lshlrev_b32_e32 v7, 16, v7
	s_waitcnt vmcnt(0)
	v_lshlrev_b32_e32 v15, 16, v15
	s_or_b64 exec, exec, s[8:9]
	s_and_saveexec_b64 s[8:9], s[2:3]
	s_cbranch_execz .LBB203_36
.LBB203_47:                             ;   in Loop: Header=BB203_3 Depth=1
	v_add_co_u32_e32 v57, vcc, v34, v19
	v_addc_co_u32_e32 v58, vcc, v35, v20, vcc
	global_load_ushort v8, v[57:58], off
	v_add_co_u32_e32 v57, vcc, v36, v19
	v_addc_co_u32_e32 v58, vcc, v37, v20, vcc
	global_load_ushort v16, v[57:58], off
	s_waitcnt vmcnt(1)
	v_lshlrev_b32_e32 v8, 16, v8
	s_waitcnt vmcnt(0)
	v_lshlrev_b32_e32 v16, 16, v16
	s_or_b64 exec, exec, s[8:9]
	s_and_saveexec_b64 s[8:9], s[2:3]
	s_cbranch_execz .LBB203_37
.LBB203_48:                             ;   in Loop: Header=BB203_3 Depth=1
	v_add_co_u32_e32 v57, vcc, v30, v19
	v_addc_co_u32_e32 v58, vcc, v31, v20, vcc
	global_load_ushort v9, v[57:58], off
	v_add_co_u32_e32 v57, vcc, v32, v19
	v_addc_co_u32_e32 v58, vcc, v33, v20, vcc
	global_load_ushort v17, v[57:58], off
	s_waitcnt vmcnt(1)
	v_lshlrev_b32_e32 v9, 16, v9
	s_waitcnt vmcnt(0)
	v_lshlrev_b32_e32 v17, 16, v17
	s_or_b64 exec, exec, s[8:9]
	s_and_saveexec_b64 s[8:9], s[2:3]
	s_cbranch_execnz .LBB203_38
	s_branch .LBB203_39
.LBB203_49:
                                        ; implicit-def: $vgpr49
	s_branch .LBB203_51
.LBB203_50:
	s_cbranch_execnz .LBB203_83
.LBB203_51:
	s_and_b64 vcc, exec, s[0:1]
	v_mov_b32_e32 v49, 0
	s_cbranch_vccnz .LBB203_83
; %bb.52:
	v_lshlrev_b32_e32 v50, 3, v1
	v_add_co_u32_e32 v8, vcc, s20, v50
	v_addc_co_u32_e64 v9, s[0:1], 0, 0, vcc
	s_load_dword s7, s[4:5], 0x44
	v_mul_lo_u32 v4, s15, v8
	v_mul_lo_u32 v5, s14, v9
	v_mad_u64_u32 v[2:3], s[0:1], s14, v8, 0
	s_add_u32 s2, s4, 64
	s_addc_u32 s3, s5, 0
	v_add3_u32 v3, v3, v5, v4
	s_waitcnt lgkmcnt(0)
	s_lshl_b32 s7, s7, 6
	v_lshlrev_b64 v[4:5], 1, v[2:3]
	s_mul_i32 s0, s15, s7
	s_mul_hi_u32 s1, s14, s7
	v_mov_b32_e32 v6, s17
	v_add_co_u32_e32 v51, vcc, s16, v4
	s_add_i32 s1, s1, s0
	s_mul_i32 s0, s14, s7
	v_addc_co_u32_e32 v52, vcc, v6, v5, vcc
	s_lshl_b64 s[8:9], s[0:1], 1
	v_mov_b32_e32 v6, s19
	v_add_co_u32_e32 v53, vcc, s18, v4
	s_add_u32 s22, s20, 63
	v_addc_co_u32_e32 v54, vcc, v6, v5, vcc
	s_addc_u32 s23, 0, 0
	v_lshlrev_b32_e32 v4, 4, v1
	s_lshl_b64 s[0:1], s[20:21], 1
	v_mov_b32_e32 v5, s1
	v_add_co_u32_e32 v10, vcc, s0, v4
	v_addc_co_u32_e32 v11, vcc, 0, v5, vcc
	v_add_co_u32_e32 v12, vcc, 2, v10
	v_addc_co_u32_e32 v6, vcc, 0, v11, vcc
	v_mov_b32_e32 v4, s16
	v_mul_lo_u32 v14, s14, v6
	v_mov_b32_e32 v6, s18
	v_mov_b32_e32 v5, s17
	;; [unrolled: 1-line block ×3, first 2 shown]
	v_mad_u64_u32 v[19:20], s[0:1], s14, v12, v[4:5]
	v_mul_lo_u32 v15, s15, v12
	v_mad_u64_u32 v[21:22], s[0:1], s14, v12, v[6:7]
	v_add_co_u32_e32 v12, vcc, 4, v10
	v_addc_co_u32_e32 v16, vcc, 0, v11, vcc
	v_mov_b32_e32 v13, s15
	v_add_co_u32_e32 v2, vcc, s14, v2
	v_addc_co_u32_e32 v3, vcc, v3, v13, vcc
	v_mul_lo_u32 v17, s15, v12
	v_mad_u64_u32 v[23:24], s[0:1], s14, v12, v[4:5]
	v_mad_u64_u32 v[25:26], s[0:1], s14, v12, v[6:7]
	v_add_co_u32_e32 v12, vcc, 6, v10
	v_addc_co_u32_e32 v13, vcc, 0, v11, vcc
	v_add3_u32 v20, v15, v20, v14
	v_add3_u32 v22, v15, v22, v14
	v_mul_lo_u32 v13, s14, v13
	v_mul_lo_u32 v14, s15, v12
	v_mad_u64_u32 v[27:28], s[0:1], s14, v12, v[4:5]
	v_mad_u64_u32 v[29:30], s[0:1], s14, v12, v[6:7]
	v_add_co_u32_e32 v12, vcc, 8, v10
	v_mul_lo_u32 v16, s14, v16
	v_addc_co_u32_e32 v15, vcc, 0, v11, vcc
	v_mul_lo_u32 v18, s15, v12
	v_mad_u64_u32 v[31:32], s[0:1], s14, v12, v[4:5]
	v_mad_u64_u32 v[33:34], s[0:1], s14, v12, v[6:7]
	v_add_co_u32_e32 v12, vcc, 10, v10
	v_add3_u32 v28, v14, v28, v13
	v_add3_u32 v30, v14, v30, v13
	v_addc_co_u32_e32 v13, vcc, 0, v11, vcc
	v_mul_lo_u32 v14, s15, v12
	v_mad_u64_u32 v[35:36], s[0:1], s14, v12, v[4:5]
	v_mad_u64_u32 v[37:38], s[0:1], s14, v12, v[6:7]
	v_add_co_u32_e32 v12, vcc, 12, v10
	v_add3_u32 v24, v17, v24, v16
	v_add3_u32 v26, v17, v26, v16
	v_addc_co_u32_e32 v16, vcc, 0, v11, vcc
	v_add_co_u32_e32 v10, vcc, 14, v10
	v_addc_co_u32_e32 v11, vcc, 0, v11, vcc
	v_mad_u64_u32 v[39:40], s[0:1], s14, v12, v[4:5]
	v_mad_u64_u32 v[43:44], s[0:1], s14, v10, v[4:5]
	v_add_co_u32_e32 v4, vcc, 7, v8
	v_addc_co_u32_e32 v5, vcc, 0, v9, vcc
	v_mad_u64_u32 v[41:42], s[0:1], s14, v12, v[6:7]
	v_mad_u64_u32 v[45:46], s[0:1], s14, v10, v[6:7]
	v_mul_lo_u32 v6, s15, v10
	v_mul_lo_u32 v7, s14, v5
	;; [unrolled: 1-line block ×3, first 2 shown]
	v_mad_u64_u32 v[4:5], s[0:1], s14, v4, 0
	v_mul_lo_u32 v11, s14, v11
	v_mul_lo_u32 v17, s15, v12
	v_add3_u32 v5, v5, v7, v10
	v_lshlrev_b64 v[4:5], 1, v[4:5]
	v_add3_u32 v44, v6, v44, v11
	v_add3_u32 v46, v6, v46, v11
	v_mov_b32_e32 v6, s17
	v_add_co_u32_e32 v55, vcc, s16, v4
	v_addc_co_u32_e32 v56, vcc, v6, v5, vcc
	v_add_co_u32_e32 v6, vcc, 6, v8
	v_addc_co_u32_e32 v7, vcc, 0, v9, vcc
	v_mul_lo_u32 v11, s14, v7
	v_mul_lo_u32 v12, s15, v6
	v_mad_u64_u32 v[6:7], s[0:1], s14, v6, 0
	v_mov_b32_e32 v10, s19
	v_add_co_u32_e32 v57, vcc, s18, v4
	v_add3_u32 v7, v7, v11, v12
	v_addc_co_u32_e32 v58, vcc, v10, v5, vcc
	v_lshlrev_b64 v[4:5], 1, v[6:7]
	v_mov_b32_e32 v6, s17
	v_add_co_u32_e32 v59, vcc, s16, v4
	v_addc_co_u32_e32 v60, vcc, v6, v5, vcc
	v_add_co_u32_e32 v6, vcc, 5, v8
	v_addc_co_u32_e32 v7, vcc, 0, v9, vcc
	v_mul_lo_u32 v11, s14, v7
	v_mul_lo_u32 v12, s15, v6
	v_mad_u64_u32 v[6:7], s[0:1], s14, v6, 0
	v_add_co_u32_e32 v61, vcc, s18, v4
	v_add3_u32 v7, v7, v11, v12
	v_addc_co_u32_e32 v62, vcc, v10, v5, vcc
	v_lshlrev_b64 v[4:5], 1, v[6:7]
	v_mov_b32_e32 v6, s17
	v_add_co_u32_e32 v63, vcc, s16, v4
	v_addc_co_u32_e32 v64, vcc, v6, v5, vcc
	v_add_co_u32_e32 v6, vcc, 4, v8
	v_addc_co_u32_e32 v7, vcc, 0, v9, vcc
	v_mul_lo_u32 v11, s14, v7
	v_mul_lo_u32 v12, s15, v6
	v_mad_u64_u32 v[6:7], s[0:1], s14, v6, 0
	;; [unrolled: 12-line block ×4, first 2 shown]
	v_add_co_u32_e32 v73, vcc, s18, v4
	v_add3_u32 v7, v7, v8, v9
	v_addc_co_u32_e32 v74, vcc, v10, v5, vcc
	v_lshlrev_b64 v[4:5], 1, v[6:7]
	v_mov_b32_e32 v6, s17
	v_add_co_u32_e32 v75, vcc, s16, v4
	v_addc_co_u32_e32 v76, vcc, v6, v5, vcc
	v_mov_b32_e32 v6, s19
	v_add_co_u32_e32 v77, vcc, s18, v4
	v_lshlrev_b64 v[2:3], 1, v[2:3]
	v_addc_co_u32_e32 v78, vcc, v6, v5, vcc
	v_mov_b32_e32 v4, s17
	v_add_co_u32_e32 v79, vcc, s16, v2
	v_addc_co_u32_e32 v80, vcc, v4, v3, vcc
	v_mov_b32_e32 v4, s19
	v_add_co_u32_e32 v81, vcc, s18, v2
	v_mov_b32_e32 v2, 0
	v_mul_lo_u32 v15, s14, v15
	v_mul_lo_u32 v13, s14, v13
	;; [unrolled: 1-line block ×3, first 2 shown]
	v_addc_co_u32_e32 v82, vcc, v4, v3, vcc
	v_add_u32_e32 v3, s33, v0
	v_mov_b32_e32 v4, v2
	v_lshlrev_b64 v[47:48], 1, v[3:4]
	v_mbcnt_lo_u32_b32 v3, -1, 0
	v_mbcnt_hi_u32_b32 v3, -1, v3
	v_lshlrev_b32_e32 v3, 2, v3
	v_add3_u32 v32, v18, v32, v15
	v_add3_u32 v34, v18, v34, v15
	;; [unrolled: 1-line block ×6, first 2 shown]
	v_and_b32_e32 v83, 0x100, v3
	v_mov_b32_e32 v84, 0
.LBB203_53:                             ; =>This Inner Loop Header: Depth=1
	v_mov_b32_e32 v3, s12
	v_mov_b32_e32 v4, s13
	v_cmp_ge_i64_e32 vcc, s[22:23], v[3:4]
	v_mov_b32_e32 v3, s23
	v_add_co_u32_e64 v85, s[0:1], s22, v50
	v_addc_co_u32_e64 v86, s[0:1], 0, v3, s[0:1]
	s_mov_b64 s[0:1], -1
                                        ; implicit-def: $vgpr49
	s_cbranch_vccz .LBB203_75
; %bb.54:                               ;   in Loop: Header=BB203_53 Depth=1
	s_load_dword s0, s[2:3], 0xc
	v_mov_b32_e32 v87, 0
	s_waitcnt lgkmcnt(0)
	s_and_b32 s0, s0, 0xffff
	v_mad_u32_u24 v3, v1, s0, v0
	v_and_b32_e32 v3, 63, v3
	v_cmp_gt_u32_e32 vcc, 8, v3
	s_and_saveexec_b64 s[0:1], vcc
	s_cbranch_execz .LBB203_58
; %bb.55:                               ;   in Loop: Header=BB203_53 Depth=1
	v_add_co_u32_e32 v3, vcc, v85, v3
	v_addc_co_u32_e32 v4, vcc, 0, v86, vcc
	v_add_co_u32_e32 v3, vcc, 0xffffffc1, v3
	v_addc_co_u32_e32 v4, vcc, -1, v4, vcc
	v_cmp_gt_i64_e32 vcc, s[12:13], v[3:4]
	v_mov_b32_e32 v87, 0
	s_and_saveexec_b64 s[16:17], vcc
	s_cbranch_execz .LBB203_57
; %bb.56:                               ;   in Loop: Header=BB203_53 Depth=1
	v_lshlrev_b64 v[3:4], 2, v[3:4]
	v_mov_b32_e32 v5, s11
	v_add_co_u32_e32 v3, vcc, s10, v3
	v_addc_co_u32_e32 v4, vcc, v5, v4, vcc
	global_load_dword v87, v[3:4], off
.LBB203_57:                             ;   in Loop: Header=BB203_53 Depth=1
	s_or_b64 exec, exec, s[16:17]
.LBB203_58:                             ;   in Loop: Header=BB203_53 Depth=1
	s_or_b64 exec, exec, s[0:1]
	v_add_co_u32_e32 v3, vcc, 0xffffffc1, v85
	v_addc_co_u32_e32 v4, vcc, -1, v86, vcc
	v_mov_b32_e32 v9, v2
	v_cmp_gt_i64_e32 vcc, s[12:13], v[3:4]
	v_mov_b32_e32 v3, v2
	v_mov_b32_e32 v4, v2
	;; [unrolled: 1-line block ×22, first 2 shown]
	s_and_saveexec_b64 s[0:1], vcc
	s_cbranch_execz .LBB203_60
; %bb.59:                               ;   in Loop: Header=BB203_53 Depth=1
	v_add_co_u32_e32 v3, vcc, v51, v47
	v_addc_co_u32_e32 v4, vcc, v52, v48, vcc
	global_load_ushort v11, v[3:4], off
	v_add_co_u32_e32 v3, vcc, v53, v47
	v_addc_co_u32_e32 v4, vcc, v54, v48, vcc
	global_load_ushort v18, v[3:4], off
	v_mov_b32_e32 v4, v2
	v_mov_b32_e32 v5, v2
	v_mov_b32_e32 v6, v2
	v_mov_b32_e32 v7, v2
	v_mov_b32_e32 v8, v2
	v_mov_b32_e32 v9, v2
	v_mov_b32_e32 v10, v2
	v_mov_b32_e32 v12, v2
	v_mov_b32_e32 v13, v2
	v_mov_b32_e32 v14, v2
	v_mov_b32_e32 v15, v2
	v_mov_b32_e32 v16, v2
	v_mov_b32_e32 v17, v2
	s_waitcnt vmcnt(1)
	v_lshlrev_b32_e32 v3, 16, v11
	s_waitcnt vmcnt(0)
	v_lshlrev_b32_e32 v11, 16, v18
	v_mov_b32_e32 v18, v2
.LBB203_60:                             ;   in Loop: Header=BB203_53 Depth=1
	s_or_b64 exec, exec, s[0:1]
	v_add_co_u32_e32 v88, vcc, 0xffffffc2, v85
	v_addc_co_u32_e32 v89, vcc, -1, v86, vcc
	v_cmp_gt_i64_e32 vcc, s[12:13], v[88:89]
	s_and_saveexec_b64 s[0:1], vcc
	s_cbranch_execz .LBB203_62
; %bb.61:                               ;   in Loop: Header=BB203_53 Depth=1
	v_add_co_u32_e32 v88, vcc, v79, v47
	v_addc_co_u32_e32 v89, vcc, v80, v48, vcc
	global_load_ushort v4, v[88:89], off
	v_add_co_u32_e32 v88, vcc, v81, v47
	v_addc_co_u32_e32 v89, vcc, v82, v48, vcc
	global_load_ushort v12, v[88:89], off
	s_waitcnt vmcnt(1)
	v_lshlrev_b32_e32 v4, 16, v4
	s_waitcnt vmcnt(0)
	v_lshlrev_b32_e32 v12, 16, v12
.LBB203_62:                             ;   in Loop: Header=BB203_53 Depth=1
	s_or_b64 exec, exec, s[0:1]
	v_add_co_u32_e32 v88, vcc, 0xffffffc3, v85
	v_addc_co_u32_e32 v89, vcc, -1, v86, vcc
	v_cmp_gt_i64_e32 vcc, s[12:13], v[88:89]
	s_and_saveexec_b64 s[0:1], vcc
	s_cbranch_execz .LBB203_64
; %bb.63:                               ;   in Loop: Header=BB203_53 Depth=1
	v_add_co_u32_e32 v88, vcc, v75, v47
	v_addc_co_u32_e32 v89, vcc, v76, v48, vcc
	global_load_ushort v5, v[88:89], off
	v_add_co_u32_e32 v88, vcc, v77, v47
	v_addc_co_u32_e32 v89, vcc, v78, v48, vcc
	global_load_ushort v13, v[88:89], off
	s_waitcnt vmcnt(1)
	v_lshlrev_b32_e32 v5, 16, v5
	s_waitcnt vmcnt(0)
	v_lshlrev_b32_e32 v13, 16, v13
.LBB203_64:                             ;   in Loop: Header=BB203_53 Depth=1
	;; [unrolled: 18-line block ×7, first 2 shown]
	s_or_b64 exec, exec, s[0:1]
	s_waitcnt vmcnt(0)
	ds_bpermute_b32 v49, v83, v87
	ds_bpermute_b32 v88, v83, v87 offset:4
	v_mul_f32_e32 v3, v11, v3
	ds_bpermute_b32 v11, v83, v87 offset:8
	v_mul_f32_e32 v4, v12, v4
	s_waitcnt lgkmcnt(2)
	v_fma_f32 v49, v3, v49, v84
	s_waitcnt lgkmcnt(1)
	v_fmac_f32_e32 v49, v4, v88
	ds_bpermute_b32 v3, v83, v87 offset:12
	v_mul_f32_e32 v4, v13, v5
	s_waitcnt lgkmcnt(1)
	v_fmac_f32_e32 v49, v4, v11
	ds_bpermute_b32 v4, v83, v87 offset:16
	v_mul_f32_e32 v5, v14, v6
	s_waitcnt lgkmcnt(1)
	v_fmac_f32_e32 v49, v5, v3
	v_mul_f32_e32 v3, v15, v7
	ds_bpermute_b32 v5, v83, v87 offset:20
	s_waitcnt lgkmcnt(1)
	v_fmac_f32_e32 v49, v3, v4
	ds_bpermute_b32 v3, v83, v87 offset:24
	ds_bpermute_b32 v6, v83, v87 offset:28
	v_mul_f32_e32 v4, v16, v8
	s_waitcnt lgkmcnt(2)
	v_fmac_f32_e32 v49, v4, v5
	v_mul_f32_e32 v4, v17, v9
	s_waitcnt lgkmcnt(1)
	v_fmac_f32_e32 v49, v4, v3
	;; [unrolled: 3-line block ×3, first 2 shown]
	s_mov_b64 s[0:1], 0
.LBB203_75:                             ;   in Loop: Header=BB203_53 Depth=1
	s_and_b64 vcc, exec, s[0:1]
	s_cbranch_vccz .LBB203_81
; %bb.76:                               ;   in Loop: Header=BB203_53 Depth=1
	s_load_dword s0, s[2:3], 0x0
	v_mov_b32_e32 v5, 0
	s_waitcnt lgkmcnt(0)
	s_cmp_lt_u32 s6, s0
	s_cselect_b32 s0, 12, 18
	s_add_u32 s0, s2, s0
	s_addc_u32 s1, s3, 0
	global_load_ushort v3, v2, s[0:1]
	s_waitcnt vmcnt(0)
	v_mad_u32_u24 v3, v1, v3, v0
	v_and_b32_e32 v3, 63, v3
	v_cmp_gt_u32_e32 vcc, 8, v3
	s_and_saveexec_b64 s[0:1], vcc
	s_cbranch_execz .LBB203_80
; %bb.77:                               ;   in Loop: Header=BB203_53 Depth=1
	v_add_co_u32_e32 v3, vcc, v85, v3
	v_addc_co_u32_e32 v4, vcc, 0, v86, vcc
	v_add_co_u32_e32 v3, vcc, 0xffffffc1, v3
	v_addc_co_u32_e32 v4, vcc, -1, v4, vcc
	v_cmp_gt_i64_e32 vcc, s[12:13], v[3:4]
	v_mov_b32_e32 v5, 0
	s_and_saveexec_b64 s[16:17], vcc
	s_cbranch_execz .LBB203_79
; %bb.78:                               ;   in Loop: Header=BB203_53 Depth=1
	v_lshlrev_b64 v[3:4], 2, v[3:4]
	v_mov_b32_e32 v5, s11
	v_add_co_u32_e32 v3, vcc, s10, v3
	v_addc_co_u32_e32 v4, vcc, v5, v4, vcc
	global_load_dword v5, v[3:4], off
.LBB203_79:                             ;   in Loop: Header=BB203_53 Depth=1
	s_or_b64 exec, exec, s[16:17]
.LBB203_80:                             ;   in Loop: Header=BB203_53 Depth=1
	s_or_b64 exec, exec, s[0:1]
	v_add_co_u32_e32 v3, vcc, v51, v47
	v_addc_co_u32_e32 v4, vcc, v52, v48, vcc
	v_add_co_u32_e32 v6, vcc, v53, v47
	v_addc_co_u32_e32 v7, vcc, v54, v48, vcc
	global_load_ushort v8, v[3:4], off
	global_load_ushort v9, v[6:7], off
	v_add_co_u32_e32 v3, vcc, v19, v47
	v_addc_co_u32_e32 v4, vcc, v20, v48, vcc
	v_add_co_u32_e32 v6, vcc, v21, v47
	v_addc_co_u32_e32 v7, vcc, v22, v48, vcc
	global_load_ushort v10, v[3:4], off
	global_load_ushort v11, v[6:7], off
	v_add_co_u32_e32 v3, vcc, v23, v47
	v_addc_co_u32_e32 v4, vcc, v24, v48, vcc
	v_add_co_u32_e32 v6, vcc, v25, v47
	v_addc_co_u32_e32 v7, vcc, v26, v48, vcc
	global_load_ushort v12, v[3:4], off
	global_load_ushort v13, v[6:7], off
	v_add_co_u32_e32 v3, vcc, v27, v47
	v_addc_co_u32_e32 v4, vcc, v28, v48, vcc
	v_add_co_u32_e32 v6, vcc, v29, v47
	v_addc_co_u32_e32 v7, vcc, v30, v48, vcc
	global_load_ushort v14, v[3:4], off
	global_load_ushort v15, v[6:7], off
	v_add_co_u32_e32 v3, vcc, v31, v47
	v_addc_co_u32_e32 v4, vcc, v32, v48, vcc
	v_add_co_u32_e32 v6, vcc, v33, v47
	v_addc_co_u32_e32 v7, vcc, v34, v48, vcc
	global_load_ushort v16, v[3:4], off
	global_load_ushort v17, v[6:7], off
	v_add_co_u32_e32 v3, vcc, v35, v47
	v_addc_co_u32_e32 v4, vcc, v36, v48, vcc
	v_add_co_u32_e32 v6, vcc, v37, v47
	v_addc_co_u32_e32 v7, vcc, v38, v48, vcc
	global_load_ushort v18, v[3:4], off
	global_load_ushort v49, v[6:7], off
	v_add_co_u32_e32 v3, vcc, v39, v47
	v_addc_co_u32_e32 v4, vcc, v40, v48, vcc
	v_add_co_u32_e32 v6, vcc, v41, v47
	v_addc_co_u32_e32 v7, vcc, v42, v48, vcc
	global_load_ushort v85, v[3:4], off
	global_load_ushort v86, v[6:7], off
	v_add_co_u32_e32 v3, vcc, v43, v47
	v_addc_co_u32_e32 v4, vcc, v44, v48, vcc
	v_add_co_u32_e32 v6, vcc, v45, v47
	v_addc_co_u32_e32 v7, vcc, v46, v48, vcc
	global_load_ushort v87, v[6:7], off
	global_load_ushort v88, v[3:4], off
	s_waitcnt vmcnt(15)
	v_lshlrev_b32_e32 v4, 16, v8
	s_waitcnt vmcnt(14)
	v_lshlrev_b32_e32 v3, 16, v9
	v_mul_f32_e32 v3, v4, v3
	s_waitcnt vmcnt(13)
	v_lshlrev_b32_e32 v7, 16, v10
	s_waitcnt vmcnt(12)
	v_lshlrev_b32_e32 v6, 16, v11
	v_mul_f32_e32 v4, v7, v6
	s_waitcnt vmcnt(11)
	v_lshlrev_b32_e32 v9, 16, v12
	s_waitcnt vmcnt(10)
	v_lshlrev_b32_e32 v8, 16, v13
	v_mul_f32_e32 v6, v9, v8
	s_waitcnt vmcnt(9)
	v_lshlrev_b32_e32 v11, 16, v14
	s_waitcnt vmcnt(8)
	v_lshlrev_b32_e32 v10, 16, v15
	;; [unrolled: 2-line block ×5, first 2 shown]
	ds_bpermute_b32 v18, v83, v5
	s_waitcnt vmcnt(4)
	v_lshlrev_b32_e32 v14, 16, v49
	s_waitcnt lgkmcnt(0)
	v_fmac_f32_e32 v84, v3, v18
	ds_bpermute_b32 v3, v83, v5 offset:8
	s_waitcnt vmcnt(3)
	v_lshlrev_b32_e32 v17, 16, v85
	s_waitcnt vmcnt(2)
	v_lshlrev_b32_e32 v16, 16, v86
	ds_bpermute_b32 v86, v83, v5 offset:4
	s_waitcnt lgkmcnt(0)
	v_fmac_f32_e32 v84, v4, v86
	ds_bpermute_b32 v4, v83, v5 offset:12
	v_fmac_f32_e32 v84, v6, v3
	ds_bpermute_b32 v3, v83, v5 offset:16
	v_mul_f32_e32 v6, v11, v10
	s_waitcnt vmcnt(1)
	v_lshlrev_b32_e32 v49, 16, v87
	s_waitcnt lgkmcnt(1)
	v_fmac_f32_e32 v84, v6, v4
	v_mul_f32_e32 v4, v13, v12
	ds_bpermute_b32 v6, v83, v5 offset:20
	s_waitcnt lgkmcnt(1)
	v_fmac_f32_e32 v84, v4, v3
	ds_bpermute_b32 v3, v83, v5 offset:24
	ds_bpermute_b32 v5, v83, v5 offset:28
	v_mul_f32_e32 v4, v15, v14
	s_waitcnt vmcnt(0)
	v_lshlrev_b32_e32 v85, 16, v88
	s_waitcnt lgkmcnt(2)
	v_fmac_f32_e32 v84, v4, v6
	v_mul_f32_e32 v4, v17, v16
	s_waitcnt lgkmcnt(1)
	v_fmac_f32_e32 v84, v4, v3
	v_mul_f32_e32 v3, v85, v49
	s_waitcnt lgkmcnt(0)
	v_fmac_f32_e32 v84, v3, v5
	v_mov_b32_e32 v49, v84
.LBB203_81:                             ;   in Loop: Header=BB203_53 Depth=1
	v_mov_b32_e32 v5, s9
	v_add_co_u32_e32 v51, vcc, s8, v51
	v_addc_co_u32_e32 v52, vcc, v52, v5, vcc
	v_add_co_u32_e32 v53, vcc, s8, v53
	v_addc_co_u32_e32 v54, vcc, v54, v5, vcc
	;; [unrolled: 2-line block ×28, first 2 shown]
	s_add_u32 s20, s20, s7
	v_add_co_u32_e32 v79, vcc, s8, v79
	v_mov_b32_e32 v3, s12
	s_addc_u32 s21, s21, 0
	v_addc_co_u32_e32 v80, vcc, v80, v5, vcc
	v_mov_b32_e32 v4, s13
	v_cmp_ge_i64_e32 vcc, s[20:21], v[3:4]
	s_add_u32 s22, s22, s7
	v_add_co_u32_e64 v81, s[0:1], s8, v81
	s_addc_u32 s23, s23, 0
	v_addc_co_u32_e64 v82, s[0:1], v82, v5, s[0:1]
	s_cbranch_vccnz .LBB203_83
; %bb.82:                               ;   in Loop: Header=BB203_53 Depth=1
	v_mov_b32_e32 v84, v49
	s_branch .LBB203_53
.LBB203_83:
	v_mad_u32_u24 v2, v1, 33, v0
	v_lshl_add_u32 v3, v2, 2, 0
	v_mov_b32_e32 v4, 0
	ds_write_b32 v3, v4 offset:1056
	v_sub_u32_e32 v4, v2, v1
	s_movk_i32 s0, 0x800
	v_cmp_gt_u32_e32 vcc, s0, v4
	ds_write_b32 v3, v49
	s_waitcnt lgkmcnt(0)
	s_barrier
	s_and_saveexec_b64 s[0:1], vcc
	s_cbranch_execz .LBB203_123
; %bb.84:
	s_load_dwordx2 s[4:5], s[4:5], 0x30
	v_and_b32_e32 v1, 63, v4
	v_lshrrev_b32_e32 v2, 6, v4
	v_cmp_gt_u32_e64 s[0:1], 8, v1
	v_mul_u32_u24_e32 v3, 33, v1
                                        ; implicit-def: $vgpr1
	s_and_saveexec_b64 s[2:3], s[0:1]
; %bb.85:
	v_lshlrev_b32_e32 v1, 2, v2
	v_lshlrev_b32_e32 v5, 2, v3
	v_add3_u32 v1, 0, v1, v5
	ds_read_b32 v1, v1
; %bb.86:
	s_or_b64 exec, exec, s[2:3]
	v_mbcnt_lo_u32_b32 v5, -1, 0
	v_mbcnt_hi_u32_b32 v7, -1, v5
	v_and_b32_e32 v5, 64, v7
	v_add_u32_e32 v8, 64, v5
	v_xor_b32_e32 v5, 4, v7
	v_cmp_lt_i32_e32 vcc, v5, v8
	v_cndmask_b32_e32 v5, v7, v5, vcc
	v_lshlrev_b32_e32 v5, 2, v5
	s_waitcnt lgkmcnt(0)
	ds_bpermute_b32 v6, v5, v1
	v_xor_b32_e32 v9, 2, v7
	v_cmp_lt_i32_e32 vcc, v9, v8
	v_cmp_ne_u32_e64 s[2:3], 0, v0
	v_xor_b32_e32 v0, 1, v7
	s_waitcnt lgkmcnt(0)
	v_add_f32_e32 v1, v1, v6
	v_cndmask_b32_e32 v6, v7, v9, vcc
	v_lshlrev_b32_e32 v6, 2, v6
	ds_bpermute_b32 v9, v6, v1
	v_cmp_lt_i32_e32 vcc, v0, v8
	v_cndmask_b32_e32 v0, v7, v0, vcc
	s_mov_b32 s7, 0
	v_lshlrev_b32_e32 v7, 2, v0
	s_waitcnt lgkmcnt(0)
	v_add_f32_e32 v9, v1, v9
	s_lshl_b64 s[6:7], s[6:7], 5
	ds_bpermute_b32 v8, v7, v9
	v_or_b32_e32 v0, s6, v2
	v_mov_b32_e32 v1, s7
	v_cmp_le_i64_e32 vcc, s[14:15], v[0:1]
	s_cmp_eq_u64 s[4:5], 0
	s_cselect_b64 s[8:9], -1, 0
	s_or_b64 s[10:11], s[2:3], vcc
	s_waitcnt lgkmcnt(0)
	v_add_f32_e32 v8, v9, v8
	s_nor_b64 s[12:13], s[8:9], s[10:11]
	s_and_saveexec_b64 s[10:11], s[12:13]
	s_cbranch_execz .LBB203_88
; %bb.87:
	v_bfe_u32 v9, v8, 16, 1
	s_movk_i32 s12, 0x7fff
	v_lshlrev_b64 v[0:1], 1, v[0:1]
	v_add3_u32 v9, v8, v9, s12
	v_cmp_o_f32_e32 vcc, v8, v8
	v_mov_b32_e32 v10, 0x7fc0
	v_cndmask_b32_sdwa v9, v10, v9, vcc dst_sel:DWORD dst_unused:UNUSED_PAD src0_sel:DWORD src1_sel:WORD_1
	v_mov_b32_e32 v10, s5
	v_add_co_u32_e32 v0, vcc, s4, v0
	v_addc_co_u32_e32 v1, vcc, v10, v1, vcc
	global_store_short v[0:1], v9, off
.LBB203_88:
	s_or_b64 exec, exec, s[10:11]
	s_movk_i32 s10, 0x700
	v_cmp_gt_u32_e32 vcc, s10, v4
	s_and_b64 exec, exec, vcc
	s_cbranch_execz .LBB203_123
; %bb.89:
	s_and_saveexec_b64 s[10:11], s[0:1]
; %bb.90:
	v_lshlrev_b32_e32 v0, 2, v2
	v_lshlrev_b32_e32 v1, 2, v3
	v_add3_u32 v0, 0, v0, v1
	ds_read_b32 v8, v0 offset:16
; %bb.91:
	s_or_b64 exec, exec, s[10:11]
	s_waitcnt lgkmcnt(0)
	ds_bpermute_b32 v0, v5, v8
	v_mov_b32_e32 v9, s7
	s_waitcnt lgkmcnt(0)
	v_add_f32_e32 v0, v8, v0
	ds_bpermute_b32 v1, v6, v0
	v_add_u32_e32 v8, 4, v2
	s_waitcnt lgkmcnt(0)
	v_add_f32_e32 v10, v0, v1
	ds_bpermute_b32 v11, v7, v10
	v_add_co_u32_e32 v0, vcc, s6, v8
	v_addc_co_u32_e32 v1, vcc, 0, v9, vcc
	v_cmp_le_i64_e32 vcc, s[14:15], v[0:1]
	s_waitcnt lgkmcnt(0)
	v_add_f32_e32 v0, v10, v11
	s_or_b64 s[10:11], s[2:3], vcc
	s_nor_b64 s[12:13], s[8:9], s[10:11]
	s_and_saveexec_b64 s[10:11], s[12:13]
	s_cbranch_execz .LBB203_93
; %bb.92:
	v_bfe_u32 v1, v0, 16, 1
	s_movk_i32 s12, 0x7fff
	v_add3_u32 v1, v0, v1, s12
	v_cmp_o_f32_e32 vcc, v0, v0
	v_mov_b32_e32 v8, 0x7fc0
	v_cndmask_b32_sdwa v1, v8, v1, vcc dst_sel:DWORD dst_unused:UNUSED_PAD src0_sel:DWORD src1_sel:WORD_1
	v_mov_b32_e32 v9, s7
	v_add_co_u32_e32 v8, vcc, s6, v2
	v_addc_co_u32_e32 v9, vcc, 0, v9, vcc
	v_lshlrev_b64 v[8:9], 1, v[8:9]
	v_mov_b32_e32 v10, s5
	v_add_co_u32_e32 v8, vcc, s4, v8
	v_addc_co_u32_e32 v9, vcc, v10, v9, vcc
	global_store_short v[8:9], v1, off offset:8
.LBB203_93:
	s_or_b64 exec, exec, s[10:11]
	s_movk_i32 s10, 0x600
	v_cmp_gt_u32_e32 vcc, s10, v4
	s_and_b64 exec, exec, vcc
	s_cbranch_execz .LBB203_123
; %bb.94:
	s_and_saveexec_b64 s[10:11], s[0:1]
; %bb.95:
	v_lshlrev_b32_e32 v0, 2, v2
	v_lshlrev_b32_e32 v1, 2, v3
	v_add3_u32 v0, 0, v0, v1
	ds_read_b32 v0, v0 offset:32
; %bb.96:
	s_or_b64 exec, exec, s[10:11]
	s_waitcnt lgkmcnt(0)
	ds_bpermute_b32 v1, v5, v0
	v_add_u32_e32 v8, 8, v2
	v_mov_b32_e32 v9, s7
	s_waitcnt lgkmcnt(0)
	v_add_f32_e32 v0, v0, v1
	ds_bpermute_b32 v1, v6, v0
	s_waitcnt lgkmcnt(0)
	v_add_f32_e32 v10, v0, v1
	ds_bpermute_b32 v11, v7, v10
	v_add_co_u32_e32 v0, vcc, s6, v8
	v_addc_co_u32_e32 v1, vcc, 0, v9, vcc
	v_cmp_le_i64_e32 vcc, s[14:15], v[0:1]
	s_waitcnt lgkmcnt(0)
	v_add_f32_e32 v0, v10, v11
	s_or_b64 s[10:11], s[2:3], vcc
	s_nor_b64 s[12:13], s[8:9], s[10:11]
	s_and_saveexec_b64 s[10:11], s[12:13]
	s_cbranch_execz .LBB203_98
; %bb.97:
	v_bfe_u32 v1, v0, 16, 1
	s_movk_i32 s12, 0x7fff
	v_add3_u32 v1, v0, v1, s12
	v_cmp_o_f32_e32 vcc, v0, v0
	v_mov_b32_e32 v8, 0x7fc0
	v_cndmask_b32_sdwa v1, v8, v1, vcc dst_sel:DWORD dst_unused:UNUSED_PAD src0_sel:DWORD src1_sel:WORD_1
	v_mov_b32_e32 v9, s7
	v_add_co_u32_e32 v8, vcc, s6, v2
	v_addc_co_u32_e32 v9, vcc, 0, v9, vcc
	v_lshlrev_b64 v[8:9], 1, v[8:9]
	v_mov_b32_e32 v10, s5
	v_add_co_u32_e32 v8, vcc, s4, v8
	v_addc_co_u32_e32 v9, vcc, v10, v9, vcc
	global_store_short v[8:9], v1, off offset:16
.LBB203_98:
	s_or_b64 exec, exec, s[10:11]
	s_movk_i32 s10, 0x500
	v_cmp_gt_u32_e32 vcc, s10, v4
	s_and_b64 exec, exec, vcc
	s_cbranch_execz .LBB203_123
; %bb.99:
	s_and_saveexec_b64 s[10:11], s[0:1]
; %bb.100:
	v_lshlrev_b32_e32 v0, 2, v2
	v_lshlrev_b32_e32 v1, 2, v3
	v_add3_u32 v0, 0, v0, v1
	ds_read_b32 v0, v0 offset:48
; %bb.101:
	s_or_b64 exec, exec, s[10:11]
	s_waitcnt lgkmcnt(0)
	ds_bpermute_b32 v1, v5, v0
	v_add_u32_e32 v8, 12, v2
	v_mov_b32_e32 v9, s7
	s_waitcnt lgkmcnt(0)
	v_add_f32_e32 v0, v0, v1
	ds_bpermute_b32 v1, v6, v0
	s_waitcnt lgkmcnt(0)
	v_add_f32_e32 v10, v0, v1
	ds_bpermute_b32 v11, v7, v10
	v_add_co_u32_e32 v0, vcc, s6, v8
	v_addc_co_u32_e32 v1, vcc, 0, v9, vcc
	v_cmp_le_i64_e32 vcc, s[14:15], v[0:1]
	s_waitcnt lgkmcnt(0)
	v_add_f32_e32 v0, v10, v11
	s_or_b64 s[10:11], s[2:3], vcc
	s_nor_b64 s[12:13], s[8:9], s[10:11]
	s_and_saveexec_b64 s[10:11], s[12:13]
	s_cbranch_execz .LBB203_103
; %bb.102:
	v_bfe_u32 v1, v0, 16, 1
	s_movk_i32 s12, 0x7fff
	v_add3_u32 v1, v0, v1, s12
	v_cmp_o_f32_e32 vcc, v0, v0
	v_mov_b32_e32 v8, 0x7fc0
	v_cndmask_b32_sdwa v1, v8, v1, vcc dst_sel:DWORD dst_unused:UNUSED_PAD src0_sel:DWORD src1_sel:WORD_1
	v_mov_b32_e32 v9, s7
	v_add_co_u32_e32 v8, vcc, s6, v2
	v_addc_co_u32_e32 v9, vcc, 0, v9, vcc
	v_lshlrev_b64 v[8:9], 1, v[8:9]
	v_mov_b32_e32 v10, s5
	v_add_co_u32_e32 v8, vcc, s4, v8
	v_addc_co_u32_e32 v9, vcc, v10, v9, vcc
	global_store_short v[8:9], v1, off offset:24
.LBB203_103:
	s_or_b64 exec, exec, s[10:11]
	s_movk_i32 s10, 0x400
	v_cmp_gt_u32_e32 vcc, s10, v4
	s_and_b64 exec, exec, vcc
	s_cbranch_execz .LBB203_123
; %bb.104:
	s_and_saveexec_b64 s[10:11], s[0:1]
; %bb.105:
	v_lshlrev_b32_e32 v0, 2, v2
	v_lshlrev_b32_e32 v1, 2, v3
	v_add3_u32 v0, 0, v0, v1
	ds_read_b32 v0, v0 offset:64
; %bb.106:
	s_or_b64 exec, exec, s[10:11]
	s_waitcnt lgkmcnt(0)
	ds_bpermute_b32 v1, v5, v0
	v_add_u32_e32 v9, 16, v2
	s_waitcnt lgkmcnt(0)
	v_add_f32_e32 v0, v0, v1
	ds_bpermute_b32 v8, v6, v0
	v_mov_b32_e32 v1, s7
	s_waitcnt lgkmcnt(0)
	v_add_f32_e32 v8, v0, v8
	ds_bpermute_b32 v10, v7, v8
	v_or_b32_e32 v0, s6, v9
	v_cmp_le_i64_e32 vcc, s[14:15], v[0:1]
	s_or_b64 s[10:11], s[2:3], vcc
	s_waitcnt lgkmcnt(0)
	v_add_f32_e32 v0, v8, v10
	s_nor_b64 s[12:13], s[8:9], s[10:11]
	s_and_saveexec_b64 s[10:11], s[12:13]
	s_cbranch_execz .LBB203_108
; %bb.107:
	v_bfe_u32 v1, v0, 16, 1
	s_movk_i32 s12, 0x7fff
	v_add3_u32 v1, v0, v1, s12
	v_cmp_o_f32_e32 vcc, v0, v0
	v_mov_b32_e32 v8, 0x7fc0
	v_cndmask_b32_sdwa v1, v8, v1, vcc dst_sel:DWORD dst_unused:UNUSED_PAD src0_sel:DWORD src1_sel:WORD_1
	v_mov_b32_e32 v9, s7
	v_add_co_u32_e32 v8, vcc, s6, v2
	v_addc_co_u32_e32 v9, vcc, 0, v9, vcc
	v_lshlrev_b64 v[8:9], 1, v[8:9]
	v_mov_b32_e32 v10, s5
	v_add_co_u32_e32 v8, vcc, s4, v8
	v_addc_co_u32_e32 v9, vcc, v10, v9, vcc
	global_store_short v[8:9], v1, off offset:32
.LBB203_108:
	s_or_b64 exec, exec, s[10:11]
	s_movk_i32 s10, 0x300
	v_cmp_gt_u32_e32 vcc, s10, v4
	s_and_b64 exec, exec, vcc
	s_cbranch_execz .LBB203_123
; %bb.109:
	s_and_saveexec_b64 s[10:11], s[0:1]
; %bb.110:
	v_lshlrev_b32_e32 v0, 2, v2
	v_lshlrev_b32_e32 v1, 2, v3
	v_add3_u32 v0, 0, v0, v1
	ds_read_b32 v0, v0 offset:80
; %bb.111:
	s_or_b64 exec, exec, s[10:11]
	s_waitcnt lgkmcnt(0)
	ds_bpermute_b32 v1, v5, v0
	v_add_u32_e32 v8, 20, v2
	v_mov_b32_e32 v9, s7
	s_waitcnt lgkmcnt(0)
	v_add_f32_e32 v0, v0, v1
	ds_bpermute_b32 v1, v6, v0
	s_waitcnt lgkmcnt(0)
	v_add_f32_e32 v10, v0, v1
	ds_bpermute_b32 v11, v7, v10
	v_add_co_u32_e32 v0, vcc, s6, v8
	v_addc_co_u32_e32 v1, vcc, 0, v9, vcc
	v_cmp_le_i64_e32 vcc, s[14:15], v[0:1]
	s_waitcnt lgkmcnt(0)
	v_add_f32_e32 v0, v10, v11
	s_or_b64 s[10:11], s[2:3], vcc
	s_nor_b64 s[12:13], s[8:9], s[10:11]
	s_and_saveexec_b64 s[10:11], s[12:13]
	s_cbranch_execz .LBB203_113
; %bb.112:
	v_bfe_u32 v1, v0, 16, 1
	s_movk_i32 s12, 0x7fff
	v_add3_u32 v1, v0, v1, s12
	v_cmp_o_f32_e32 vcc, v0, v0
	v_mov_b32_e32 v8, 0x7fc0
	v_cndmask_b32_sdwa v1, v8, v1, vcc dst_sel:DWORD dst_unused:UNUSED_PAD src0_sel:DWORD src1_sel:WORD_1
	v_mov_b32_e32 v9, s7
	v_add_co_u32_e32 v8, vcc, s6, v2
	v_addc_co_u32_e32 v9, vcc, 0, v9, vcc
	v_lshlrev_b64 v[8:9], 1, v[8:9]
	v_mov_b32_e32 v10, s5
	v_add_co_u32_e32 v8, vcc, s4, v8
	v_addc_co_u32_e32 v9, vcc, v10, v9, vcc
	global_store_short v[8:9], v1, off offset:40
.LBB203_113:
	s_or_b64 exec, exec, s[10:11]
	s_movk_i32 s10, 0x200
	v_cmp_gt_u32_e32 vcc, s10, v4
	s_and_b64 exec, exec, vcc
	s_cbranch_execz .LBB203_123
; %bb.114:
	s_and_saveexec_b64 s[10:11], s[0:1]
; %bb.115:
	v_lshlrev_b32_e32 v0, 2, v2
	v_lshlrev_b32_e32 v1, 2, v3
	v_add3_u32 v0, 0, v0, v1
	ds_read_b32 v0, v0 offset:96
; %bb.116:
	s_or_b64 exec, exec, s[10:11]
	s_waitcnt lgkmcnt(0)
	ds_bpermute_b32 v1, v5, v0
	v_add_u32_e32 v9, 24, v2
	s_waitcnt lgkmcnt(0)
	v_add_f32_e32 v0, v0, v1
	ds_bpermute_b32 v8, v6, v0
	v_mov_b32_e32 v1, s7
	s_waitcnt lgkmcnt(0)
	v_add_f32_e32 v8, v0, v8
	ds_bpermute_b32 v10, v7, v8
	v_or_b32_e32 v0, s6, v9
	v_cmp_le_i64_e32 vcc, s[14:15], v[0:1]
	s_or_b64 s[10:11], s[2:3], vcc
	s_waitcnt lgkmcnt(0)
	v_add_f32_e32 v0, v8, v10
	s_nor_b64 s[12:13], s[8:9], s[10:11]
	s_and_saveexec_b64 s[10:11], s[12:13]
	s_cbranch_execz .LBB203_118
; %bb.117:
	v_bfe_u32 v1, v0, 16, 1
	s_movk_i32 s12, 0x7fff
	v_add3_u32 v1, v0, v1, s12
	v_cmp_o_f32_e32 vcc, v0, v0
	v_mov_b32_e32 v8, 0x7fc0
	v_cndmask_b32_sdwa v1, v8, v1, vcc dst_sel:DWORD dst_unused:UNUSED_PAD src0_sel:DWORD src1_sel:WORD_1
	v_mov_b32_e32 v9, s7
	v_add_co_u32_e32 v8, vcc, s6, v2
	v_addc_co_u32_e32 v9, vcc, 0, v9, vcc
	v_lshlrev_b64 v[8:9], 1, v[8:9]
	v_mov_b32_e32 v10, s5
	v_add_co_u32_e32 v8, vcc, s4, v8
	v_addc_co_u32_e32 v9, vcc, v10, v9, vcc
	global_store_short v[8:9], v1, off offset:48
.LBB203_118:
	s_or_b64 exec, exec, s[10:11]
	s_movk_i32 s10, 0x100
	v_cmp_gt_u32_e32 vcc, s10, v4
	s_and_b64 exec, exec, vcc
	s_cbranch_execz .LBB203_123
; %bb.119:
	s_and_saveexec_b64 s[10:11], s[0:1]
; %bb.120:
	v_lshlrev_b32_e32 v0, 2, v2
	v_lshlrev_b32_e32 v1, 2, v3
	v_add3_u32 v0, 0, v0, v1
	ds_read_b32 v0, v0 offset:112
; %bb.121:
	s_or_b64 exec, exec, s[10:11]
	s_waitcnt lgkmcnt(0)
	ds_bpermute_b32 v1, v5, v0
	v_add_u32_e32 v3, 28, v2
	v_or_b32_e32 v3, s6, v3
	v_mov_b32_e32 v4, s7
	v_cmp_le_i64_e32 vcc, s[14:15], v[3:4]
	s_waitcnt lgkmcnt(0)
	v_add_f32_e32 v0, v0, v1
	ds_bpermute_b32 v1, v6, v0
	s_or_b64 s[0:1], s[2:3], vcc
	s_nor_b64 s[0:1], s[8:9], s[0:1]
	s_waitcnt lgkmcnt(0)
	v_add_f32_e32 v0, v0, v1
	ds_bpermute_b32 v1, v7, v0
	s_and_saveexec_b64 s[2:3], s[0:1]
	s_xor_b64 s[2:3], exec, s[2:3]
	s_cbranch_execz .LBB203_123
; %bb.122:
	s_waitcnt lgkmcnt(0)
	v_add_f32_e32 v0, v0, v1
	v_bfe_u32 v1, v0, 16, 1
	s_movk_i32 s0, 0x7fff
	v_add3_u32 v1, v0, v1, s0
	v_cmp_o_f32_e32 vcc, v0, v0
	v_mov_b32_e32 v0, 0x7fc0
	v_cndmask_b32_sdwa v3, v0, v1, vcc dst_sel:DWORD dst_unused:UNUSED_PAD src0_sel:DWORD src1_sel:WORD_1
	v_mov_b32_e32 v1, s7
	v_add_co_u32_e32 v0, vcc, s6, v2
	v_addc_co_u32_e32 v1, vcc, 0, v1, vcc
	v_lshlrev_b64 v[0:1], 1, v[0:1]
	v_mov_b32_e32 v2, s5
	v_add_co_u32_e32 v0, vcc, s4, v0
	v_addc_co_u32_e32 v1, vcc, v2, v1, vcc
	global_store_short v[0:1], v3, off offset:56
.LBB203_123:
	s_endpgm
	.section	.rodata,"a",@progbits
	.p2align	6, 0x0
	.amdhsa_kernel _ZN2at6native12_GLOBAL__N_135GammaBetaBackwardCUDAKernelTemplateIN3c108BFloat16EfLj32ELj8ELj64ELb0ELb0ELb1EEEvllPKT_S7_PKT0_SA_PS5_SB_
		.amdhsa_group_segment_fixed_size 0
		.amdhsa_private_segment_fixed_size 0
		.amdhsa_kernarg_size 320
		.amdhsa_user_sgpr_count 6
		.amdhsa_user_sgpr_private_segment_buffer 1
		.amdhsa_user_sgpr_dispatch_ptr 0
		.amdhsa_user_sgpr_queue_ptr 0
		.amdhsa_user_sgpr_kernarg_segment_ptr 1
		.amdhsa_user_sgpr_dispatch_id 0
		.amdhsa_user_sgpr_flat_scratch_init 0
		.amdhsa_user_sgpr_private_segment_size 0
		.amdhsa_uses_dynamic_stack 0
		.amdhsa_system_sgpr_private_segment_wavefront_offset 0
		.amdhsa_system_sgpr_workgroup_id_x 1
		.amdhsa_system_sgpr_workgroup_id_y 1
		.amdhsa_system_sgpr_workgroup_id_z 0
		.amdhsa_system_sgpr_workgroup_info 0
		.amdhsa_system_vgpr_workitem_id 1
		.amdhsa_next_free_vgpr 90
		.amdhsa_next_free_sgpr 34
		.amdhsa_reserve_vcc 1
		.amdhsa_reserve_flat_scratch 0
		.amdhsa_float_round_mode_32 0
		.amdhsa_float_round_mode_16_64 0
		.amdhsa_float_denorm_mode_32 3
		.amdhsa_float_denorm_mode_16_64 3
		.amdhsa_dx10_clamp 1
		.amdhsa_ieee_mode 1
		.amdhsa_fp16_overflow 0
		.amdhsa_exception_fp_ieee_invalid_op 0
		.amdhsa_exception_fp_denorm_src 0
		.amdhsa_exception_fp_ieee_div_zero 0
		.amdhsa_exception_fp_ieee_overflow 0
		.amdhsa_exception_fp_ieee_underflow 0
		.amdhsa_exception_fp_ieee_inexact 0
		.amdhsa_exception_int_div_zero 0
	.end_amdhsa_kernel
	.section	.text._ZN2at6native12_GLOBAL__N_135GammaBetaBackwardCUDAKernelTemplateIN3c108BFloat16EfLj32ELj8ELj64ELb0ELb0ELb1EEEvllPKT_S7_PKT0_SA_PS5_SB_,"axG",@progbits,_ZN2at6native12_GLOBAL__N_135GammaBetaBackwardCUDAKernelTemplateIN3c108BFloat16EfLj32ELj8ELj64ELb0ELb0ELb1EEEvllPKT_S7_PKT0_SA_PS5_SB_,comdat
.Lfunc_end203:
	.size	_ZN2at6native12_GLOBAL__N_135GammaBetaBackwardCUDAKernelTemplateIN3c108BFloat16EfLj32ELj8ELj64ELb0ELb0ELb1EEEvllPKT_S7_PKT0_SA_PS5_SB_, .Lfunc_end203-_ZN2at6native12_GLOBAL__N_135GammaBetaBackwardCUDAKernelTemplateIN3c108BFloat16EfLj32ELj8ELj64ELb0ELb0ELb1EEEvllPKT_S7_PKT0_SA_PS5_SB_
                                        ; -- End function
	.set _ZN2at6native12_GLOBAL__N_135GammaBetaBackwardCUDAKernelTemplateIN3c108BFloat16EfLj32ELj8ELj64ELb0ELb0ELb1EEEvllPKT_S7_PKT0_SA_PS5_SB_.num_vgpr, 90
	.set _ZN2at6native12_GLOBAL__N_135GammaBetaBackwardCUDAKernelTemplateIN3c108BFloat16EfLj32ELj8ELj64ELb0ELb0ELb1EEEvllPKT_S7_PKT0_SA_PS5_SB_.num_agpr, 0
	.set _ZN2at6native12_GLOBAL__N_135GammaBetaBackwardCUDAKernelTemplateIN3c108BFloat16EfLj32ELj8ELj64ELb0ELb0ELb1EEEvllPKT_S7_PKT0_SA_PS5_SB_.numbered_sgpr, 34
	.set _ZN2at6native12_GLOBAL__N_135GammaBetaBackwardCUDAKernelTemplateIN3c108BFloat16EfLj32ELj8ELj64ELb0ELb0ELb1EEEvllPKT_S7_PKT0_SA_PS5_SB_.num_named_barrier, 0
	.set _ZN2at6native12_GLOBAL__N_135GammaBetaBackwardCUDAKernelTemplateIN3c108BFloat16EfLj32ELj8ELj64ELb0ELb0ELb1EEEvllPKT_S7_PKT0_SA_PS5_SB_.private_seg_size, 0
	.set _ZN2at6native12_GLOBAL__N_135GammaBetaBackwardCUDAKernelTemplateIN3c108BFloat16EfLj32ELj8ELj64ELb0ELb0ELb1EEEvllPKT_S7_PKT0_SA_PS5_SB_.uses_vcc, 1
	.set _ZN2at6native12_GLOBAL__N_135GammaBetaBackwardCUDAKernelTemplateIN3c108BFloat16EfLj32ELj8ELj64ELb0ELb0ELb1EEEvllPKT_S7_PKT0_SA_PS5_SB_.uses_flat_scratch, 0
	.set _ZN2at6native12_GLOBAL__N_135GammaBetaBackwardCUDAKernelTemplateIN3c108BFloat16EfLj32ELj8ELj64ELb0ELb0ELb1EEEvllPKT_S7_PKT0_SA_PS5_SB_.has_dyn_sized_stack, 0
	.set _ZN2at6native12_GLOBAL__N_135GammaBetaBackwardCUDAKernelTemplateIN3c108BFloat16EfLj32ELj8ELj64ELb0ELb0ELb1EEEvllPKT_S7_PKT0_SA_PS5_SB_.has_recursion, 0
	.set _ZN2at6native12_GLOBAL__N_135GammaBetaBackwardCUDAKernelTemplateIN3c108BFloat16EfLj32ELj8ELj64ELb0ELb0ELb1EEEvllPKT_S7_PKT0_SA_PS5_SB_.has_indirect_call, 0
	.section	.AMDGPU.csdata,"",@progbits
; Kernel info:
; codeLenInByte = 8128
; TotalNumSgprs: 38
; NumVgprs: 90
; ScratchSize: 0
; MemoryBound: 0
; FloatMode: 240
; IeeeMode: 1
; LDSByteSize: 0 bytes/workgroup (compile time only)
; SGPRBlocks: 4
; VGPRBlocks: 22
; NumSGPRsForWavesPerEU: 38
; NumVGPRsForWavesPerEU: 90
; Occupancy: 2
; WaveLimiterHint : 0
; COMPUTE_PGM_RSRC2:SCRATCH_EN: 0
; COMPUTE_PGM_RSRC2:USER_SGPR: 6
; COMPUTE_PGM_RSRC2:TRAP_HANDLER: 0
; COMPUTE_PGM_RSRC2:TGID_X_EN: 1
; COMPUTE_PGM_RSRC2:TGID_Y_EN: 1
; COMPUTE_PGM_RSRC2:TGID_Z_EN: 0
; COMPUTE_PGM_RSRC2:TIDIG_COMP_CNT: 1
	.section	.text._ZN2at6native12_GLOBAL__N_135GammaBetaBackwardCUDAKernelTemplateIN3c108BFloat16EfLj32ELj16ELj128ELb0ELb1ELb1EEEvllPKT_S7_PKT0_SA_PS5_SB_,"axG",@progbits,_ZN2at6native12_GLOBAL__N_135GammaBetaBackwardCUDAKernelTemplateIN3c108BFloat16EfLj32ELj16ELj128ELb0ELb1ELb1EEEvllPKT_S7_PKT0_SA_PS5_SB_,comdat
	.globl	_ZN2at6native12_GLOBAL__N_135GammaBetaBackwardCUDAKernelTemplateIN3c108BFloat16EfLj32ELj16ELj128ELb0ELb1ELb1EEEvllPKT_S7_PKT0_SA_PS5_SB_ ; -- Begin function _ZN2at6native12_GLOBAL__N_135GammaBetaBackwardCUDAKernelTemplateIN3c108BFloat16EfLj32ELj16ELj128ELb0ELb1ELb1EEEvllPKT_S7_PKT0_SA_PS5_SB_
	.p2align	8
	.type	_ZN2at6native12_GLOBAL__N_135GammaBetaBackwardCUDAKernelTemplateIN3c108BFloat16EfLj32ELj16ELj128ELb0ELb1ELb1EEEvllPKT_S7_PKT0_SA_PS5_SB_,@function
_ZN2at6native12_GLOBAL__N_135GammaBetaBackwardCUDAKernelTemplateIN3c108BFloat16EfLj32ELj16ELj128ELb0ELb1ELb1EEEvllPKT_S7_PKT0_SA_PS5_SB_: ; @_ZN2at6native12_GLOBAL__N_135GammaBetaBackwardCUDAKernelTemplateIN3c108BFloat16EfLj32ELj16ELj128ELb0ELb1ELb1EEEvllPKT_S7_PKT0_SA_PS5_SB_
; %bb.0:
	s_load_dwordx4 s[8:11], s[4:5], 0x0
	s_lshl_b32 s18, s7, 7
	s_mov_b32 s19, 0
	v_mov_b32_e32 v2, s18
	v_mov_b32_e32 v3, s19
	s_waitcnt lgkmcnt(0)
	v_cmp_gt_i64_e32 vcc, s[8:9], v[2:3]
	s_cbranch_vccnz .LBB204_2
; %bb.1:
	s_mov_b64 s[0:1], 0
	s_branch .LBB204_3
.LBB204_2:
	s_mov_b64 s[0:1], -1
.LBB204_3:
	s_load_dwordx2 s[16:17], s[4:5], 0x30
	v_mov_b32_e32 v3, 0
	s_andn2_b64 vcc, exec, s[0:1]
	v_mbcnt_lo_u32_b32 v8, -1, 0
	s_cbranch_vccnz .LBB204_10
; %bb.4:
	s_load_dword s0, s[4:5], 0x4c
	s_load_dword s7, s[4:5], 0x44
	s_load_dwordx4 s[12:15], s[4:5], 0x10
	s_load_dwordx2 s[2:3], s[4:5], 0x28
	v_lshlrev_b32_e32 v4, 3, v1
	s_waitcnt lgkmcnt(0)
	s_and_b32 s0, s0, 0xffff
	v_mad_u32_u24 v2, v1, s0, v0
	v_and_b32_e32 v5, 63, v2
	v_add_co_u32_e32 v10, vcc, s18, v4
	v_addc_co_u32_e64 v11, s[20:21], 0, 0, vcc
	v_add_co_u32_e32 v4, vcc, v10, v5
	v_cmp_gt_u32_e64 s[0:1], 8, v5
	v_mbcnt_hi_u32_b32 v6, -1, v8
	v_addc_co_u32_e32 v5, vcc, 0, v11, vcc
	v_mul_lo_u32 v14, s11, v10
	v_mul_lo_u32 v15, s10, v11
	v_mad_u64_u32 v[11:12], s[20:21], s10, v10, 0
	v_lshlrev_b32_e32 v6, 2, v6
	v_and_b32_e32 v9, 0x100, v6
	v_lshlrev_b64 v[6:7], 2, v[4:5]
	v_mov_b32_e32 v3, 0
	v_lshl_add_u32 v2, s6, 5, v0
	v_mov_b32_e32 v13, s3
	v_add_co_u32_e32 v6, vcc, s2, v6
	v_add3_u32 v12, v12, v15, v14
	v_addc_co_u32_e32 v7, vcc, v13, v7, vcc
	v_lshlrev_b64 v[11:12], 1, v[11:12]
	v_lshlrev_b64 v[13:14], 1, v[2:3]
	s_lshl_b32 s4, s7, 7
	s_mul_i32 s2, s11, s4
	s_mul_hi_u32 s3, s10, s4
	s_mov_b32 s5, 0
	v_add_co_u32_e32 v2, vcc, v11, v13
	s_add_i32 s3, s3, s2
	s_mul_i32 s2, s10, s4
	v_or_b32_e32 v10, 20, v9
	v_addc_co_u32_e32 v11, vcc, v12, v14, vcc
	v_or_b32_e32 v12, 24, v9
	v_or_b32_e32 v13, 28, v9
	s_lshl_b64 s[20:21], s[4:5], 2
	s_lshl_b64 s[22:23], s[2:3], 1
	;; [unrolled: 1-line block ×3, first 2 shown]
	s_branch .LBB204_7
.LBB204_5:                              ;   in Loop: Header=BB204_7 Depth=1
	s_or_b64 exec, exec, s[24:25]
.LBB204_6:                              ;   in Loop: Header=BB204_7 Depth=1
	s_or_b64 exec, exec, s[2:3]
	v_mov_b32_e32 v16, s13
	v_add_co_u32_e32 v15, vcc, s12, v2
	v_addc_co_u32_e32 v16, vcc, v16, v11, vcc
	v_mov_b32_e32 v18, s15
	v_add_co_u32_e32 v17, vcc, s14, v2
	v_addc_co_u32_e32 v18, vcc, v18, v11, vcc
	;; [unrolled: 3-line block ×3, first 2 shown]
	global_load_ushort v22, v[17:18], off
	v_add_co_u32_e32 v17, vcc, s10, v15
	global_load_ushort v15, v[15:16], off
	v_addc_co_u32_e32 v18, vcc, v16, v21, vcc
	s_add_u32 s18, s18, s4
	s_addc_u32 s19, s19, 0
	v_add_co_u32_e64 v6, s[2:3], s20, v6
	s_waitcnt vmcnt(1)
	v_lshlrev_b32_e32 v16, 16, v22
	global_load_ushort v22, v[19:20], off
	s_waitcnt vmcnt(1)
	v_lshlrev_b32_e32 v15, 16, v15
	v_mul_f32_e32 v15, v15, v16
	ds_bpermute_b32 v16, v9, v14
	s_waitcnt lgkmcnt(0)
	v_fmac_f32_e32 v3, v15, v16
	v_add_co_u32_e32 v15, vcc, s10, v19
	v_addc_co_u32_e32 v16, vcc, v20, v21, vcc
	v_add_co_u32_e32 v19, vcc, s10, v17
	global_load_ushort v17, v[17:18], off
	v_addc_co_u32_e32 v20, vcc, v18, v21, vcc
	s_waitcnt vmcnt(1)
	v_lshlrev_b32_e32 v18, 16, v22
	global_load_ushort v22, v[15:16], off
	s_waitcnt vmcnt(1)
	v_lshlrev_b32_e32 v17, 16, v17
	v_mul_f32_e32 v17, v17, v18
	v_or_b32_e32 v18, 4, v9
	ds_bpermute_b32 v18, v18, v14
	s_waitcnt lgkmcnt(0)
	v_fmac_f32_e32 v3, v17, v18
	v_add_co_u32_e32 v17, vcc, s10, v15
	v_addc_co_u32_e32 v18, vcc, v16, v21, vcc
	v_add_co_u32_e32 v15, vcc, s10, v19
	global_load_ushort v19, v[19:20], off
	v_addc_co_u32_e32 v16, vcc, v20, v21, vcc
	s_waitcnt vmcnt(1)
	v_lshlrev_b32_e32 v20, 16, v22
	global_load_ushort v22, v[17:18], off
	s_waitcnt vmcnt(1)
	v_lshlrev_b32_e32 v19, 16, v19
	v_mul_f32_e32 v19, v19, v20
	v_or_b32_e32 v20, 8, v9
	;; [unrolled: 15-line block ×4, first 2 shown]
	ds_bpermute_b32 v18, v18, v14
	s_waitcnt lgkmcnt(0)
	v_fmac_f32_e32 v3, v17, v18
	v_add_co_u32_e32 v17, vcc, s10, v15
	v_addc_co_u32_e32 v18, vcc, v16, v21, vcc
	v_add_co_u32_e32 v15, vcc, s10, v19
	global_load_ushort v19, v[19:20], off
	v_addc_co_u32_e32 v16, vcc, v20, v21, vcc
	s_waitcnt vmcnt(1)
	v_lshlrev_b32_e32 v20, 16, v22
	global_load_ushort v22, v[17:18], off
	s_waitcnt vmcnt(1)
	v_lshlrev_b32_e32 v19, 16, v19
	v_mul_f32_e32 v19, v19, v20
	ds_bpermute_b32 v20, v10, v14
	s_waitcnt lgkmcnt(0)
	v_fmac_f32_e32 v3, v19, v20
	v_add_co_u32_e32 v19, vcc, s10, v17
	v_addc_co_u32_e32 v20, vcc, v18, v21, vcc
	v_add_co_u32_e32 v17, vcc, s10, v15
	global_load_ushort v15, v[15:16], off
	v_addc_co_u32_e32 v18, vcc, v16, v21, vcc
	s_waitcnt vmcnt(1)
	v_lshlrev_b32_e32 v16, 16, v22
	s_waitcnt vmcnt(0)
	v_lshlrev_b32_e32 v15, 16, v15
	v_mul_f32_e32 v15, v15, v16
	ds_bpermute_b32 v16, v12, v14
	ds_bpermute_b32 v14, v13, v14
	s_waitcnt lgkmcnt(1)
	v_fmac_f32_e32 v3, v15, v16
	global_load_ushort v15, v[19:20], off
	global_load_ushort v16, v[17:18], off
	s_waitcnt vmcnt(1)
	v_lshlrev_b32_e32 v15, 16, v15
	s_waitcnt vmcnt(0)
	v_lshlrev_b32_e32 v16, 16, v16
	v_mul_f32_e32 v15, v16, v15
	s_waitcnt lgkmcnt(0)
	v_fmac_f32_e32 v3, v15, v14
	v_mov_b32_e32 v15, s9
	v_mov_b32_e32 v14, s8
	v_cmp_lt_i64_e32 vcc, s[18:19], v[14:15]
	v_mov_b32_e32 v14, s21
	v_addc_co_u32_e64 v7, s[2:3], v7, v14, s[2:3]
	v_add_co_u32_e64 v2, s[2:3], s22, v2
	v_mov_b32_e32 v14, s23
	v_addc_co_u32_e64 v11, s[2:3], v11, v14, s[2:3]
	v_add_co_u32_e64 v4, s[2:3], s4, v4
	v_addc_co_u32_e64 v5, s[2:3], 0, v5, s[2:3]
	s_cbranch_vccz .LBB204_10
.LBB204_7:                              ; =>This Inner Loop Header: Depth=1
	v_mov_b32_e32 v14, 0
	s_and_saveexec_b64 s[2:3], s[0:1]
	s_cbranch_execz .LBB204_6
; %bb.8:                                ;   in Loop: Header=BB204_7 Depth=1
	v_cmp_gt_i64_e32 vcc, s[8:9], v[4:5]
	v_mov_b32_e32 v14, 0
	s_and_saveexec_b64 s[24:25], vcc
	s_cbranch_execz .LBB204_5
; %bb.9:                                ;   in Loop: Header=BB204_7 Depth=1
	global_load_dword v14, v[6:7], off
	s_branch .LBB204_5
.LBB204_10:
	v_mad_u32_u24 v2, v1, 33, v0
	v_lshl_add_u32 v4, v2, 2, 0
	ds_write_b32 v4, v3
	v_mov_b32_e32 v3, 0
	ds_write_b32 v4, v3 offset:2112
	v_sub_u32_e32 v3, v2, v1
	s_movk_i32 s0, 0x800
	v_cmp_gt_u32_e32 vcc, s0, v3
	s_waitcnt lgkmcnt(0)
	s_barrier
	s_and_saveexec_b64 s[0:1], vcc
	s_cbranch_execz .LBB204_30
; %bb.11:
	v_and_b32_e32 v2, 63, v3
	v_lshrrev_b32_e32 v1, 6, v3
	v_cmp_gt_u32_e64 s[0:1], 16, v2
	v_mul_u32_u24_e32 v2, 33, v2
                                        ; implicit-def: $vgpr5
	s_and_saveexec_b64 s[2:3], s[0:1]
; %bb.12:
	v_lshlrev_b32_e32 v4, 2, v1
	v_lshlrev_b32_e32 v5, 2, v2
	v_add3_u32 v4, 0, v4, v5
	ds_read_b32 v5, v4
; %bb.13:
	s_or_b64 exec, exec, s[2:3]
	v_mbcnt_hi_u32_b32 v7, -1, v8
	v_and_b32_e32 v4, 64, v7
	v_add_u32_e32 v8, 64, v4
	v_xor_b32_e32 v4, 8, v7
	v_cmp_lt_i32_e32 vcc, v4, v8
	v_cndmask_b32_e32 v4, v7, v4, vcc
	v_lshlrev_b32_e32 v4, 2, v4
	s_waitcnt lgkmcnt(0)
	ds_bpermute_b32 v6, v4, v5
	v_xor_b32_e32 v9, 4, v7
	v_cmp_lt_i32_e32 vcc, v9, v8
	v_xor_b32_e32 v10, 2, v7
	s_cmp_lg_u64 s[16:17], 0
	s_waitcnt lgkmcnt(0)
	v_add_f32_e32 v6, v5, v6
	v_cndmask_b32_e32 v5, v7, v9, vcc
	v_lshlrev_b32_e32 v5, 2, v5
	ds_bpermute_b32 v9, v5, v6
	v_cmp_lt_i32_e32 vcc, v10, v8
	s_mov_b32 s7, 0
	s_cselect_b64 s[4:5], -1, 0
	s_waitcnt lgkmcnt(0)
	v_add_f32_e32 v9, v6, v9
	v_cndmask_b32_e32 v6, v7, v10, vcc
	v_lshlrev_b32_e32 v6, 2, v6
	ds_bpermute_b32 v10, v6, v9
	v_cmp_eq_u32_e32 vcc, 0, v0
	v_xor_b32_e32 v0, 1, v7
	v_cmp_lt_i32_e64 s[2:3], v0, v8
	v_cndmask_b32_e64 v0, v7, v0, s[2:3]
	s_waitcnt lgkmcnt(0)
	v_add_f32_e32 v9, v9, v10
	v_lshlrev_b32_e32 v0, 2, v0
	ds_bpermute_b32 v7, v0, v9
	s_and_b64 s[4:5], vcc, s[4:5]
	s_lshl_b64 s[2:3], s[6:7], 6
	s_add_u32 s2, s16, s2
	s_addc_u32 s3, s17, s3
	s_waitcnt lgkmcnt(0)
	v_add_f32_e32 v7, v9, v7
	s_and_saveexec_b64 s[6:7], s[4:5]
	s_cbranch_execz .LBB204_15
; %bb.14:
	v_bfe_u32 v8, v7, 16, 1
	s_movk_i32 s8, 0x7fff
	v_add3_u32 v8, v7, v8, s8
	v_cmp_o_f32_e32 vcc, v7, v7
	v_mov_b32_e32 v9, 0x7fc0
	v_cndmask_b32_sdwa v8, v9, v8, vcc dst_sel:DWORD dst_unused:UNUSED_PAD src0_sel:DWORD src1_sel:WORD_1
	v_lshlrev_b32_e32 v9, 1, v1
	global_store_short v9, v8, s[2:3]
.LBB204_15:
	s_or_b64 exec, exec, s[6:7]
	s_movk_i32 s6, 0x600
	v_cmp_gt_u32_e32 vcc, s6, v3
	s_and_b64 exec, exec, vcc
	s_cbranch_execz .LBB204_30
; %bb.16:
	s_and_saveexec_b64 s[6:7], s[0:1]
; %bb.17:
	v_lshlrev_b32_e32 v7, 2, v1
	v_lshlrev_b32_e32 v8, 2, v2
	v_add3_u32 v7, 0, v7, v8
	ds_read_b32 v7, v7 offset:32
; %bb.18:
	s_or_b64 exec, exec, s[6:7]
	s_waitcnt lgkmcnt(0)
	ds_bpermute_b32 v8, v4, v7
	s_waitcnt lgkmcnt(0)
	v_add_f32_e32 v7, v7, v8
	ds_bpermute_b32 v8, v5, v7
	s_waitcnt lgkmcnt(0)
	v_add_f32_e32 v7, v7, v8
	;; [unrolled: 3-line block ×4, first 2 shown]
	s_and_saveexec_b64 s[6:7], s[4:5]
	s_cbranch_execz .LBB204_20
; %bb.19:
	v_bfe_u32 v8, v7, 16, 1
	s_movk_i32 s8, 0x7fff
	v_add3_u32 v8, v7, v8, s8
	v_cmp_o_f32_e32 vcc, v7, v7
	v_mov_b32_e32 v9, 0x7fc0
	v_cndmask_b32_sdwa v8, v9, v8, vcc dst_sel:DWORD dst_unused:UNUSED_PAD src0_sel:DWORD src1_sel:WORD_1
	v_lshlrev_b32_e32 v9, 1, v1
	global_store_short v9, v8, s[2:3] offset:16
.LBB204_20:
	s_or_b64 exec, exec, s[6:7]
	s_movk_i32 s6, 0x400
	v_cmp_gt_u32_e32 vcc, s6, v3
	s_and_b64 exec, exec, vcc
	s_cbranch_execz .LBB204_30
; %bb.21:
	s_and_saveexec_b64 s[6:7], s[0:1]
; %bb.22:
	v_lshlrev_b32_e32 v7, 2, v1
	v_lshlrev_b32_e32 v8, 2, v2
	v_add3_u32 v7, 0, v7, v8
	ds_read_b32 v7, v7 offset:64
; %bb.23:
	s_or_b64 exec, exec, s[6:7]
	s_waitcnt lgkmcnt(0)
	ds_bpermute_b32 v8, v4, v7
	s_waitcnt lgkmcnt(0)
	v_add_f32_e32 v7, v7, v8
	ds_bpermute_b32 v8, v5, v7
	s_waitcnt lgkmcnt(0)
	v_add_f32_e32 v7, v7, v8
	;; [unrolled: 3-line block ×4, first 2 shown]
	s_and_saveexec_b64 s[6:7], s[4:5]
	s_cbranch_execz .LBB204_25
; %bb.24:
	v_bfe_u32 v8, v7, 16, 1
	s_movk_i32 s8, 0x7fff
	v_add3_u32 v8, v7, v8, s8
	v_cmp_o_f32_e32 vcc, v7, v7
	v_mov_b32_e32 v9, 0x7fc0
	v_cndmask_b32_sdwa v8, v9, v8, vcc dst_sel:DWORD dst_unused:UNUSED_PAD src0_sel:DWORD src1_sel:WORD_1
	v_lshlrev_b32_e32 v9, 1, v1
	global_store_short v9, v8, s[2:3] offset:32
.LBB204_25:
	s_or_b64 exec, exec, s[6:7]
	s_movk_i32 s6, 0x200
	v_cmp_gt_u32_e32 vcc, s6, v3
	s_and_b64 exec, exec, vcc
	s_cbranch_execz .LBB204_30
; %bb.26:
	s_and_saveexec_b64 s[6:7], s[0:1]
; %bb.27:
	v_lshlrev_b32_e32 v3, 2, v1
	v_lshlrev_b32_e32 v2, 2, v2
	v_add3_u32 v2, 0, v3, v2
	ds_read_b32 v7, v2 offset:96
; %bb.28:
	s_or_b64 exec, exec, s[6:7]
	s_waitcnt lgkmcnt(0)
	ds_bpermute_b32 v2, v4, v7
	s_waitcnt lgkmcnt(0)
	v_add_f32_e32 v2, v7, v2
	ds_bpermute_b32 v3, v5, v2
	s_waitcnt lgkmcnt(0)
	v_add_f32_e32 v2, v2, v3
	;; [unrolled: 3-line block ×3, first 2 shown]
	ds_bpermute_b32 v0, v0, v2
	s_and_saveexec_b64 s[0:1], s[4:5]
	s_xor_b64 s[0:1], exec, s[0:1]
	s_cbranch_execz .LBB204_30
; %bb.29:
	s_waitcnt lgkmcnt(0)
	v_add_f32_e32 v0, v2, v0
	v_bfe_u32 v2, v0, 16, 1
	s_movk_i32 s0, 0x7fff
	v_add3_u32 v2, v0, v2, s0
	v_cmp_o_f32_e32 vcc, v0, v0
	v_mov_b32_e32 v0, 0x7fc0
	v_cndmask_b32_sdwa v0, v0, v2, vcc dst_sel:DWORD dst_unused:UNUSED_PAD src0_sel:DWORD src1_sel:WORD_1
	v_lshlrev_b32_e32 v1, 1, v1
	global_store_short v1, v0, s[2:3] offset:48
.LBB204_30:
	s_endpgm
	.section	.rodata,"a",@progbits
	.p2align	6, 0x0
	.amdhsa_kernel _ZN2at6native12_GLOBAL__N_135GammaBetaBackwardCUDAKernelTemplateIN3c108BFloat16EfLj32ELj16ELj128ELb0ELb1ELb1EEEvllPKT_S7_PKT0_SA_PS5_SB_
		.amdhsa_group_segment_fixed_size 0
		.amdhsa_private_segment_fixed_size 0
		.amdhsa_kernarg_size 320
		.amdhsa_user_sgpr_count 6
		.amdhsa_user_sgpr_private_segment_buffer 1
		.amdhsa_user_sgpr_dispatch_ptr 0
		.amdhsa_user_sgpr_queue_ptr 0
		.amdhsa_user_sgpr_kernarg_segment_ptr 1
		.amdhsa_user_sgpr_dispatch_id 0
		.amdhsa_user_sgpr_flat_scratch_init 0
		.amdhsa_user_sgpr_private_segment_size 0
		.amdhsa_uses_dynamic_stack 0
		.amdhsa_system_sgpr_private_segment_wavefront_offset 0
		.amdhsa_system_sgpr_workgroup_id_x 1
		.amdhsa_system_sgpr_workgroup_id_y 1
		.amdhsa_system_sgpr_workgroup_id_z 0
		.amdhsa_system_sgpr_workgroup_info 0
		.amdhsa_system_vgpr_workitem_id 1
		.amdhsa_next_free_vgpr 23
		.amdhsa_next_free_sgpr 26
		.amdhsa_reserve_vcc 1
		.amdhsa_reserve_flat_scratch 0
		.amdhsa_float_round_mode_32 0
		.amdhsa_float_round_mode_16_64 0
		.amdhsa_float_denorm_mode_32 3
		.amdhsa_float_denorm_mode_16_64 3
		.amdhsa_dx10_clamp 1
		.amdhsa_ieee_mode 1
		.amdhsa_fp16_overflow 0
		.amdhsa_exception_fp_ieee_invalid_op 0
		.amdhsa_exception_fp_denorm_src 0
		.amdhsa_exception_fp_ieee_div_zero 0
		.amdhsa_exception_fp_ieee_overflow 0
		.amdhsa_exception_fp_ieee_underflow 0
		.amdhsa_exception_fp_ieee_inexact 0
		.amdhsa_exception_int_div_zero 0
	.end_amdhsa_kernel
	.section	.text._ZN2at6native12_GLOBAL__N_135GammaBetaBackwardCUDAKernelTemplateIN3c108BFloat16EfLj32ELj16ELj128ELb0ELb1ELb1EEEvllPKT_S7_PKT0_SA_PS5_SB_,"axG",@progbits,_ZN2at6native12_GLOBAL__N_135GammaBetaBackwardCUDAKernelTemplateIN3c108BFloat16EfLj32ELj16ELj128ELb0ELb1ELb1EEEvllPKT_S7_PKT0_SA_PS5_SB_,comdat
.Lfunc_end204:
	.size	_ZN2at6native12_GLOBAL__N_135GammaBetaBackwardCUDAKernelTemplateIN3c108BFloat16EfLj32ELj16ELj128ELb0ELb1ELb1EEEvllPKT_S7_PKT0_SA_PS5_SB_, .Lfunc_end204-_ZN2at6native12_GLOBAL__N_135GammaBetaBackwardCUDAKernelTemplateIN3c108BFloat16EfLj32ELj16ELj128ELb0ELb1ELb1EEEvllPKT_S7_PKT0_SA_PS5_SB_
                                        ; -- End function
	.set _ZN2at6native12_GLOBAL__N_135GammaBetaBackwardCUDAKernelTemplateIN3c108BFloat16EfLj32ELj16ELj128ELb0ELb1ELb1EEEvllPKT_S7_PKT0_SA_PS5_SB_.num_vgpr, 23
	.set _ZN2at6native12_GLOBAL__N_135GammaBetaBackwardCUDAKernelTemplateIN3c108BFloat16EfLj32ELj16ELj128ELb0ELb1ELb1EEEvllPKT_S7_PKT0_SA_PS5_SB_.num_agpr, 0
	.set _ZN2at6native12_GLOBAL__N_135GammaBetaBackwardCUDAKernelTemplateIN3c108BFloat16EfLj32ELj16ELj128ELb0ELb1ELb1EEEvllPKT_S7_PKT0_SA_PS5_SB_.numbered_sgpr, 26
	.set _ZN2at6native12_GLOBAL__N_135GammaBetaBackwardCUDAKernelTemplateIN3c108BFloat16EfLj32ELj16ELj128ELb0ELb1ELb1EEEvllPKT_S7_PKT0_SA_PS5_SB_.num_named_barrier, 0
	.set _ZN2at6native12_GLOBAL__N_135GammaBetaBackwardCUDAKernelTemplateIN3c108BFloat16EfLj32ELj16ELj128ELb0ELb1ELb1EEEvllPKT_S7_PKT0_SA_PS5_SB_.private_seg_size, 0
	.set _ZN2at6native12_GLOBAL__N_135GammaBetaBackwardCUDAKernelTemplateIN3c108BFloat16EfLj32ELj16ELj128ELb0ELb1ELb1EEEvllPKT_S7_PKT0_SA_PS5_SB_.uses_vcc, 1
	.set _ZN2at6native12_GLOBAL__N_135GammaBetaBackwardCUDAKernelTemplateIN3c108BFloat16EfLj32ELj16ELj128ELb0ELb1ELb1EEEvllPKT_S7_PKT0_SA_PS5_SB_.uses_flat_scratch, 0
	.set _ZN2at6native12_GLOBAL__N_135GammaBetaBackwardCUDAKernelTemplateIN3c108BFloat16EfLj32ELj16ELj128ELb0ELb1ELb1EEEvllPKT_S7_PKT0_SA_PS5_SB_.has_dyn_sized_stack, 0
	.set _ZN2at6native12_GLOBAL__N_135GammaBetaBackwardCUDAKernelTemplateIN3c108BFloat16EfLj32ELj16ELj128ELb0ELb1ELb1EEEvllPKT_S7_PKT0_SA_PS5_SB_.has_recursion, 0
	.set _ZN2at6native12_GLOBAL__N_135GammaBetaBackwardCUDAKernelTemplateIN3c108BFloat16EfLj32ELj16ELj128ELb0ELb1ELb1EEEvllPKT_S7_PKT0_SA_PS5_SB_.has_indirect_call, 0
	.section	.AMDGPU.csdata,"",@progbits
; Kernel info:
; codeLenInByte = 1936
; TotalNumSgprs: 30
; NumVgprs: 23
; ScratchSize: 0
; MemoryBound: 0
; FloatMode: 240
; IeeeMode: 1
; LDSByteSize: 0 bytes/workgroup (compile time only)
; SGPRBlocks: 3
; VGPRBlocks: 5
; NumSGPRsForWavesPerEU: 30
; NumVGPRsForWavesPerEU: 23
; Occupancy: 10
; WaveLimiterHint : 0
; COMPUTE_PGM_RSRC2:SCRATCH_EN: 0
; COMPUTE_PGM_RSRC2:USER_SGPR: 6
; COMPUTE_PGM_RSRC2:TRAP_HANDLER: 0
; COMPUTE_PGM_RSRC2:TGID_X_EN: 1
; COMPUTE_PGM_RSRC2:TGID_Y_EN: 1
; COMPUTE_PGM_RSRC2:TGID_Z_EN: 0
; COMPUTE_PGM_RSRC2:TIDIG_COMP_CNT: 1
	.section	.text._ZN2at6native12_GLOBAL__N_135GammaBetaBackwardCUDAKernelTemplateIN3c108BFloat16EfLj32ELj16ELj128ELb0ELb0ELb1EEEvllPKT_S7_PKT0_SA_PS5_SB_,"axG",@progbits,_ZN2at6native12_GLOBAL__N_135GammaBetaBackwardCUDAKernelTemplateIN3c108BFloat16EfLj32ELj16ELj128ELb0ELb0ELb1EEEvllPKT_S7_PKT0_SA_PS5_SB_,comdat
	.globl	_ZN2at6native12_GLOBAL__N_135GammaBetaBackwardCUDAKernelTemplateIN3c108BFloat16EfLj32ELj16ELj128ELb0ELb0ELb1EEEvllPKT_S7_PKT0_SA_PS5_SB_ ; -- Begin function _ZN2at6native12_GLOBAL__N_135GammaBetaBackwardCUDAKernelTemplateIN3c108BFloat16EfLj32ELj16ELj128ELb0ELb0ELb1EEEvllPKT_S7_PKT0_SA_PS5_SB_
	.p2align	8
	.type	_ZN2at6native12_GLOBAL__N_135GammaBetaBackwardCUDAKernelTemplateIN3c108BFloat16EfLj32ELj16ELj128ELb0ELb0ELb1EEEvllPKT_S7_PKT0_SA_PS5_SB_,@function
_ZN2at6native12_GLOBAL__N_135GammaBetaBackwardCUDAKernelTemplateIN3c108BFloat16EfLj32ELj16ELj128ELb0ELb0ELb1EEEvllPKT_S7_PKT0_SA_PS5_SB_: ; @_ZN2at6native12_GLOBAL__N_135GammaBetaBackwardCUDAKernelTemplateIN3c108BFloat16EfLj32ELj16ELj128ELb0ELb0ELb1EEEvllPKT_S7_PKT0_SA_PS5_SB_
; %bb.0:
	s_load_dwordx8 s[12:19], s[4:5], 0x0
	s_load_dwordx2 s[10:11], s[4:5], 0x28
	s_lshl_b32 s20, s7, 7
	s_lshl_b32 s33, s6, 5
	s_mov_b32 s21, 0
	v_mov_b32_e32 v2, s20
	s_or_b32 s0, s33, 31
	v_mov_b32_e32 v3, s21
	v_mov_b32_e32 v48, s0
	v_mov_b32_e32 v49, 0
	s_waitcnt lgkmcnt(0)
	v_cmp_gt_i64_e64 s[0:1], s[12:13], v[2:3]
	v_cmp_le_i64_e32 vcc, s[14:15], v[48:49]
	v_cndmask_b32_e64 v2, 0, 1, s[0:1]
	v_cmp_ne_u32_e64 s[0:1], 1, v2
	s_cbranch_vccz .LBB205_49
; %bb.1:
	s_and_b64 vcc, exec, s[0:1]
	s_cbranch_vccnz .LBB205_50
; %bb.2:
	v_lshlrev_b32_e32 v21, 3, v1
	v_add_co_u32_e32 v9, vcc, s20, v21
	v_addc_co_u32_e64 v10, s[2:3], 0, 0, vcc
	v_mul_lo_u32 v7, s15, v9
	v_mul_lo_u32 v8, s14, v10
	v_mad_u64_u32 v[5:6], s[2:3], s14, v9, 0
	v_mov_b32_e32 v2, 0
	s_load_dword s7, s[4:5], 0x44
	v_add_u32_e32 v3, s33, v0
	v_mov_b32_e32 v4, v2
	v_add3_u32 v6, v6, v8, v7
	v_cmp_gt_i64_e64 s[2:3], s[14:15], v[3:4]
	v_lshlrev_b64 v[19:20], 1, v[3:4]
	v_lshlrev_b64 v[3:4], 1, v[5:6]
	s_add_u32 s22, s4, 64
	v_mov_b32_e32 v7, s17
	v_add_co_u32_e32 v22, vcc, s16, v3
	s_addc_u32 s23, s5, 0
	s_waitcnt lgkmcnt(0)
	s_lshl_b32 s7, s7, 7
	v_addc_co_u32_e32 v23, vcc, v7, v4, vcc
	s_mul_i32 s8, s15, s7
	s_mul_hi_u32 s9, s14, s7
	v_add_co_u32_e32 v7, vcc, 7, v9
	s_add_i32 s9, s9, s8
	s_mul_i32 s8, s14, s7
	v_addc_co_u32_e32 v8, vcc, 0, v10, vcc
	s_lshl_b64 s[24:25], s[8:9], 1
	v_mul_lo_u32 v12, s15, v7
	v_mul_lo_u32 v13, s14, v8
	v_mad_u64_u32 v[7:8], s[8:9], s14, v7, 0
	v_mov_b32_e32 v11, s19
	v_add_co_u32_e32 v24, vcc, s18, v3
	v_add3_u32 v8, v8, v13, v12
	v_addc_co_u32_e32 v25, vcc, v11, v4, vcc
	v_lshlrev_b64 v[3:4], 1, v[7:8]
	v_mov_b32_e32 v7, s17
	v_add_co_u32_e32 v26, vcc, s16, v3
	v_addc_co_u32_e32 v27, vcc, v7, v4, vcc
	v_add_co_u32_e32 v7, vcc, 6, v9
	v_addc_co_u32_e32 v8, vcc, 0, v10, vcc
	v_mul_lo_u32 v12, s15, v7
	v_mul_lo_u32 v13, s14, v8
	v_mad_u64_u32 v[7:8], s[8:9], s14, v7, 0
	v_add_co_u32_e32 v28, vcc, s18, v3
	v_add3_u32 v8, v8, v13, v12
	v_addc_co_u32_e32 v29, vcc, v11, v4, vcc
	v_lshlrev_b64 v[3:4], 1, v[7:8]
	v_mov_b32_e32 v7, s17
	v_add_co_u32_e32 v30, vcc, s16, v3
	v_addc_co_u32_e32 v31, vcc, v7, v4, vcc
	v_add_co_u32_e32 v7, vcc, 5, v9
	v_addc_co_u32_e32 v8, vcc, 0, v10, vcc
	v_mul_lo_u32 v12, s15, v7
	v_mul_lo_u32 v13, s14, v8
	v_mad_u64_u32 v[7:8], s[8:9], s14, v7, 0
	;; [unrolled: 12-line block ×5, first 2 shown]
	v_add_co_u32_e32 v44, vcc, s18, v3
	v_add3_u32 v8, v8, v10, v9
	v_addc_co_u32_e32 v45, vcc, v11, v4, vcc
	v_lshlrev_b64 v[3:4], 1, v[7:8]
	v_mov_b32_e32 v7, s17
	v_add_co_u32_e32 v46, vcc, s16, v3
	v_addc_co_u32_e32 v47, vcc, v7, v4, vcc
	v_mov_b32_e32 v7, s19
	v_add_co_u32_e32 v48, vcc, s18, v3
	v_addc_co_u32_e32 v50, vcc, v7, v4, vcc
	v_mov_b32_e32 v4, s15
	v_add_co_u32_e32 v3, vcc, s14, v5
	v_addc_co_u32_e32 v4, vcc, v6, v4, vcc
	v_lshlrev_b64 v[3:4], 1, v[3:4]
	v_mov_b32_e32 v5, s17
	v_add_co_u32_e32 v51, vcc, s16, v3
	v_addc_co_u32_e32 v52, vcc, v5, v4, vcc
	v_add_co_u32_e32 v53, vcc, s18, v3
	v_mbcnt_lo_u32_b32 v3, -1, 0
	v_mbcnt_hi_u32_b32 v3, -1, v3
	v_mov_b32_e32 v5, s19
	s_add_u32 s26, s20, 0x7f
	v_lshlrev_b32_e32 v3, 2, v3
	v_addc_co_u32_e32 v54, vcc, v5, v4, vcc
	s_addc_u32 s27, 0, 0
	v_and_b32_e32 v55, 0x100, v3
	s_mov_b64 s[28:29], s[20:21]
	v_mov_b32_e32 v56, 0
.LBB205_3:                              ; =>This Inner Loop Header: Depth=1
	v_mov_b32_e32 v3, s12
	v_mov_b32_e32 v4, s13
	v_cmp_ge_i64_e32 vcc, s[26:27], v[3:4]
	v_mov_b32_e32 v3, s27
	v_add_co_u32_e64 v57, s[8:9], s26, v21
	v_addc_co_u32_e64 v58, s[8:9], 0, v3, s[8:9]
	s_mov_b64 s[8:9], -1
	s_and_b64 vcc, exec, vcc
                                        ; implicit-def: $vgpr3_vgpr4_vgpr5_vgpr6_vgpr7_vgpr8_vgpr9_vgpr10
                                        ; implicit-def: $vgpr49
                                        ; implicit-def: $vgpr11_vgpr12_vgpr13_vgpr14_vgpr15_vgpr16_vgpr17_vgpr18
                                        ; implicit-def: $vgpr3
	s_cbranch_vccz .LBB205_25
; %bb.4:                                ;   in Loop: Header=BB205_3 Depth=1
	s_load_dword s8, s[22:23], 0xc
	v_mov_b32_e32 v59, 0
	s_waitcnt lgkmcnt(0)
	s_and_b32 s8, s8, 0xffff
	v_mad_u32_u24 v3, v1, s8, v0
	v_and_b32_e32 v3, 63, v3
	v_cmp_gt_u32_e32 vcc, 8, v3
	s_and_saveexec_b64 s[8:9], vcc
	s_cbranch_execz .LBB205_8
; %bb.5:                                ;   in Loop: Header=BB205_3 Depth=1
	v_add_co_u32_e32 v3, vcc, v57, v3
	v_addc_co_u32_e32 v4, vcc, 0, v58, vcc
	v_add_co_u32_e32 v3, vcc, 0xffffff81, v3
	v_addc_co_u32_e32 v4, vcc, -1, v4, vcc
	v_cmp_gt_i64_e32 vcc, s[12:13], v[3:4]
	v_mov_b32_e32 v59, 0
	s_and_saveexec_b64 s[30:31], vcc
	s_cbranch_execz .LBB205_7
; %bb.6:                                ;   in Loop: Header=BB205_3 Depth=1
	v_lshlrev_b64 v[3:4], 2, v[3:4]
	v_mov_b32_e32 v5, s11
	v_add_co_u32_e32 v3, vcc, s10, v3
	v_addc_co_u32_e32 v4, vcc, v5, v4, vcc
	global_load_dword v59, v[3:4], off
.LBB205_7:                              ;   in Loop: Header=BB205_3 Depth=1
	s_or_b64 exec, exec, s[30:31]
.LBB205_8:                              ;   in Loop: Header=BB205_3 Depth=1
	s_or_b64 exec, exec, s[8:9]
	v_add_co_u32_e32 v3, vcc, 0xffffff81, v57
	v_addc_co_u32_e32 v4, vcc, -1, v58, vcc
	v_mov_b32_e32 v9, v2
	v_cmp_gt_i64_e32 vcc, s[12:13], v[3:4]
	v_mov_b32_e32 v3, v2
	v_mov_b32_e32 v4, v2
	;; [unrolled: 1-line block ×15, first 2 shown]
	s_and_b64 s[30:31], s[2:3], vcc
	v_mov_b32_e32 v9, v8
	v_mov_b32_e32 v8, v7
	;; [unrolled: 1-line block ×7, first 2 shown]
	s_and_saveexec_b64 s[8:9], s[30:31]
	s_cbranch_execz .LBB205_10
; %bb.9:                                ;   in Loop: Header=BB205_3 Depth=1
	v_add_co_u32_e32 v3, vcc, v22, v19
	v_addc_co_u32_e32 v4, vcc, v23, v20, vcc
	global_load_ushort v11, v[3:4], off
	v_add_co_u32_e32 v3, vcc, v24, v19
	v_addc_co_u32_e32 v4, vcc, v25, v20, vcc
	global_load_ushort v18, v[3:4], off
	v_mov_b32_e32 v4, v2
	v_mov_b32_e32 v5, v2
	;; [unrolled: 1-line block ×13, first 2 shown]
	s_waitcnt vmcnt(1)
	v_lshlrev_b32_e32 v3, 16, v11
	s_waitcnt vmcnt(0)
	v_lshlrev_b32_e32 v11, 16, v18
	v_mov_b32_e32 v18, v2
.LBB205_10:                             ;   in Loop: Header=BB205_3 Depth=1
	s_or_b64 exec, exec, s[8:9]
	v_add_co_u32_e32 v60, vcc, 0xffffff82, v57
	v_addc_co_u32_e32 v61, vcc, -1, v58, vcc
	v_cmp_gt_i64_e32 vcc, s[12:13], v[60:61]
	s_and_b64 s[30:31], s[2:3], vcc
	s_and_saveexec_b64 s[8:9], s[30:31]
	s_cbranch_execz .LBB205_12
; %bb.11:                               ;   in Loop: Header=BB205_3 Depth=1
	v_add_co_u32_e32 v60, vcc, v51, v19
	v_addc_co_u32_e32 v61, vcc, v52, v20, vcc
	global_load_ushort v4, v[60:61], off
	v_add_co_u32_e32 v60, vcc, v53, v19
	v_addc_co_u32_e32 v61, vcc, v54, v20, vcc
	global_load_ushort v12, v[60:61], off
	s_waitcnt vmcnt(1)
	v_lshlrev_b32_e32 v4, 16, v4
	s_waitcnt vmcnt(0)
	v_lshlrev_b32_e32 v12, 16, v12
.LBB205_12:                             ;   in Loop: Header=BB205_3 Depth=1
	s_or_b64 exec, exec, s[8:9]
	v_add_co_u32_e32 v60, vcc, 0xffffff83, v57
	v_addc_co_u32_e32 v61, vcc, -1, v58, vcc
	v_cmp_gt_i64_e32 vcc, s[12:13], v[60:61]
	s_and_b64 s[30:31], s[2:3], vcc
	s_and_saveexec_b64 s[8:9], s[30:31]
	s_cbranch_execz .LBB205_14
; %bb.13:                               ;   in Loop: Header=BB205_3 Depth=1
	v_add_co_u32_e32 v60, vcc, v46, v19
	v_addc_co_u32_e32 v61, vcc, v47, v20, vcc
	global_load_ushort v5, v[60:61], off
	v_add_co_u32_e32 v60, vcc, v48, v19
	v_addc_co_u32_e32 v61, vcc, v50, v20, vcc
	global_load_ushort v13, v[60:61], off
	s_waitcnt vmcnt(1)
	v_lshlrev_b32_e32 v5, 16, v5
	s_waitcnt vmcnt(0)
	v_lshlrev_b32_e32 v13, 16, v13
.LBB205_14:                             ;   in Loop: Header=BB205_3 Depth=1
	;; [unrolled: 19-line block ×7, first 2 shown]
	s_or_b64 exec, exec, s[8:9]
	s_waitcnt vmcnt(0)
	ds_bpermute_b32 v49, v55, v59
	ds_bpermute_b32 v60, v55, v59 offset:4
	v_mul_f32_e32 v3, v11, v3
	ds_bpermute_b32 v11, v55, v59 offset:8
	v_mul_f32_e32 v4, v12, v4
	s_waitcnt lgkmcnt(2)
	v_fma_f32 v49, v3, v49, v56
	s_waitcnt lgkmcnt(1)
	v_fmac_f32_e32 v49, v4, v60
	ds_bpermute_b32 v3, v55, v59 offset:12
	v_mul_f32_e32 v4, v13, v5
	s_waitcnt lgkmcnt(1)
	v_fmac_f32_e32 v49, v4, v11
	ds_bpermute_b32 v4, v55, v59 offset:16
	v_mul_f32_e32 v5, v14, v6
	s_waitcnt lgkmcnt(1)
	v_fmac_f32_e32 v49, v5, v3
	v_mul_f32_e32 v3, v15, v7
	ds_bpermute_b32 v5, v55, v59 offset:20
	s_waitcnt lgkmcnt(1)
	v_fmac_f32_e32 v49, v3, v4
	ds_bpermute_b32 v4, v55, v59 offset:24
	ds_bpermute_b32 v3, v55, v59 offset:28
	v_mul_f32_e32 v6, v16, v8
	s_waitcnt lgkmcnt(2)
	v_fmac_f32_e32 v49, v6, v5
	v_mul_f32_e32 v5, v17, v9
	s_waitcnt lgkmcnt(1)
	v_fmac_f32_e32 v49, v5, v4
	s_mov_b64 s[8:9], 0
.LBB205_25:                             ;   in Loop: Header=BB205_3 Depth=1
	s_and_b64 vcc, exec, s[8:9]
	s_cbranch_vccz .LBB205_40
; %bb.26:                               ;   in Loop: Header=BB205_3 Depth=1
	s_load_dword s8, s[22:23], 0x0
	v_mov_b32_e32 v49, 0
	s_waitcnt lgkmcnt(0)
	s_cmp_lt_u32 s6, s8
	s_cselect_b32 s8, 12, 18
	s_add_u32 s8, s22, s8
	s_addc_u32 s9, s23, 0
	global_load_ushort v3, v2, s[8:9]
	s_waitcnt vmcnt(0)
	v_mad_u32_u24 v3, v1, v3, v0
	v_and_b32_e32 v3, 63, v3
	v_cmp_gt_u32_e32 vcc, 8, v3
	s_and_saveexec_b64 s[8:9], vcc
	s_cbranch_execz .LBB205_30
; %bb.27:                               ;   in Loop: Header=BB205_3 Depth=1
	v_add_co_u32_e32 v3, vcc, v57, v3
	v_addc_co_u32_e32 v4, vcc, 0, v58, vcc
	v_add_co_u32_e32 v3, vcc, 0xffffff81, v3
	v_addc_co_u32_e32 v4, vcc, -1, v4, vcc
	v_cmp_gt_i64_e32 vcc, s[12:13], v[3:4]
	v_mov_b32_e32 v49, 0
	s_and_saveexec_b64 s[30:31], vcc
	s_cbranch_execz .LBB205_29
; %bb.28:                               ;   in Loop: Header=BB205_3 Depth=1
	v_lshlrev_b64 v[3:4], 2, v[3:4]
	v_mov_b32_e32 v5, s11
	v_add_co_u32_e32 v3, vcc, s10, v3
	v_addc_co_u32_e32 v4, vcc, v5, v4, vcc
	global_load_dword v49, v[3:4], off
.LBB205_29:                             ;   in Loop: Header=BB205_3 Depth=1
	s_or_b64 exec, exec, s[30:31]
.LBB205_30:                             ;   in Loop: Header=BB205_3 Depth=1
	s_or_b64 exec, exec, s[8:9]
	v_mov_b32_e32 v9, v2
	v_mov_b32_e32 v3, v2
	v_mov_b32_e32 v4, v2
	v_mov_b32_e32 v5, v2
	v_mov_b32_e32 v6, v2
	v_mov_b32_e32 v7, v2
	v_mov_b32_e32 v8, v2
	v_mov_b32_e32 v18, v9
	v_mov_b32_e32 v17, v8
	v_mov_b32_e32 v16, v7
	v_mov_b32_e32 v15, v6
	v_mov_b32_e32 v14, v5
	v_mov_b32_e32 v13, v4
	v_mov_b32_e32 v12, v3
	v_mov_b32_e32 v11, v2
	v_mov_b32_e32 v10, v9
	v_mov_b32_e32 v9, v8
	v_mov_b32_e32 v8, v7
	v_mov_b32_e32 v7, v6
	v_mov_b32_e32 v6, v5
	v_mov_b32_e32 v5, v4
	v_mov_b32_e32 v4, v3
	v_mov_b32_e32 v3, v2
	s_and_saveexec_b64 s[8:9], s[2:3]
	s_cbranch_execnz .LBB205_42
; %bb.31:                               ;   in Loop: Header=BB205_3 Depth=1
	s_or_b64 exec, exec, s[8:9]
	s_and_saveexec_b64 s[8:9], s[2:3]
	s_cbranch_execnz .LBB205_43
.LBB205_32:                             ;   in Loop: Header=BB205_3 Depth=1
	s_or_b64 exec, exec, s[8:9]
	s_and_saveexec_b64 s[8:9], s[2:3]
	s_cbranch_execnz .LBB205_44
.LBB205_33:                             ;   in Loop: Header=BB205_3 Depth=1
	s_or_b64 exec, exec, s[8:9]
	s_and_saveexec_b64 s[8:9], s[2:3]
	s_cbranch_execnz .LBB205_45
.LBB205_34:                             ;   in Loop: Header=BB205_3 Depth=1
	s_or_b64 exec, exec, s[8:9]
	s_and_saveexec_b64 s[8:9], s[2:3]
	s_cbranch_execnz .LBB205_46
.LBB205_35:                             ;   in Loop: Header=BB205_3 Depth=1
	s_or_b64 exec, exec, s[8:9]
	s_and_saveexec_b64 s[8:9], s[2:3]
	s_cbranch_execnz .LBB205_47
.LBB205_36:                             ;   in Loop: Header=BB205_3 Depth=1
	s_or_b64 exec, exec, s[8:9]
	s_and_saveexec_b64 s[8:9], s[2:3]
	s_cbranch_execnz .LBB205_48
.LBB205_37:                             ;   in Loop: Header=BB205_3 Depth=1
	s_or_b64 exec, exec, s[8:9]
	s_and_saveexec_b64 s[8:9], s[2:3]
	s_cbranch_execz .LBB205_39
.LBB205_38:                             ;   in Loop: Header=BB205_3 Depth=1
	v_add_co_u32_e32 v57, vcc, v26, v19
	v_addc_co_u32_e32 v58, vcc, v27, v20, vcc
	global_load_ushort v10, v[57:58], off
	v_add_co_u32_e32 v57, vcc, v28, v19
	v_addc_co_u32_e32 v58, vcc, v29, v20, vcc
	global_load_ushort v18, v[57:58], off
	s_waitcnt vmcnt(1)
	v_lshlrev_b32_e32 v10, 16, v10
	s_waitcnt vmcnt(0)
	v_lshlrev_b32_e32 v18, 16, v18
.LBB205_39:                             ;   in Loop: Header=BB205_3 Depth=1
	s_or_b64 exec, exec, s[8:9]
	s_waitcnt vmcnt(0)
	ds_bpermute_b32 v57, v55, v49
	ds_bpermute_b32 v58, v55, v49 offset:4
	v_mul_f32_e32 v3, v11, v3
	ds_bpermute_b32 v11, v55, v49 offset:8
	v_mul_f32_e32 v4, v12, v4
	s_waitcnt lgkmcnt(2)
	v_fmac_f32_e32 v56, v3, v57
	s_waitcnt lgkmcnt(1)
	v_fmac_f32_e32 v56, v4, v58
	ds_bpermute_b32 v3, v55, v49 offset:12
	v_mul_f32_e32 v4, v13, v5
	s_waitcnt lgkmcnt(1)
	v_fmac_f32_e32 v56, v4, v11
	ds_bpermute_b32 v4, v55, v49 offset:16
	v_mul_f32_e32 v5, v14, v6
	s_waitcnt lgkmcnt(1)
	v_fmac_f32_e32 v56, v5, v3
	v_mul_f32_e32 v3, v15, v7
	ds_bpermute_b32 v5, v55, v49 offset:20
	s_waitcnt lgkmcnt(1)
	v_fmac_f32_e32 v56, v3, v4
	ds_bpermute_b32 v4, v55, v49 offset:24
	ds_bpermute_b32 v3, v55, v49 offset:28
	v_mul_f32_e32 v6, v16, v8
	s_waitcnt lgkmcnt(2)
	v_fmac_f32_e32 v56, v6, v5
	v_mul_f32_e32 v5, v17, v9
	s_waitcnt lgkmcnt(1)
	v_fmac_f32_e32 v56, v5, v4
	v_mov_b32_e32 v49, v56
.LBB205_40:                             ;   in Loop: Header=BB205_3 Depth=1
	v_mul_f32_e32 v4, v10, v18
	s_waitcnt lgkmcnt(0)
	v_fmac_f32_e32 v49, v4, v3
	v_mov_b32_e32 v3, s25
	v_add_co_u32_e32 v22, vcc, s24, v22
	v_addc_co_u32_e32 v23, vcc, v23, v3, vcc
	v_add_co_u32_e32 v24, vcc, s24, v24
	v_addc_co_u32_e32 v25, vcc, v25, v3, vcc
	;; [unrolled: 2-line block ×15, first 2 shown]
	v_add_co_u32_e32 v53, vcc, s24, v53
	s_add_u32 s28, s28, s7
	v_addc_co_u32_e32 v54, vcc, v54, v3, vcc
	v_mov_b32_e32 v3, s12
	s_addc_u32 s29, s29, 0
	v_mov_b32_e32 v4, s13
	v_cmp_lt_i64_e32 vcc, s[28:29], v[3:4]
	s_add_u32 s26, s26, s7
	s_addc_u32 s27, s27, 0
	s_cbranch_vccz .LBB205_50
; %bb.41:                               ;   in Loop: Header=BB205_3 Depth=1
	v_mov_b32_e32 v56, v49
	s_branch .LBB205_3
.LBB205_42:                             ;   in Loop: Header=BB205_3 Depth=1
	v_add_co_u32_e32 v3, vcc, v22, v19
	v_addc_co_u32_e32 v4, vcc, v23, v20, vcc
	global_load_ushort v11, v[3:4], off
	v_add_co_u32_e32 v3, vcc, v24, v19
	v_addc_co_u32_e32 v4, vcc, v25, v20, vcc
	global_load_ushort v18, v[3:4], off
	v_mov_b32_e32 v4, v2
	v_mov_b32_e32 v5, v2
	;; [unrolled: 1-line block ×13, first 2 shown]
	s_waitcnt vmcnt(1)
	v_lshlrev_b32_e32 v3, 16, v11
	s_waitcnt vmcnt(0)
	v_lshlrev_b32_e32 v11, 16, v18
	v_mov_b32_e32 v18, v2
	s_or_b64 exec, exec, s[8:9]
	s_and_saveexec_b64 s[8:9], s[2:3]
	s_cbranch_execz .LBB205_32
.LBB205_43:                             ;   in Loop: Header=BB205_3 Depth=1
	v_add_co_u32_e32 v57, vcc, v51, v19
	v_addc_co_u32_e32 v58, vcc, v52, v20, vcc
	global_load_ushort v4, v[57:58], off
	v_add_co_u32_e32 v57, vcc, v53, v19
	v_addc_co_u32_e32 v58, vcc, v54, v20, vcc
	global_load_ushort v12, v[57:58], off
	s_waitcnt vmcnt(1)
	v_lshlrev_b32_e32 v4, 16, v4
	s_waitcnt vmcnt(0)
	v_lshlrev_b32_e32 v12, 16, v12
	s_or_b64 exec, exec, s[8:9]
	s_and_saveexec_b64 s[8:9], s[2:3]
	s_cbranch_execz .LBB205_33
.LBB205_44:                             ;   in Loop: Header=BB205_3 Depth=1
	v_add_co_u32_e32 v57, vcc, v46, v19
	v_addc_co_u32_e32 v58, vcc, v47, v20, vcc
	global_load_ushort v5, v[57:58], off
	v_add_co_u32_e32 v57, vcc, v48, v19
	v_addc_co_u32_e32 v58, vcc, v50, v20, vcc
	global_load_ushort v13, v[57:58], off
	s_waitcnt vmcnt(1)
	v_lshlrev_b32_e32 v5, 16, v5
	s_waitcnt vmcnt(0)
	v_lshlrev_b32_e32 v13, 16, v13
	s_or_b64 exec, exec, s[8:9]
	s_and_saveexec_b64 s[8:9], s[2:3]
	s_cbranch_execz .LBB205_34
.LBB205_45:                             ;   in Loop: Header=BB205_3 Depth=1
	v_add_co_u32_e32 v57, vcc, v42, v19
	v_addc_co_u32_e32 v58, vcc, v43, v20, vcc
	global_load_ushort v6, v[57:58], off
	v_add_co_u32_e32 v57, vcc, v44, v19
	v_addc_co_u32_e32 v58, vcc, v45, v20, vcc
	global_load_ushort v14, v[57:58], off
	s_waitcnt vmcnt(1)
	v_lshlrev_b32_e32 v6, 16, v6
	s_waitcnt vmcnt(0)
	v_lshlrev_b32_e32 v14, 16, v14
	s_or_b64 exec, exec, s[8:9]
	s_and_saveexec_b64 s[8:9], s[2:3]
	s_cbranch_execz .LBB205_35
.LBB205_46:                             ;   in Loop: Header=BB205_3 Depth=1
	v_add_co_u32_e32 v57, vcc, v38, v19
	v_addc_co_u32_e32 v58, vcc, v39, v20, vcc
	global_load_ushort v7, v[57:58], off
	v_add_co_u32_e32 v57, vcc, v40, v19
	v_addc_co_u32_e32 v58, vcc, v41, v20, vcc
	global_load_ushort v15, v[57:58], off
	s_waitcnt vmcnt(1)
	v_lshlrev_b32_e32 v7, 16, v7
	s_waitcnt vmcnt(0)
	v_lshlrev_b32_e32 v15, 16, v15
	s_or_b64 exec, exec, s[8:9]
	s_and_saveexec_b64 s[8:9], s[2:3]
	s_cbranch_execz .LBB205_36
.LBB205_47:                             ;   in Loop: Header=BB205_3 Depth=1
	v_add_co_u32_e32 v57, vcc, v34, v19
	v_addc_co_u32_e32 v58, vcc, v35, v20, vcc
	global_load_ushort v8, v[57:58], off
	v_add_co_u32_e32 v57, vcc, v36, v19
	v_addc_co_u32_e32 v58, vcc, v37, v20, vcc
	global_load_ushort v16, v[57:58], off
	s_waitcnt vmcnt(1)
	v_lshlrev_b32_e32 v8, 16, v8
	s_waitcnt vmcnt(0)
	v_lshlrev_b32_e32 v16, 16, v16
	s_or_b64 exec, exec, s[8:9]
	s_and_saveexec_b64 s[8:9], s[2:3]
	s_cbranch_execz .LBB205_37
.LBB205_48:                             ;   in Loop: Header=BB205_3 Depth=1
	v_add_co_u32_e32 v57, vcc, v30, v19
	v_addc_co_u32_e32 v58, vcc, v31, v20, vcc
	global_load_ushort v9, v[57:58], off
	v_add_co_u32_e32 v57, vcc, v32, v19
	v_addc_co_u32_e32 v58, vcc, v33, v20, vcc
	global_load_ushort v17, v[57:58], off
	s_waitcnt vmcnt(1)
	v_lshlrev_b32_e32 v9, 16, v9
	s_waitcnt vmcnt(0)
	v_lshlrev_b32_e32 v17, 16, v17
	s_or_b64 exec, exec, s[8:9]
	s_and_saveexec_b64 s[8:9], s[2:3]
	s_cbranch_execnz .LBB205_38
	s_branch .LBB205_39
.LBB205_49:
                                        ; implicit-def: $vgpr49
	s_branch .LBB205_51
.LBB205_50:
	s_cbranch_execnz .LBB205_83
.LBB205_51:
	s_and_b64 vcc, exec, s[0:1]
	v_mov_b32_e32 v49, 0
	s_cbranch_vccnz .LBB205_83
; %bb.52:
	v_lshlrev_b32_e32 v50, 3, v1
	v_add_co_u32_e32 v6, vcc, s20, v50
	v_addc_co_u32_e64 v7, s[0:1], 0, 0, vcc
	s_load_dword s7, s[4:5], 0x44
	v_mul_lo_u32 v2, s15, v6
	v_mul_lo_u32 v3, s14, v7
	v_mad_u64_u32 v[4:5], s[0:1], s14, v6, 0
	s_add_u32 s2, s4, 64
	s_addc_u32 s3, s5, 0
	v_add3_u32 v5, v5, v3, v2
	s_waitcnt lgkmcnt(0)
	s_lshl_b32 s7, s7, 7
	v_lshlrev_b64 v[2:3], 1, v[4:5]
	s_mul_i32 s0, s15, s7
	s_mul_hi_u32 s1, s14, s7
	v_mov_b32_e32 v8, s17
	v_add_co_u32_e32 v51, vcc, s16, v2
	s_add_i32 s1, s1, s0
	s_mul_i32 s0, s14, s7
	v_addc_co_u32_e32 v52, vcc, v8, v3, vcc
	s_lshl_b64 s[8:9], s[0:1], 1
	v_mov_b32_e32 v8, s19
	v_add_co_u32_e32 v53, vcc, s18, v2
	s_add_u32 s22, s20, 0x7f
	v_addc_co_u32_e32 v54, vcc, v8, v3, vcc
	s_addc_u32 s23, 0, 0
	v_lshlrev_b32_e32 v2, 4, v1
	s_lshl_b64 s[0:1], s[20:21], 1
	v_mov_b32_e32 v3, s1
	v_add_co_u32_e32 v8, vcc, s0, v2
	v_addc_co_u32_e32 v9, vcc, 0, v3, vcc
	v_add_co_u32_e32 v12, vcc, 2, v8
	v_addc_co_u32_e32 v10, vcc, 0, v9, vcc
	v_mov_b32_e32 v2, s16
	v_mul_lo_u32 v14, s14, v10
	v_mov_b32_e32 v10, s18
	v_mov_b32_e32 v3, s17
	;; [unrolled: 1-line block ×3, first 2 shown]
	v_mad_u64_u32 v[19:20], s[0:1], s14, v12, v[2:3]
	v_mul_lo_u32 v15, s15, v12
	v_mad_u64_u32 v[21:22], s[0:1], s14, v12, v[10:11]
	v_add_co_u32_e32 v12, vcc, 4, v8
	v_addc_co_u32_e32 v16, vcc, 0, v9, vcc
	v_mov_b32_e32 v13, s15
	v_add_co_u32_e32 v4, vcc, s14, v4
	v_addc_co_u32_e32 v5, vcc, v5, v13, vcc
	v_mul_lo_u32 v17, s15, v12
	v_mad_u64_u32 v[23:24], s[0:1], s14, v12, v[2:3]
	v_mad_u64_u32 v[25:26], s[0:1], s14, v12, v[10:11]
	v_add_co_u32_e32 v12, vcc, 6, v8
	v_addc_co_u32_e32 v13, vcc, 0, v9, vcc
	v_add3_u32 v20, v15, v20, v14
	v_add3_u32 v22, v15, v22, v14
	v_mul_lo_u32 v13, s14, v13
	v_mul_lo_u32 v14, s15, v12
	v_mad_u64_u32 v[27:28], s[0:1], s14, v12, v[2:3]
	v_mad_u64_u32 v[29:30], s[0:1], s14, v12, v[10:11]
	v_add_co_u32_e32 v12, vcc, 8, v8
	v_mul_lo_u32 v16, s14, v16
	v_addc_co_u32_e32 v15, vcc, 0, v9, vcc
	v_mul_lo_u32 v18, s15, v12
	v_mad_u64_u32 v[31:32], s[0:1], s14, v12, v[2:3]
	v_mad_u64_u32 v[33:34], s[0:1], s14, v12, v[10:11]
	v_add_co_u32_e32 v12, vcc, 10, v8
	v_add3_u32 v28, v14, v28, v13
	v_add3_u32 v30, v14, v30, v13
	v_addc_co_u32_e32 v13, vcc, 0, v9, vcc
	v_mul_lo_u32 v14, s15, v12
	v_mad_u64_u32 v[35:36], s[0:1], s14, v12, v[2:3]
	v_mad_u64_u32 v[37:38], s[0:1], s14, v12, v[10:11]
	v_add_co_u32_e32 v12, vcc, 12, v8
	v_add3_u32 v24, v17, v24, v16
	v_add3_u32 v26, v17, v26, v16
	v_addc_co_u32_e32 v16, vcc, 0, v9, vcc
	v_add_co_u32_e32 v8, vcc, 14, v8
	v_addc_co_u32_e32 v9, vcc, 0, v9, vcc
	v_mad_u64_u32 v[39:40], s[0:1], s14, v12, v[2:3]
	v_mad_u64_u32 v[43:44], s[0:1], s14, v8, v[2:3]
	v_add_co_u32_e32 v2, vcc, 7, v6
	v_addc_co_u32_e32 v3, vcc, 0, v7, vcc
	v_mad_u64_u32 v[41:42], s[0:1], s14, v12, v[10:11]
	v_mad_u64_u32 v[45:46], s[0:1], s14, v8, v[10:11]
	v_mul_lo_u32 v10, s14, v3
	v_mul_lo_u32 v11, s15, v2
	v_mad_u64_u32 v[2:3], s[0:1], s14, v2, 0
	v_mul_lo_u32 v9, s14, v9
	v_mul_lo_u32 v8, s15, v8
	v_add3_u32 v3, v3, v10, v11
	v_lshlrev_b64 v[2:3], 1, v[2:3]
	v_mul_lo_u32 v17, s15, v12
	v_add3_u32 v44, v8, v44, v9
	v_add3_u32 v46, v8, v46, v9
	v_mov_b32_e32 v8, s17
	v_add_co_u32_e32 v55, vcc, s16, v2
	v_addc_co_u32_e32 v56, vcc, v8, v3, vcc
	v_add_co_u32_e32 v8, vcc, 6, v6
	v_addc_co_u32_e32 v9, vcc, 0, v7, vcc
	v_mul_lo_u32 v11, s14, v9
	v_mul_lo_u32 v12, s15, v8
	v_mad_u64_u32 v[8:9], s[0:1], s14, v8, 0
	v_mov_b32_e32 v10, s19
	v_add_co_u32_e32 v57, vcc, s18, v2
	v_add3_u32 v9, v9, v11, v12
	v_addc_co_u32_e32 v58, vcc, v10, v3, vcc
	v_lshlrev_b64 v[2:3], 1, v[8:9]
	v_mov_b32_e32 v8, s17
	v_add_co_u32_e32 v59, vcc, s16, v2
	v_addc_co_u32_e32 v60, vcc, v8, v3, vcc
	v_add_co_u32_e32 v8, vcc, 5, v6
	v_addc_co_u32_e32 v9, vcc, 0, v7, vcc
	v_mul_lo_u32 v11, s14, v9
	v_mul_lo_u32 v12, s15, v8
	v_mad_u64_u32 v[8:9], s[0:1], s14, v8, 0
	v_add_co_u32_e32 v61, vcc, s18, v2
	v_add3_u32 v9, v9, v11, v12
	v_addc_co_u32_e32 v62, vcc, v10, v3, vcc
	v_lshlrev_b64 v[2:3], 1, v[8:9]
	v_mov_b32_e32 v8, s17
	v_add_co_u32_e32 v63, vcc, s16, v2
	v_addc_co_u32_e32 v64, vcc, v8, v3, vcc
	v_add_co_u32_e32 v8, vcc, 4, v6
	v_addc_co_u32_e32 v9, vcc, 0, v7, vcc
	v_mul_lo_u32 v11, s14, v9
	v_mul_lo_u32 v12, s15, v8
	v_mad_u64_u32 v[8:9], s[0:1], s14, v8, 0
	;; [unrolled: 12-line block ×4, first 2 shown]
	v_mov_b32_e32 v8, s19
	v_add_co_u32_e32 v73, vcc, s18, v2
	v_add3_u32 v7, v7, v9, v10
	v_addc_co_u32_e32 v74, vcc, v8, v3, vcc
	v_lshlrev_b64 v[2:3], 1, v[6:7]
	v_mov_b32_e32 v6, s17
	v_add_co_u32_e32 v75, vcc, s16, v2
	v_addc_co_u32_e32 v76, vcc, v6, v3, vcc
	v_mov_b32_e32 v6, s19
	v_add_co_u32_e32 v77, vcc, s18, v2
	v_addc_co_u32_e32 v78, vcc, v6, v3, vcc
	v_lshlrev_b64 v[2:3], 1, v[4:5]
	v_mov_b32_e32 v4, s17
	v_add_co_u32_e32 v79, vcc, s16, v2
	v_addc_co_u32_e32 v80, vcc, v4, v3, vcc
	v_mov_b32_e32 v4, s19
	v_add_co_u32_e32 v81, vcc, s18, v2
	v_mov_b32_e32 v2, 0
	v_mul_lo_u32 v15, s14, v15
	v_mul_lo_u32 v13, s14, v13
	;; [unrolled: 1-line block ×3, first 2 shown]
	v_addc_co_u32_e32 v82, vcc, v4, v3, vcc
	v_add_u32_e32 v3, s33, v0
	v_mov_b32_e32 v4, v2
	v_lshlrev_b64 v[47:48], 1, v[3:4]
	v_mbcnt_lo_u32_b32 v3, -1, 0
	v_mbcnt_hi_u32_b32 v3, -1, v3
	v_lshlrev_b32_e32 v3, 2, v3
	v_add3_u32 v32, v18, v32, v15
	v_add3_u32 v34, v18, v34, v15
	;; [unrolled: 1-line block ×6, first 2 shown]
	v_and_b32_e32 v83, 0x100, v3
	v_mov_b32_e32 v84, 0
.LBB205_53:                             ; =>This Inner Loop Header: Depth=1
	v_mov_b32_e32 v3, s12
	v_mov_b32_e32 v4, s13
	v_cmp_ge_i64_e32 vcc, s[22:23], v[3:4]
	v_mov_b32_e32 v3, s23
	v_add_co_u32_e64 v85, s[0:1], s22, v50
	v_addc_co_u32_e64 v86, s[0:1], 0, v3, s[0:1]
	s_mov_b64 s[0:1], -1
                                        ; implicit-def: $vgpr49
	s_cbranch_vccz .LBB205_75
; %bb.54:                               ;   in Loop: Header=BB205_53 Depth=1
	s_load_dword s0, s[2:3], 0xc
	v_mov_b32_e32 v87, 0
	s_waitcnt lgkmcnt(0)
	s_and_b32 s0, s0, 0xffff
	v_mad_u32_u24 v3, v1, s0, v0
	v_and_b32_e32 v3, 63, v3
	v_cmp_gt_u32_e32 vcc, 8, v3
	s_and_saveexec_b64 s[0:1], vcc
	s_cbranch_execz .LBB205_58
; %bb.55:                               ;   in Loop: Header=BB205_53 Depth=1
	v_add_co_u32_e32 v3, vcc, v85, v3
	v_addc_co_u32_e32 v4, vcc, 0, v86, vcc
	v_add_co_u32_e32 v3, vcc, 0xffffff81, v3
	v_addc_co_u32_e32 v4, vcc, -1, v4, vcc
	v_cmp_gt_i64_e32 vcc, s[12:13], v[3:4]
	v_mov_b32_e32 v87, 0
	s_and_saveexec_b64 s[16:17], vcc
	s_cbranch_execz .LBB205_57
; %bb.56:                               ;   in Loop: Header=BB205_53 Depth=1
	v_lshlrev_b64 v[3:4], 2, v[3:4]
	v_mov_b32_e32 v5, s11
	v_add_co_u32_e32 v3, vcc, s10, v3
	v_addc_co_u32_e32 v4, vcc, v5, v4, vcc
	global_load_dword v87, v[3:4], off
.LBB205_57:                             ;   in Loop: Header=BB205_53 Depth=1
	s_or_b64 exec, exec, s[16:17]
.LBB205_58:                             ;   in Loop: Header=BB205_53 Depth=1
	s_or_b64 exec, exec, s[0:1]
	v_add_co_u32_e32 v3, vcc, 0xffffff81, v85
	v_addc_co_u32_e32 v4, vcc, -1, v86, vcc
	v_mov_b32_e32 v9, v2
	v_cmp_gt_i64_e32 vcc, s[12:13], v[3:4]
	v_mov_b32_e32 v3, v2
	v_mov_b32_e32 v4, v2
	v_mov_b32_e32 v5, v2
	v_mov_b32_e32 v6, v2
	v_mov_b32_e32 v7, v2
	v_mov_b32_e32 v8, v2
	v_mov_b32_e32 v18, v9
	v_mov_b32_e32 v17, v8
	v_mov_b32_e32 v16, v7
	v_mov_b32_e32 v15, v6
	v_mov_b32_e32 v14, v5
	v_mov_b32_e32 v13, v4
	v_mov_b32_e32 v12, v3
	v_mov_b32_e32 v11, v2
	v_mov_b32_e32 v10, v9
	v_mov_b32_e32 v9, v8
	v_mov_b32_e32 v8, v7
	v_mov_b32_e32 v7, v6
	v_mov_b32_e32 v6, v5
	v_mov_b32_e32 v5, v4
	v_mov_b32_e32 v4, v3
	v_mov_b32_e32 v3, v2
	s_and_saveexec_b64 s[0:1], vcc
	s_cbranch_execz .LBB205_60
; %bb.59:                               ;   in Loop: Header=BB205_53 Depth=1
	v_add_co_u32_e32 v3, vcc, v51, v47
	v_addc_co_u32_e32 v4, vcc, v52, v48, vcc
	global_load_ushort v11, v[3:4], off
	v_add_co_u32_e32 v3, vcc, v53, v47
	v_addc_co_u32_e32 v4, vcc, v54, v48, vcc
	global_load_ushort v18, v[3:4], off
	v_mov_b32_e32 v4, v2
	v_mov_b32_e32 v5, v2
	v_mov_b32_e32 v6, v2
	v_mov_b32_e32 v7, v2
	v_mov_b32_e32 v8, v2
	v_mov_b32_e32 v9, v2
	v_mov_b32_e32 v10, v2
	v_mov_b32_e32 v12, v2
	v_mov_b32_e32 v13, v2
	v_mov_b32_e32 v14, v2
	v_mov_b32_e32 v15, v2
	v_mov_b32_e32 v16, v2
	v_mov_b32_e32 v17, v2
	s_waitcnt vmcnt(1)
	v_lshlrev_b32_e32 v3, 16, v11
	s_waitcnt vmcnt(0)
	v_lshlrev_b32_e32 v11, 16, v18
	v_mov_b32_e32 v18, v2
.LBB205_60:                             ;   in Loop: Header=BB205_53 Depth=1
	s_or_b64 exec, exec, s[0:1]
	v_add_co_u32_e32 v88, vcc, 0xffffff82, v85
	v_addc_co_u32_e32 v89, vcc, -1, v86, vcc
	v_cmp_gt_i64_e32 vcc, s[12:13], v[88:89]
	s_and_saveexec_b64 s[0:1], vcc
	s_cbranch_execz .LBB205_62
; %bb.61:                               ;   in Loop: Header=BB205_53 Depth=1
	v_add_co_u32_e32 v88, vcc, v79, v47
	v_addc_co_u32_e32 v89, vcc, v80, v48, vcc
	global_load_ushort v4, v[88:89], off
	v_add_co_u32_e32 v88, vcc, v81, v47
	v_addc_co_u32_e32 v89, vcc, v82, v48, vcc
	global_load_ushort v12, v[88:89], off
	s_waitcnt vmcnt(1)
	v_lshlrev_b32_e32 v4, 16, v4
	s_waitcnt vmcnt(0)
	v_lshlrev_b32_e32 v12, 16, v12
.LBB205_62:                             ;   in Loop: Header=BB205_53 Depth=1
	s_or_b64 exec, exec, s[0:1]
	v_add_co_u32_e32 v88, vcc, 0xffffff83, v85
	v_addc_co_u32_e32 v89, vcc, -1, v86, vcc
	v_cmp_gt_i64_e32 vcc, s[12:13], v[88:89]
	s_and_saveexec_b64 s[0:1], vcc
	s_cbranch_execz .LBB205_64
; %bb.63:                               ;   in Loop: Header=BB205_53 Depth=1
	v_add_co_u32_e32 v88, vcc, v75, v47
	v_addc_co_u32_e32 v89, vcc, v76, v48, vcc
	global_load_ushort v5, v[88:89], off
	v_add_co_u32_e32 v88, vcc, v77, v47
	v_addc_co_u32_e32 v89, vcc, v78, v48, vcc
	global_load_ushort v13, v[88:89], off
	s_waitcnt vmcnt(1)
	v_lshlrev_b32_e32 v5, 16, v5
	s_waitcnt vmcnt(0)
	v_lshlrev_b32_e32 v13, 16, v13
.LBB205_64:                             ;   in Loop: Header=BB205_53 Depth=1
	;; [unrolled: 18-line block ×7, first 2 shown]
	s_or_b64 exec, exec, s[0:1]
	s_waitcnt vmcnt(0)
	ds_bpermute_b32 v49, v83, v87
	ds_bpermute_b32 v88, v83, v87 offset:4
	v_mul_f32_e32 v3, v11, v3
	ds_bpermute_b32 v11, v83, v87 offset:8
	v_mul_f32_e32 v4, v12, v4
	s_waitcnt lgkmcnt(2)
	v_fma_f32 v49, v3, v49, v84
	s_waitcnt lgkmcnt(1)
	v_fmac_f32_e32 v49, v4, v88
	ds_bpermute_b32 v3, v83, v87 offset:12
	v_mul_f32_e32 v4, v13, v5
	s_waitcnt lgkmcnt(1)
	v_fmac_f32_e32 v49, v4, v11
	ds_bpermute_b32 v4, v83, v87 offset:16
	v_mul_f32_e32 v5, v14, v6
	s_waitcnt lgkmcnt(1)
	v_fmac_f32_e32 v49, v5, v3
	v_mul_f32_e32 v3, v15, v7
	ds_bpermute_b32 v5, v83, v87 offset:20
	s_waitcnt lgkmcnt(1)
	v_fmac_f32_e32 v49, v3, v4
	ds_bpermute_b32 v3, v83, v87 offset:24
	ds_bpermute_b32 v6, v83, v87 offset:28
	v_mul_f32_e32 v4, v16, v8
	s_waitcnt lgkmcnt(2)
	v_fmac_f32_e32 v49, v4, v5
	v_mul_f32_e32 v4, v17, v9
	s_waitcnt lgkmcnt(1)
	v_fmac_f32_e32 v49, v4, v3
	;; [unrolled: 3-line block ×3, first 2 shown]
	s_mov_b64 s[0:1], 0
.LBB205_75:                             ;   in Loop: Header=BB205_53 Depth=1
	s_and_b64 vcc, exec, s[0:1]
	s_cbranch_vccz .LBB205_81
; %bb.76:                               ;   in Loop: Header=BB205_53 Depth=1
	s_load_dword s0, s[2:3], 0x0
	v_mov_b32_e32 v5, 0
	s_waitcnt lgkmcnt(0)
	s_cmp_lt_u32 s6, s0
	s_cselect_b32 s0, 12, 18
	s_add_u32 s0, s2, s0
	s_addc_u32 s1, s3, 0
	global_load_ushort v3, v2, s[0:1]
	s_waitcnt vmcnt(0)
	v_mad_u32_u24 v3, v1, v3, v0
	v_and_b32_e32 v3, 63, v3
	v_cmp_gt_u32_e32 vcc, 8, v3
	s_and_saveexec_b64 s[0:1], vcc
	s_cbranch_execz .LBB205_80
; %bb.77:                               ;   in Loop: Header=BB205_53 Depth=1
	v_add_co_u32_e32 v3, vcc, v85, v3
	v_addc_co_u32_e32 v4, vcc, 0, v86, vcc
	v_add_co_u32_e32 v3, vcc, 0xffffff81, v3
	v_addc_co_u32_e32 v4, vcc, -1, v4, vcc
	v_cmp_gt_i64_e32 vcc, s[12:13], v[3:4]
	v_mov_b32_e32 v5, 0
	s_and_saveexec_b64 s[16:17], vcc
	s_cbranch_execz .LBB205_79
; %bb.78:                               ;   in Loop: Header=BB205_53 Depth=1
	v_lshlrev_b64 v[3:4], 2, v[3:4]
	v_mov_b32_e32 v5, s11
	v_add_co_u32_e32 v3, vcc, s10, v3
	v_addc_co_u32_e32 v4, vcc, v5, v4, vcc
	global_load_dword v5, v[3:4], off
.LBB205_79:                             ;   in Loop: Header=BB205_53 Depth=1
	s_or_b64 exec, exec, s[16:17]
.LBB205_80:                             ;   in Loop: Header=BB205_53 Depth=1
	s_or_b64 exec, exec, s[0:1]
	v_add_co_u32_e32 v3, vcc, v51, v47
	v_addc_co_u32_e32 v4, vcc, v52, v48, vcc
	v_add_co_u32_e32 v6, vcc, v53, v47
	v_addc_co_u32_e32 v7, vcc, v54, v48, vcc
	global_load_ushort v8, v[3:4], off
	global_load_ushort v9, v[6:7], off
	v_add_co_u32_e32 v3, vcc, v19, v47
	v_addc_co_u32_e32 v4, vcc, v20, v48, vcc
	v_add_co_u32_e32 v6, vcc, v21, v47
	v_addc_co_u32_e32 v7, vcc, v22, v48, vcc
	global_load_ushort v10, v[3:4], off
	global_load_ushort v11, v[6:7], off
	;; [unrolled: 6-line block ×7, first 2 shown]
	v_add_co_u32_e32 v3, vcc, v43, v47
	v_addc_co_u32_e32 v4, vcc, v44, v48, vcc
	v_add_co_u32_e32 v6, vcc, v45, v47
	v_addc_co_u32_e32 v7, vcc, v46, v48, vcc
	global_load_ushort v6, v[6:7], off
	s_nop 0
	global_load_ushort v3, v[3:4], off
	s_waitcnt vmcnt(15)
	v_lshlrev_b32_e32 v7, 16, v8
	s_waitcnt vmcnt(14)
	v_lshlrev_b32_e32 v4, 16, v9
	v_mul_f32_e32 v4, v7, v4
	s_waitcnt vmcnt(13)
	v_lshlrev_b32_e32 v9, 16, v10
	s_waitcnt vmcnt(12)
	v_lshlrev_b32_e32 v8, 16, v11
	v_mul_f32_e32 v7, v9, v8
	;; [unrolled: 5-line block ×3, first 2 shown]
	s_waitcnt vmcnt(9)
	v_lshlrev_b32_e32 v13, 16, v14
	s_waitcnt vmcnt(8)
	v_lshlrev_b32_e32 v12, 16, v15
	;; [unrolled: 2-line block ×7, first 2 shown]
	ds_bpermute_b32 v85, v83, v5
	s_waitcnt vmcnt(2)
	v_lshlrev_b32_e32 v18, 16, v86
	ds_bpermute_b32 v86, v83, v5 offset:4
	s_waitcnt lgkmcnt(1)
	v_fmac_f32_e32 v84, v4, v85
	ds_bpermute_b32 v4, v83, v5 offset:8
	s_waitcnt lgkmcnt(1)
	v_fmac_f32_e32 v84, v7, v86
	ds_bpermute_b32 v7, v83, v5 offset:12
	s_waitcnt vmcnt(1)
	v_lshlrev_b32_e32 v6, 16, v6
	s_waitcnt vmcnt(0)
	v_lshlrev_b32_e32 v3, 16, v3
	s_waitcnt lgkmcnt(1)
	v_fmac_f32_e32 v84, v8, v4
	ds_bpermute_b32 v4, v83, v5 offset:16
	v_mul_f32_e32 v8, v13, v12
	s_waitcnt lgkmcnt(1)
	v_fmac_f32_e32 v84, v8, v7
	v_mul_f32_e32 v7, v15, v14
	ds_bpermute_b32 v8, v83, v5 offset:20
	s_waitcnt lgkmcnt(1)
	v_fmac_f32_e32 v84, v7, v4
	ds_bpermute_b32 v4, v83, v5 offset:24
	ds_bpermute_b32 v5, v83, v5 offset:28
	v_mul_f32_e32 v7, v17, v16
	s_waitcnt lgkmcnt(2)
	v_fmac_f32_e32 v84, v7, v8
	v_mul_f32_e32 v7, v49, v18
	s_waitcnt lgkmcnt(1)
	v_fmac_f32_e32 v84, v7, v4
	;; [unrolled: 3-line block ×3, first 2 shown]
	v_mov_b32_e32 v49, v84
.LBB205_81:                             ;   in Loop: Header=BB205_53 Depth=1
	v_mov_b32_e32 v5, s9
	v_add_co_u32_e32 v51, vcc, s8, v51
	v_addc_co_u32_e32 v52, vcc, v52, v5, vcc
	v_add_co_u32_e32 v53, vcc, s8, v53
	v_addc_co_u32_e32 v54, vcc, v54, v5, vcc
	;; [unrolled: 2-line block ×28, first 2 shown]
	s_add_u32 s20, s20, s7
	v_add_co_u32_e32 v79, vcc, s8, v79
	v_mov_b32_e32 v3, s12
	s_addc_u32 s21, s21, 0
	v_addc_co_u32_e32 v80, vcc, v80, v5, vcc
	v_mov_b32_e32 v4, s13
	v_cmp_ge_i64_e32 vcc, s[20:21], v[3:4]
	s_add_u32 s22, s22, s7
	v_add_co_u32_e64 v81, s[0:1], s8, v81
	s_addc_u32 s23, s23, 0
	v_addc_co_u32_e64 v82, s[0:1], v82, v5, s[0:1]
	s_cbranch_vccnz .LBB205_83
; %bb.82:                               ;   in Loop: Header=BB205_53 Depth=1
	v_mov_b32_e32 v84, v49
	s_branch .LBB205_53
.LBB205_83:
	v_mad_u32_u24 v2, v1, 33, v0
	v_lshl_add_u32 v3, v2, 2, 0
	v_mov_b32_e32 v4, 0
	ds_write_b32 v3, v4 offset:2112
	v_sub_u32_e32 v4, v2, v1
	s_movk_i32 s0, 0x800
	v_cmp_gt_u32_e32 vcc, s0, v4
	ds_write_b32 v3, v49
	s_waitcnt lgkmcnt(0)
	s_barrier
	s_and_saveexec_b64 s[0:1], vcc
	s_cbranch_execz .LBB205_103
; %bb.84:
	s_load_dwordx2 s[4:5], s[4:5], 0x30
	v_and_b32_e32 v1, 63, v4
	v_lshrrev_b32_e32 v2, 6, v4
	v_cmp_gt_u32_e64 s[0:1], 16, v1
	v_mul_u32_u24_e32 v3, 33, v1
                                        ; implicit-def: $vgpr1
	s_and_saveexec_b64 s[2:3], s[0:1]
; %bb.85:
	v_lshlrev_b32_e32 v1, 2, v2
	v_lshlrev_b32_e32 v5, 2, v3
	v_add3_u32 v1, 0, v1, v5
	ds_read_b32 v1, v1
; %bb.86:
	s_or_b64 exec, exec, s[2:3]
	v_mbcnt_lo_u32_b32 v5, -1, 0
	v_mbcnt_hi_u32_b32 v8, -1, v5
	v_and_b32_e32 v5, 64, v8
	v_add_u32_e32 v9, 64, v5
	v_xor_b32_e32 v5, 8, v8
	v_cmp_lt_i32_e32 vcc, v5, v9
	v_cndmask_b32_e32 v5, v8, v5, vcc
	v_lshlrev_b32_e32 v5, 2, v5
	s_waitcnt lgkmcnt(0)
	ds_bpermute_b32 v6, v5, v1
	v_xor_b32_e32 v7, 4, v8
	v_cmp_lt_i32_e32 vcc, v7, v9
	v_xor_b32_e32 v10, 2, v8
	v_cmp_ne_u32_e64 s[2:3], 0, v0
	s_waitcnt lgkmcnt(0)
	v_add_f32_e32 v1, v1, v6
	v_cndmask_b32_e32 v6, v8, v7, vcc
	v_lshlrev_b32_e32 v6, 2, v6
	ds_bpermute_b32 v7, v6, v1
	v_cmp_lt_i32_e32 vcc, v10, v9
	v_xor_b32_e32 v0, 1, v8
	s_mov_b32 s7, 0
	s_lshl_b64 s[6:7], s[6:7], 5
	s_waitcnt lgkmcnt(0)
	v_add_f32_e32 v1, v1, v7
	v_cndmask_b32_e32 v7, v8, v10, vcc
	v_lshlrev_b32_e32 v7, 2, v7
	ds_bpermute_b32 v10, v7, v1
	v_cmp_lt_i32_e32 vcc, v0, v9
	v_cndmask_b32_e32 v0, v8, v0, vcc
	v_lshlrev_b32_e32 v8, 2, v0
	v_or_b32_e32 v0, s6, v2
	s_waitcnt lgkmcnt(0)
	v_add_f32_e32 v10, v1, v10
	ds_bpermute_b32 v9, v8, v10
	v_mov_b32_e32 v1, s7
	v_cmp_le_i64_e32 vcc, s[14:15], v[0:1]
	s_cmp_eq_u64 s[4:5], 0
	s_cselect_b64 s[8:9], -1, 0
	s_or_b64 s[10:11], s[2:3], vcc
	s_waitcnt lgkmcnt(0)
	v_add_f32_e32 v9, v10, v9
	s_nor_b64 s[12:13], s[8:9], s[10:11]
	s_and_saveexec_b64 s[10:11], s[12:13]
	s_cbranch_execz .LBB205_88
; %bb.87:
	v_bfe_u32 v10, v9, 16, 1
	s_movk_i32 s12, 0x7fff
	v_lshlrev_b64 v[0:1], 1, v[0:1]
	v_add3_u32 v10, v9, v10, s12
	v_cmp_o_f32_e32 vcc, v9, v9
	v_mov_b32_e32 v11, 0x7fc0
	v_cndmask_b32_sdwa v10, v11, v10, vcc dst_sel:DWORD dst_unused:UNUSED_PAD src0_sel:DWORD src1_sel:WORD_1
	v_mov_b32_e32 v11, s5
	v_add_co_u32_e32 v0, vcc, s4, v0
	v_addc_co_u32_e32 v1, vcc, v11, v1, vcc
	global_store_short v[0:1], v10, off
.LBB205_88:
	s_or_b64 exec, exec, s[10:11]
	s_movk_i32 s10, 0x600
	v_cmp_gt_u32_e32 vcc, s10, v4
	s_and_b64 exec, exec, vcc
	s_cbranch_execz .LBB205_103
; %bb.89:
	s_and_saveexec_b64 s[10:11], s[0:1]
; %bb.90:
	v_lshlrev_b32_e32 v0, 2, v2
	v_lshlrev_b32_e32 v1, 2, v3
	v_add3_u32 v0, 0, v0, v1
	ds_read_b32 v9, v0 offset:32
; %bb.91:
	s_or_b64 exec, exec, s[10:11]
	s_waitcnt lgkmcnt(0)
	ds_bpermute_b32 v0, v5, v9
	v_mov_b32_e32 v10, s7
	s_waitcnt lgkmcnt(0)
	v_add_f32_e32 v0, v9, v0
	ds_bpermute_b32 v1, v6, v0
	v_add_u32_e32 v9, 8, v2
	s_waitcnt lgkmcnt(0)
	v_add_f32_e32 v0, v0, v1
	ds_bpermute_b32 v1, v7, v0
	s_waitcnt lgkmcnt(0)
	v_add_f32_e32 v11, v0, v1
	ds_bpermute_b32 v12, v8, v11
	v_add_co_u32_e32 v0, vcc, s6, v9
	v_addc_co_u32_e32 v1, vcc, 0, v10, vcc
	v_cmp_le_i64_e32 vcc, s[14:15], v[0:1]
	s_waitcnt lgkmcnt(0)
	v_add_f32_e32 v0, v11, v12
	s_or_b64 s[10:11], s[2:3], vcc
	s_nor_b64 s[12:13], s[8:9], s[10:11]
	s_and_saveexec_b64 s[10:11], s[12:13]
	s_cbranch_execz .LBB205_93
; %bb.92:
	v_bfe_u32 v1, v0, 16, 1
	s_movk_i32 s12, 0x7fff
	v_add3_u32 v1, v0, v1, s12
	v_cmp_o_f32_e32 vcc, v0, v0
	v_mov_b32_e32 v9, 0x7fc0
	v_cndmask_b32_sdwa v1, v9, v1, vcc dst_sel:DWORD dst_unused:UNUSED_PAD src0_sel:DWORD src1_sel:WORD_1
	v_mov_b32_e32 v10, s7
	v_add_co_u32_e32 v9, vcc, s6, v2
	v_addc_co_u32_e32 v10, vcc, 0, v10, vcc
	v_lshlrev_b64 v[9:10], 1, v[9:10]
	v_mov_b32_e32 v11, s5
	v_add_co_u32_e32 v9, vcc, s4, v9
	v_addc_co_u32_e32 v10, vcc, v11, v10, vcc
	global_store_short v[9:10], v1, off offset:16
.LBB205_93:
	s_or_b64 exec, exec, s[10:11]
	s_movk_i32 s10, 0x400
	v_cmp_gt_u32_e32 vcc, s10, v4
	s_and_b64 exec, exec, vcc
	s_cbranch_execz .LBB205_103
; %bb.94:
	s_and_saveexec_b64 s[10:11], s[0:1]
; %bb.95:
	v_lshlrev_b32_e32 v0, 2, v2
	v_lshlrev_b32_e32 v1, 2, v3
	v_add3_u32 v0, 0, v0, v1
	ds_read_b32 v0, v0 offset:64
; %bb.96:
	s_or_b64 exec, exec, s[10:11]
	s_waitcnt lgkmcnt(0)
	ds_bpermute_b32 v1, v5, v0
	v_add_u32_e32 v10, 16, v2
	s_waitcnt lgkmcnt(0)
	v_add_f32_e32 v0, v0, v1
	ds_bpermute_b32 v1, v6, v0
	s_waitcnt lgkmcnt(0)
	v_add_f32_e32 v0, v0, v1
	ds_bpermute_b32 v9, v7, v0
	v_mov_b32_e32 v1, s7
	s_waitcnt lgkmcnt(0)
	v_add_f32_e32 v9, v0, v9
	ds_bpermute_b32 v11, v8, v9
	v_or_b32_e32 v0, s6, v10
	v_cmp_le_i64_e32 vcc, s[14:15], v[0:1]
	s_or_b64 s[10:11], s[2:3], vcc
	s_waitcnt lgkmcnt(0)
	v_add_f32_e32 v0, v9, v11
	s_nor_b64 s[12:13], s[8:9], s[10:11]
	s_and_saveexec_b64 s[10:11], s[12:13]
	s_cbranch_execz .LBB205_98
; %bb.97:
	v_bfe_u32 v1, v0, 16, 1
	s_movk_i32 s12, 0x7fff
	v_add3_u32 v1, v0, v1, s12
	v_cmp_o_f32_e32 vcc, v0, v0
	v_mov_b32_e32 v9, 0x7fc0
	v_cndmask_b32_sdwa v1, v9, v1, vcc dst_sel:DWORD dst_unused:UNUSED_PAD src0_sel:DWORD src1_sel:WORD_1
	v_mov_b32_e32 v10, s7
	v_add_co_u32_e32 v9, vcc, s6, v2
	v_addc_co_u32_e32 v10, vcc, 0, v10, vcc
	v_lshlrev_b64 v[9:10], 1, v[9:10]
	v_mov_b32_e32 v11, s5
	v_add_co_u32_e32 v9, vcc, s4, v9
	v_addc_co_u32_e32 v10, vcc, v11, v10, vcc
	global_store_short v[9:10], v1, off offset:32
.LBB205_98:
	s_or_b64 exec, exec, s[10:11]
	s_movk_i32 s10, 0x200
	v_cmp_gt_u32_e32 vcc, s10, v4
	s_and_b64 exec, exec, vcc
	s_cbranch_execz .LBB205_103
; %bb.99:
	s_and_saveexec_b64 s[10:11], s[0:1]
; %bb.100:
	v_lshlrev_b32_e32 v0, 2, v2
	v_lshlrev_b32_e32 v1, 2, v3
	v_add3_u32 v0, 0, v0, v1
	ds_read_b32 v0, v0 offset:96
; %bb.101:
	s_or_b64 exec, exec, s[10:11]
	s_waitcnt lgkmcnt(0)
	ds_bpermute_b32 v1, v5, v0
	v_add_u32_e32 v3, 24, v2
	v_or_b32_e32 v3, s6, v3
	v_mov_b32_e32 v4, s7
	v_cmp_le_i64_e32 vcc, s[14:15], v[3:4]
	s_waitcnt lgkmcnt(0)
	v_add_f32_e32 v0, v0, v1
	ds_bpermute_b32 v1, v6, v0
	s_or_b64 s[0:1], s[2:3], vcc
	s_nor_b64 s[0:1], s[8:9], s[0:1]
	s_waitcnt lgkmcnt(0)
	v_add_f32_e32 v0, v0, v1
	ds_bpermute_b32 v1, v7, v0
	s_waitcnt lgkmcnt(0)
	v_add_f32_e32 v0, v0, v1
	ds_bpermute_b32 v1, v8, v0
	s_and_saveexec_b64 s[2:3], s[0:1]
	s_xor_b64 s[2:3], exec, s[2:3]
	s_cbranch_execz .LBB205_103
; %bb.102:
	s_waitcnt lgkmcnt(0)
	v_add_f32_e32 v0, v0, v1
	v_bfe_u32 v1, v0, 16, 1
	s_movk_i32 s0, 0x7fff
	v_add3_u32 v1, v0, v1, s0
	v_cmp_o_f32_e32 vcc, v0, v0
	v_mov_b32_e32 v0, 0x7fc0
	v_cndmask_b32_sdwa v3, v0, v1, vcc dst_sel:DWORD dst_unused:UNUSED_PAD src0_sel:DWORD src1_sel:WORD_1
	v_mov_b32_e32 v1, s7
	v_add_co_u32_e32 v0, vcc, s6, v2
	v_addc_co_u32_e32 v1, vcc, 0, v1, vcc
	v_lshlrev_b64 v[0:1], 1, v[0:1]
	v_mov_b32_e32 v2, s5
	v_add_co_u32_e32 v0, vcc, s4, v0
	v_addc_co_u32_e32 v1, vcc, v2, v1, vcc
	global_store_short v[0:1], v3, off offset:48
.LBB205_103:
	s_endpgm
	.section	.rodata,"a",@progbits
	.p2align	6, 0x0
	.amdhsa_kernel _ZN2at6native12_GLOBAL__N_135GammaBetaBackwardCUDAKernelTemplateIN3c108BFloat16EfLj32ELj16ELj128ELb0ELb0ELb1EEEvllPKT_S7_PKT0_SA_PS5_SB_
		.amdhsa_group_segment_fixed_size 0
		.amdhsa_private_segment_fixed_size 0
		.amdhsa_kernarg_size 320
		.amdhsa_user_sgpr_count 6
		.amdhsa_user_sgpr_private_segment_buffer 1
		.amdhsa_user_sgpr_dispatch_ptr 0
		.amdhsa_user_sgpr_queue_ptr 0
		.amdhsa_user_sgpr_kernarg_segment_ptr 1
		.amdhsa_user_sgpr_dispatch_id 0
		.amdhsa_user_sgpr_flat_scratch_init 0
		.amdhsa_user_sgpr_private_segment_size 0
		.amdhsa_uses_dynamic_stack 0
		.amdhsa_system_sgpr_private_segment_wavefront_offset 0
		.amdhsa_system_sgpr_workgroup_id_x 1
		.amdhsa_system_sgpr_workgroup_id_y 1
		.amdhsa_system_sgpr_workgroup_id_z 0
		.amdhsa_system_sgpr_workgroup_info 0
		.amdhsa_system_vgpr_workitem_id 1
		.amdhsa_next_free_vgpr 90
		.amdhsa_next_free_sgpr 34
		.amdhsa_reserve_vcc 1
		.amdhsa_reserve_flat_scratch 0
		.amdhsa_float_round_mode_32 0
		.amdhsa_float_round_mode_16_64 0
		.amdhsa_float_denorm_mode_32 3
		.amdhsa_float_denorm_mode_16_64 3
		.amdhsa_dx10_clamp 1
		.amdhsa_ieee_mode 1
		.amdhsa_fp16_overflow 0
		.amdhsa_exception_fp_ieee_invalid_op 0
		.amdhsa_exception_fp_denorm_src 0
		.amdhsa_exception_fp_ieee_div_zero 0
		.amdhsa_exception_fp_ieee_overflow 0
		.amdhsa_exception_fp_ieee_underflow 0
		.amdhsa_exception_fp_ieee_inexact 0
		.amdhsa_exception_int_div_zero 0
	.end_amdhsa_kernel
	.section	.text._ZN2at6native12_GLOBAL__N_135GammaBetaBackwardCUDAKernelTemplateIN3c108BFloat16EfLj32ELj16ELj128ELb0ELb0ELb1EEEvllPKT_S7_PKT0_SA_PS5_SB_,"axG",@progbits,_ZN2at6native12_GLOBAL__N_135GammaBetaBackwardCUDAKernelTemplateIN3c108BFloat16EfLj32ELj16ELj128ELb0ELb0ELb1EEEvllPKT_S7_PKT0_SA_PS5_SB_,comdat
.Lfunc_end205:
	.size	_ZN2at6native12_GLOBAL__N_135GammaBetaBackwardCUDAKernelTemplateIN3c108BFloat16EfLj32ELj16ELj128ELb0ELb0ELb1EEEvllPKT_S7_PKT0_SA_PS5_SB_, .Lfunc_end205-_ZN2at6native12_GLOBAL__N_135GammaBetaBackwardCUDAKernelTemplateIN3c108BFloat16EfLj32ELj16ELj128ELb0ELb0ELb1EEEvllPKT_S7_PKT0_SA_PS5_SB_
                                        ; -- End function
	.set _ZN2at6native12_GLOBAL__N_135GammaBetaBackwardCUDAKernelTemplateIN3c108BFloat16EfLj32ELj16ELj128ELb0ELb0ELb1EEEvllPKT_S7_PKT0_SA_PS5_SB_.num_vgpr, 90
	.set _ZN2at6native12_GLOBAL__N_135GammaBetaBackwardCUDAKernelTemplateIN3c108BFloat16EfLj32ELj16ELj128ELb0ELb0ELb1EEEvllPKT_S7_PKT0_SA_PS5_SB_.num_agpr, 0
	.set _ZN2at6native12_GLOBAL__N_135GammaBetaBackwardCUDAKernelTemplateIN3c108BFloat16EfLj32ELj16ELj128ELb0ELb0ELb1EEEvllPKT_S7_PKT0_SA_PS5_SB_.numbered_sgpr, 34
	.set _ZN2at6native12_GLOBAL__N_135GammaBetaBackwardCUDAKernelTemplateIN3c108BFloat16EfLj32ELj16ELj128ELb0ELb0ELb1EEEvllPKT_S7_PKT0_SA_PS5_SB_.num_named_barrier, 0
	.set _ZN2at6native12_GLOBAL__N_135GammaBetaBackwardCUDAKernelTemplateIN3c108BFloat16EfLj32ELj16ELj128ELb0ELb0ELb1EEEvllPKT_S7_PKT0_SA_PS5_SB_.private_seg_size, 0
	.set _ZN2at6native12_GLOBAL__N_135GammaBetaBackwardCUDAKernelTemplateIN3c108BFloat16EfLj32ELj16ELj128ELb0ELb0ELb1EEEvllPKT_S7_PKT0_SA_PS5_SB_.uses_vcc, 1
	.set _ZN2at6native12_GLOBAL__N_135GammaBetaBackwardCUDAKernelTemplateIN3c108BFloat16EfLj32ELj16ELj128ELb0ELb0ELb1EEEvllPKT_S7_PKT0_SA_PS5_SB_.uses_flat_scratch, 0
	.set _ZN2at6native12_GLOBAL__N_135GammaBetaBackwardCUDAKernelTemplateIN3c108BFloat16EfLj32ELj16ELj128ELb0ELb0ELb1EEEvllPKT_S7_PKT0_SA_PS5_SB_.has_dyn_sized_stack, 0
	.set _ZN2at6native12_GLOBAL__N_135GammaBetaBackwardCUDAKernelTemplateIN3c108BFloat16EfLj32ELj16ELj128ELb0ELb0ELb1EEEvllPKT_S7_PKT0_SA_PS5_SB_.has_recursion, 0
	.set _ZN2at6native12_GLOBAL__N_135GammaBetaBackwardCUDAKernelTemplateIN3c108BFloat16EfLj32ELj16ELj128ELb0ELb0ELb1EEEvllPKT_S7_PKT0_SA_PS5_SB_.has_indirect_call, 0
	.section	.AMDGPU.csdata,"",@progbits
; Kernel info:
; codeLenInByte = 7352
; TotalNumSgprs: 38
; NumVgprs: 90
; ScratchSize: 0
; MemoryBound: 0
; FloatMode: 240
; IeeeMode: 1
; LDSByteSize: 0 bytes/workgroup (compile time only)
; SGPRBlocks: 4
; VGPRBlocks: 22
; NumSGPRsForWavesPerEU: 38
; NumVGPRsForWavesPerEU: 90
; Occupancy: 2
; WaveLimiterHint : 0
; COMPUTE_PGM_RSRC2:SCRATCH_EN: 0
; COMPUTE_PGM_RSRC2:USER_SGPR: 6
; COMPUTE_PGM_RSRC2:TRAP_HANDLER: 0
; COMPUTE_PGM_RSRC2:TGID_X_EN: 1
; COMPUTE_PGM_RSRC2:TGID_Y_EN: 1
; COMPUTE_PGM_RSRC2:TGID_Z_EN: 0
; COMPUTE_PGM_RSRC2:TIDIG_COMP_CNT: 1
	.section	.text._ZN2at6native12_GLOBAL__N_135GammaBetaBackwardCUDAKernelTemplateIN3c108BFloat16EfLj32ELj32ELj256ELb0ELb1ELb1EEEvllPKT_S7_PKT0_SA_PS5_SB_,"axG",@progbits,_ZN2at6native12_GLOBAL__N_135GammaBetaBackwardCUDAKernelTemplateIN3c108BFloat16EfLj32ELj32ELj256ELb0ELb1ELb1EEEvllPKT_S7_PKT0_SA_PS5_SB_,comdat
	.globl	_ZN2at6native12_GLOBAL__N_135GammaBetaBackwardCUDAKernelTemplateIN3c108BFloat16EfLj32ELj32ELj256ELb0ELb1ELb1EEEvllPKT_S7_PKT0_SA_PS5_SB_ ; -- Begin function _ZN2at6native12_GLOBAL__N_135GammaBetaBackwardCUDAKernelTemplateIN3c108BFloat16EfLj32ELj32ELj256ELb0ELb1ELb1EEEvllPKT_S7_PKT0_SA_PS5_SB_
	.p2align	8
	.type	_ZN2at6native12_GLOBAL__N_135GammaBetaBackwardCUDAKernelTemplateIN3c108BFloat16EfLj32ELj32ELj256ELb0ELb1ELb1EEEvllPKT_S7_PKT0_SA_PS5_SB_,@function
_ZN2at6native12_GLOBAL__N_135GammaBetaBackwardCUDAKernelTemplateIN3c108BFloat16EfLj32ELj32ELj256ELb0ELb1ELb1EEEvllPKT_S7_PKT0_SA_PS5_SB_: ; @_ZN2at6native12_GLOBAL__N_135GammaBetaBackwardCUDAKernelTemplateIN3c108BFloat16EfLj32ELj32ELj256ELb0ELb1ELb1EEEvllPKT_S7_PKT0_SA_PS5_SB_
; %bb.0:
	s_load_dwordx4 s[8:11], s[4:5], 0x0
	s_lshl_b32 s18, s7, 8
	s_mov_b32 s19, 0
	v_mov_b32_e32 v2, s18
	v_mov_b32_e32 v3, s19
	s_waitcnt lgkmcnt(0)
	v_cmp_gt_i64_e32 vcc, s[8:9], v[2:3]
	s_cbranch_vccnz .LBB206_2
; %bb.1:
	s_mov_b64 s[0:1], 0
	s_branch .LBB206_3
.LBB206_2:
	s_mov_b64 s[0:1], -1
.LBB206_3:
	s_load_dwordx2 s[16:17], s[4:5], 0x30
	v_mov_b32_e32 v3, 0
	s_andn2_b64 vcc, exec, s[0:1]
	v_mbcnt_lo_u32_b32 v8, -1, 0
	s_cbranch_vccnz .LBB206_10
; %bb.4:
	s_load_dword s0, s[4:5], 0x4c
	s_load_dword s7, s[4:5], 0x44
	s_load_dwordx4 s[12:15], s[4:5], 0x10
	s_load_dwordx2 s[2:3], s[4:5], 0x28
	v_lshlrev_b32_e32 v4, 3, v1
	s_waitcnt lgkmcnt(0)
	s_and_b32 s0, s0, 0xffff
	v_mad_u32_u24 v2, v1, s0, v0
	v_and_b32_e32 v5, 63, v2
	v_add_co_u32_e32 v10, vcc, s18, v4
	v_addc_co_u32_e64 v11, s[20:21], 0, 0, vcc
	v_add_co_u32_e32 v4, vcc, v10, v5
	v_cmp_gt_u32_e64 s[0:1], 8, v5
	v_mbcnt_hi_u32_b32 v6, -1, v8
	v_addc_co_u32_e32 v5, vcc, 0, v11, vcc
	v_mul_lo_u32 v14, s11, v10
	v_mul_lo_u32 v15, s10, v11
	v_mad_u64_u32 v[11:12], s[20:21], s10, v10, 0
	v_lshlrev_b32_e32 v6, 2, v6
	v_and_b32_e32 v9, 0x100, v6
	v_lshlrev_b64 v[6:7], 2, v[4:5]
	v_mov_b32_e32 v3, 0
	v_lshl_add_u32 v2, s6, 5, v0
	v_mov_b32_e32 v13, s3
	v_add_co_u32_e32 v6, vcc, s2, v6
	v_add3_u32 v12, v12, v15, v14
	v_addc_co_u32_e32 v7, vcc, v13, v7, vcc
	v_lshlrev_b64 v[11:12], 1, v[11:12]
	v_lshlrev_b64 v[13:14], 1, v[2:3]
	s_lshl_b32 s4, s7, 8
	s_mul_i32 s2, s11, s4
	s_mul_hi_u32 s3, s10, s4
	s_mov_b32 s5, 0
	v_add_co_u32_e32 v2, vcc, v11, v13
	s_add_i32 s3, s3, s2
	s_mul_i32 s2, s10, s4
	v_or_b32_e32 v10, 20, v9
	v_addc_co_u32_e32 v11, vcc, v12, v14, vcc
	v_or_b32_e32 v12, 24, v9
	v_or_b32_e32 v13, 28, v9
	s_lshl_b64 s[20:21], s[4:5], 2
	s_lshl_b64 s[22:23], s[2:3], 1
	;; [unrolled: 1-line block ×3, first 2 shown]
	s_branch .LBB206_7
.LBB206_5:                              ;   in Loop: Header=BB206_7 Depth=1
	s_or_b64 exec, exec, s[24:25]
.LBB206_6:                              ;   in Loop: Header=BB206_7 Depth=1
	s_or_b64 exec, exec, s[2:3]
	v_mov_b32_e32 v15, s13
	v_add_co_u32_e32 v16, vcc, s12, v2
	v_addc_co_u32_e32 v17, vcc, v15, v11, vcc
	v_mov_b32_e32 v15, s15
	v_add_co_u32_e32 v18, vcc, s14, v2
	v_addc_co_u32_e32 v19, vcc, v15, v11, vcc
	;; [unrolled: 3-line block ×3, first 2 shown]
	global_load_ushort v22, v[18:19], off
	v_add_co_u32_e32 v18, vcc, s10, v16
	global_load_ushort v16, v[16:17], off
	v_addc_co_u32_e32 v19, vcc, v17, v15, vcc
	s_add_u32 s18, s18, s4
	s_addc_u32 s19, s19, 0
	v_add_co_u32_e64 v6, s[2:3], s20, v6
	s_waitcnt vmcnt(1)
	v_lshlrev_b32_e32 v17, 16, v22
	global_load_ushort v22, v[20:21], off
	s_waitcnt vmcnt(1)
	v_lshlrev_b32_e32 v16, 16, v16
	v_mul_f32_e32 v16, v16, v17
	ds_bpermute_b32 v17, v9, v14
	s_waitcnt lgkmcnt(0)
	v_fmac_f32_e32 v3, v16, v17
	v_add_co_u32_e32 v16, vcc, s10, v20
	v_addc_co_u32_e32 v17, vcc, v21, v15, vcc
	v_add_co_u32_e32 v20, vcc, s10, v18
	global_load_ushort v18, v[18:19], off
	v_addc_co_u32_e32 v21, vcc, v19, v15, vcc
	s_waitcnt vmcnt(1)
	v_lshlrev_b32_e32 v19, 16, v22
	global_load_ushort v22, v[16:17], off
	s_waitcnt vmcnt(1)
	v_lshlrev_b32_e32 v18, 16, v18
	v_mul_f32_e32 v18, v18, v19
	v_or_b32_e32 v19, 4, v9
	ds_bpermute_b32 v19, v19, v14
	s_waitcnt lgkmcnt(0)
	v_fmac_f32_e32 v3, v18, v19
	v_add_co_u32_e32 v18, vcc, s10, v16
	v_addc_co_u32_e32 v19, vcc, v17, v15, vcc
	v_add_co_u32_e32 v16, vcc, s10, v20
	global_load_ushort v20, v[20:21], off
	v_addc_co_u32_e32 v17, vcc, v21, v15, vcc
	s_waitcnt vmcnt(1)
	v_lshlrev_b32_e32 v21, 16, v22
	global_load_ushort v22, v[18:19], off
	s_waitcnt vmcnt(1)
	v_lshlrev_b32_e32 v20, 16, v20
	v_mul_f32_e32 v20, v20, v21
	v_or_b32_e32 v21, 8, v9
	;; [unrolled: 15-line block ×4, first 2 shown]
	ds_bpermute_b32 v19, v19, v14
	s_waitcnt lgkmcnt(0)
	v_fmac_f32_e32 v3, v18, v19
	v_add_co_u32_e32 v18, vcc, s10, v16
	v_addc_co_u32_e32 v19, vcc, v17, v15, vcc
	v_add_co_u32_e32 v16, vcc, s10, v20
	global_load_ushort v20, v[20:21], off
	v_addc_co_u32_e32 v17, vcc, v21, v15, vcc
	s_waitcnt vmcnt(1)
	v_lshlrev_b32_e32 v21, 16, v22
	global_load_ushort v22, v[18:19], off
	s_waitcnt vmcnt(1)
	v_lshlrev_b32_e32 v20, 16, v20
	v_mul_f32_e32 v20, v20, v21
	ds_bpermute_b32 v21, v10, v14
	s_waitcnt lgkmcnt(0)
	v_fmac_f32_e32 v3, v20, v21
	v_add_co_u32_e32 v20, vcc, s10, v18
	v_addc_co_u32_e32 v21, vcc, v19, v15, vcc
	v_add_co_u32_e32 v18, vcc, s10, v16
	v_addc_co_u32_e32 v19, vcc, v17, v15, vcc
	global_load_ushort v15, v[16:17], off
	s_waitcnt vmcnt(1)
	v_lshlrev_b32_e32 v16, 16, v22
	s_waitcnt vmcnt(0)
	v_lshlrev_b32_e32 v15, 16, v15
	v_mul_f32_e32 v15, v15, v16
	ds_bpermute_b32 v16, v12, v14
	ds_bpermute_b32 v14, v13, v14
	s_waitcnt lgkmcnt(1)
	v_fmac_f32_e32 v3, v15, v16
	global_load_ushort v15, v[20:21], off
	global_load_ushort v16, v[18:19], off
	s_waitcnt vmcnt(1)
	v_lshlrev_b32_e32 v15, 16, v15
	s_waitcnt vmcnt(0)
	v_lshlrev_b32_e32 v16, 16, v16
	v_mul_f32_e32 v15, v16, v15
	s_waitcnt lgkmcnt(0)
	v_fmac_f32_e32 v3, v15, v14
	v_mov_b32_e32 v15, s9
	v_mov_b32_e32 v14, s8
	v_cmp_lt_i64_e32 vcc, s[18:19], v[14:15]
	v_mov_b32_e32 v14, s21
	v_addc_co_u32_e64 v7, s[2:3], v7, v14, s[2:3]
	v_add_co_u32_e64 v2, s[2:3], s22, v2
	v_mov_b32_e32 v14, s23
	v_addc_co_u32_e64 v11, s[2:3], v11, v14, s[2:3]
	v_add_co_u32_e64 v4, s[2:3], s4, v4
	v_addc_co_u32_e64 v5, s[2:3], 0, v5, s[2:3]
	s_cbranch_vccz .LBB206_10
.LBB206_7:                              ; =>This Inner Loop Header: Depth=1
	v_mov_b32_e32 v14, 0
	s_and_saveexec_b64 s[2:3], s[0:1]
	s_cbranch_execz .LBB206_6
; %bb.8:                                ;   in Loop: Header=BB206_7 Depth=1
	v_cmp_gt_i64_e32 vcc, s[8:9], v[4:5]
	v_mov_b32_e32 v14, 0
	s_and_saveexec_b64 s[24:25], vcc
	s_cbranch_execz .LBB206_5
; %bb.9:                                ;   in Loop: Header=BB206_7 Depth=1
	global_load_dword v14, v[6:7], off
	s_branch .LBB206_5
.LBB206_10:
	v_mad_u32_u24 v2, v1, 33, v0
	v_lshl_add_u32 v4, v2, 2, 0
	ds_write_b32 v4, v3
	v_mov_b32_e32 v3, 0
	ds_write_b32 v4, v3 offset:4224
	v_sub_u32_e32 v3, v2, v1
	s_movk_i32 s0, 0x800
	v_cmp_gt_u32_e32 vcc, s0, v3
	s_waitcnt lgkmcnt(0)
	s_barrier
	s_and_saveexec_b64 s[0:1], vcc
	s_cbranch_execz .LBB206_20
; %bb.11:
	v_and_b32_e32 v2, 63, v3
	v_lshrrev_b32_e32 v1, 6, v3
	v_cmp_gt_u32_e64 s[0:1], 32, v2
	v_mul_u32_u24_e32 v2, 33, v2
                                        ; implicit-def: $vgpr5
	s_and_saveexec_b64 s[2:3], s[0:1]
; %bb.12:
	v_lshlrev_b32_e32 v4, 2, v1
	v_lshlrev_b32_e32 v5, 2, v2
	v_add3_u32 v4, 0, v4, v5
	ds_read_b32 v5, v4
; %bb.13:
	s_or_b64 exec, exec, s[2:3]
	v_mbcnt_hi_u32_b32 v8, -1, v8
	v_and_b32_e32 v4, 64, v8
	v_add_u32_e32 v9, 64, v4
	v_xor_b32_e32 v4, 16, v8
	v_cmp_lt_i32_e32 vcc, v4, v9
	v_cndmask_b32_e32 v4, v8, v4, vcc
	v_lshlrev_b32_e32 v4, 2, v4
	s_waitcnt lgkmcnt(0)
	ds_bpermute_b32 v6, v4, v5
	v_xor_b32_e32 v7, 8, v8
	v_cmp_lt_i32_e32 vcc, v7, v9
	v_xor_b32_e32 v10, 4, v8
	v_xor_b32_e32 v11, 2, v8
	s_waitcnt lgkmcnt(0)
	v_add_f32_e32 v6, v5, v6
	v_cndmask_b32_e32 v5, v8, v7, vcc
	v_lshlrev_b32_e32 v5, 2, v5
	ds_bpermute_b32 v7, v5, v6
	v_cmp_lt_i32_e32 vcc, v10, v9
	s_cmp_lg_u64 s[16:17], 0
	s_mov_b32 s7, 0
	s_cselect_b64 s[4:5], -1, 0
	s_waitcnt lgkmcnt(0)
	v_add_f32_e32 v7, v6, v7
	v_cndmask_b32_e32 v6, v8, v10, vcc
	v_lshlrev_b32_e32 v6, 2, v6
	ds_bpermute_b32 v10, v6, v7
	v_cmp_lt_i32_e32 vcc, v11, v9
	s_waitcnt lgkmcnt(0)
	v_add_f32_e32 v10, v7, v10
	v_cndmask_b32_e32 v7, v8, v11, vcc
	v_lshlrev_b32_e32 v7, 2, v7
	ds_bpermute_b32 v11, v7, v10
	v_cmp_eq_u32_e32 vcc, 0, v0
	v_xor_b32_e32 v0, 1, v8
	v_cmp_lt_i32_e64 s[2:3], v0, v9
	v_cndmask_b32_e64 v0, v8, v0, s[2:3]
	s_waitcnt lgkmcnt(0)
	v_add_f32_e32 v10, v10, v11
	v_lshlrev_b32_e32 v0, 2, v0
	ds_bpermute_b32 v8, v0, v10
	s_and_b64 s[4:5], vcc, s[4:5]
	s_lshl_b64 s[2:3], s[6:7], 6
	s_add_u32 s2, s16, s2
	s_addc_u32 s3, s17, s3
	s_waitcnt lgkmcnt(0)
	v_add_f32_e32 v8, v10, v8
	s_and_saveexec_b64 s[6:7], s[4:5]
	s_cbranch_execz .LBB206_15
; %bb.14:
	v_bfe_u32 v9, v8, 16, 1
	s_movk_i32 s8, 0x7fff
	v_add3_u32 v9, v8, v9, s8
	v_cmp_o_f32_e32 vcc, v8, v8
	v_mov_b32_e32 v10, 0x7fc0
	v_cndmask_b32_sdwa v9, v10, v9, vcc dst_sel:DWORD dst_unused:UNUSED_PAD src0_sel:DWORD src1_sel:WORD_1
	v_lshlrev_b32_e32 v10, 1, v1
	global_store_short v10, v9, s[2:3]
.LBB206_15:
	s_or_b64 exec, exec, s[6:7]
	s_movk_i32 s6, 0x400
	v_cmp_gt_u32_e32 vcc, s6, v3
	s_and_b64 exec, exec, vcc
	s_cbranch_execz .LBB206_20
; %bb.16:
	s_and_saveexec_b64 s[6:7], s[0:1]
; %bb.17:
	v_lshlrev_b32_e32 v3, 2, v1
	v_lshlrev_b32_e32 v2, 2, v2
	v_add3_u32 v2, 0, v3, v2
	ds_read_b32 v8, v2 offset:64
; %bb.18:
	s_or_b64 exec, exec, s[6:7]
	s_waitcnt lgkmcnt(0)
	ds_bpermute_b32 v2, v4, v8
	s_waitcnt lgkmcnt(0)
	v_add_f32_e32 v2, v8, v2
	ds_bpermute_b32 v3, v5, v2
	s_waitcnt lgkmcnt(0)
	v_add_f32_e32 v2, v2, v3
	;; [unrolled: 3-line block ×4, first 2 shown]
	ds_bpermute_b32 v0, v0, v2
	s_and_saveexec_b64 s[0:1], s[4:5]
	s_xor_b64 s[0:1], exec, s[0:1]
	s_cbranch_execz .LBB206_20
; %bb.19:
	s_waitcnt lgkmcnt(0)
	v_add_f32_e32 v0, v2, v0
	v_bfe_u32 v2, v0, 16, 1
	s_movk_i32 s0, 0x7fff
	v_add3_u32 v2, v0, v2, s0
	v_cmp_o_f32_e32 vcc, v0, v0
	v_mov_b32_e32 v0, 0x7fc0
	v_cndmask_b32_sdwa v0, v0, v2, vcc dst_sel:DWORD dst_unused:UNUSED_PAD src0_sel:DWORD src1_sel:WORD_1
	v_lshlrev_b32_e32 v1, 1, v1
	global_store_short v1, v0, s[2:3] offset:32
.LBB206_20:
	s_endpgm
	.section	.rodata,"a",@progbits
	.p2align	6, 0x0
	.amdhsa_kernel _ZN2at6native12_GLOBAL__N_135GammaBetaBackwardCUDAKernelTemplateIN3c108BFloat16EfLj32ELj32ELj256ELb0ELb1ELb1EEEvllPKT_S7_PKT0_SA_PS5_SB_
		.amdhsa_group_segment_fixed_size 0
		.amdhsa_private_segment_fixed_size 0
		.amdhsa_kernarg_size 320
		.amdhsa_user_sgpr_count 6
		.amdhsa_user_sgpr_private_segment_buffer 1
		.amdhsa_user_sgpr_dispatch_ptr 0
		.amdhsa_user_sgpr_queue_ptr 0
		.amdhsa_user_sgpr_kernarg_segment_ptr 1
		.amdhsa_user_sgpr_dispatch_id 0
		.amdhsa_user_sgpr_flat_scratch_init 0
		.amdhsa_user_sgpr_private_segment_size 0
		.amdhsa_uses_dynamic_stack 0
		.amdhsa_system_sgpr_private_segment_wavefront_offset 0
		.amdhsa_system_sgpr_workgroup_id_x 1
		.amdhsa_system_sgpr_workgroup_id_y 1
		.amdhsa_system_sgpr_workgroup_id_z 0
		.amdhsa_system_sgpr_workgroup_info 0
		.amdhsa_system_vgpr_workitem_id 1
		.amdhsa_next_free_vgpr 23
		.amdhsa_next_free_sgpr 26
		.amdhsa_reserve_vcc 1
		.amdhsa_reserve_flat_scratch 0
		.amdhsa_float_round_mode_32 0
		.amdhsa_float_round_mode_16_64 0
		.amdhsa_float_denorm_mode_32 3
		.amdhsa_float_denorm_mode_16_64 3
		.amdhsa_dx10_clamp 1
		.amdhsa_ieee_mode 1
		.amdhsa_fp16_overflow 0
		.amdhsa_exception_fp_ieee_invalid_op 0
		.amdhsa_exception_fp_denorm_src 0
		.amdhsa_exception_fp_ieee_div_zero 0
		.amdhsa_exception_fp_ieee_overflow 0
		.amdhsa_exception_fp_ieee_underflow 0
		.amdhsa_exception_fp_ieee_inexact 0
		.amdhsa_exception_int_div_zero 0
	.end_amdhsa_kernel
	.section	.text._ZN2at6native12_GLOBAL__N_135GammaBetaBackwardCUDAKernelTemplateIN3c108BFloat16EfLj32ELj32ELj256ELb0ELb1ELb1EEEvllPKT_S7_PKT0_SA_PS5_SB_,"axG",@progbits,_ZN2at6native12_GLOBAL__N_135GammaBetaBackwardCUDAKernelTemplateIN3c108BFloat16EfLj32ELj32ELj256ELb0ELb1ELb1EEEvllPKT_S7_PKT0_SA_PS5_SB_,comdat
.Lfunc_end206:
	.size	_ZN2at6native12_GLOBAL__N_135GammaBetaBackwardCUDAKernelTemplateIN3c108BFloat16EfLj32ELj32ELj256ELb0ELb1ELb1EEEvllPKT_S7_PKT0_SA_PS5_SB_, .Lfunc_end206-_ZN2at6native12_GLOBAL__N_135GammaBetaBackwardCUDAKernelTemplateIN3c108BFloat16EfLj32ELj32ELj256ELb0ELb1ELb1EEEvllPKT_S7_PKT0_SA_PS5_SB_
                                        ; -- End function
	.set _ZN2at6native12_GLOBAL__N_135GammaBetaBackwardCUDAKernelTemplateIN3c108BFloat16EfLj32ELj32ELj256ELb0ELb1ELb1EEEvllPKT_S7_PKT0_SA_PS5_SB_.num_vgpr, 23
	.set _ZN2at6native12_GLOBAL__N_135GammaBetaBackwardCUDAKernelTemplateIN3c108BFloat16EfLj32ELj32ELj256ELb0ELb1ELb1EEEvllPKT_S7_PKT0_SA_PS5_SB_.num_agpr, 0
	.set _ZN2at6native12_GLOBAL__N_135GammaBetaBackwardCUDAKernelTemplateIN3c108BFloat16EfLj32ELj32ELj256ELb0ELb1ELb1EEEvllPKT_S7_PKT0_SA_PS5_SB_.numbered_sgpr, 26
	.set _ZN2at6native12_GLOBAL__N_135GammaBetaBackwardCUDAKernelTemplateIN3c108BFloat16EfLj32ELj32ELj256ELb0ELb1ELb1EEEvllPKT_S7_PKT0_SA_PS5_SB_.num_named_barrier, 0
	.set _ZN2at6native12_GLOBAL__N_135GammaBetaBackwardCUDAKernelTemplateIN3c108BFloat16EfLj32ELj32ELj256ELb0ELb1ELb1EEEvllPKT_S7_PKT0_SA_PS5_SB_.private_seg_size, 0
	.set _ZN2at6native12_GLOBAL__N_135GammaBetaBackwardCUDAKernelTemplateIN3c108BFloat16EfLj32ELj32ELj256ELb0ELb1ELb1EEEvllPKT_S7_PKT0_SA_PS5_SB_.uses_vcc, 1
	.set _ZN2at6native12_GLOBAL__N_135GammaBetaBackwardCUDAKernelTemplateIN3c108BFloat16EfLj32ELj32ELj256ELb0ELb1ELb1EEEvllPKT_S7_PKT0_SA_PS5_SB_.uses_flat_scratch, 0
	.set _ZN2at6native12_GLOBAL__N_135GammaBetaBackwardCUDAKernelTemplateIN3c108BFloat16EfLj32ELj32ELj256ELb0ELb1ELb1EEEvllPKT_S7_PKT0_SA_PS5_SB_.has_dyn_sized_stack, 0
	.set _ZN2at6native12_GLOBAL__N_135GammaBetaBackwardCUDAKernelTemplateIN3c108BFloat16EfLj32ELj32ELj256ELb0ELb1ELb1EEEvllPKT_S7_PKT0_SA_PS5_SB_.has_recursion, 0
	.set _ZN2at6native12_GLOBAL__N_135GammaBetaBackwardCUDAKernelTemplateIN3c108BFloat16EfLj32ELj32ELj256ELb0ELb1ELb1EEEvllPKT_S7_PKT0_SA_PS5_SB_.has_indirect_call, 0
	.section	.AMDGPU.csdata,"",@progbits
; Kernel info:
; codeLenInByte = 1624
; TotalNumSgprs: 30
; NumVgprs: 23
; ScratchSize: 0
; MemoryBound: 0
; FloatMode: 240
; IeeeMode: 1
; LDSByteSize: 0 bytes/workgroup (compile time only)
; SGPRBlocks: 3
; VGPRBlocks: 5
; NumSGPRsForWavesPerEU: 30
; NumVGPRsForWavesPerEU: 23
; Occupancy: 10
; WaveLimiterHint : 0
; COMPUTE_PGM_RSRC2:SCRATCH_EN: 0
; COMPUTE_PGM_RSRC2:USER_SGPR: 6
; COMPUTE_PGM_RSRC2:TRAP_HANDLER: 0
; COMPUTE_PGM_RSRC2:TGID_X_EN: 1
; COMPUTE_PGM_RSRC2:TGID_Y_EN: 1
; COMPUTE_PGM_RSRC2:TGID_Z_EN: 0
; COMPUTE_PGM_RSRC2:TIDIG_COMP_CNT: 1
	.section	.text._ZN2at6native12_GLOBAL__N_135GammaBetaBackwardCUDAKernelTemplateIN3c108BFloat16EfLj32ELj32ELj256ELb0ELb0ELb1EEEvllPKT_S7_PKT0_SA_PS5_SB_,"axG",@progbits,_ZN2at6native12_GLOBAL__N_135GammaBetaBackwardCUDAKernelTemplateIN3c108BFloat16EfLj32ELj32ELj256ELb0ELb0ELb1EEEvllPKT_S7_PKT0_SA_PS5_SB_,comdat
	.globl	_ZN2at6native12_GLOBAL__N_135GammaBetaBackwardCUDAKernelTemplateIN3c108BFloat16EfLj32ELj32ELj256ELb0ELb0ELb1EEEvllPKT_S7_PKT0_SA_PS5_SB_ ; -- Begin function _ZN2at6native12_GLOBAL__N_135GammaBetaBackwardCUDAKernelTemplateIN3c108BFloat16EfLj32ELj32ELj256ELb0ELb0ELb1EEEvllPKT_S7_PKT0_SA_PS5_SB_
	.p2align	8
	.type	_ZN2at6native12_GLOBAL__N_135GammaBetaBackwardCUDAKernelTemplateIN3c108BFloat16EfLj32ELj32ELj256ELb0ELb0ELb1EEEvllPKT_S7_PKT0_SA_PS5_SB_,@function
_ZN2at6native12_GLOBAL__N_135GammaBetaBackwardCUDAKernelTemplateIN3c108BFloat16EfLj32ELj32ELj256ELb0ELb0ELb1EEEvllPKT_S7_PKT0_SA_PS5_SB_: ; @_ZN2at6native12_GLOBAL__N_135GammaBetaBackwardCUDAKernelTemplateIN3c108BFloat16EfLj32ELj32ELj256ELb0ELb0ELb1EEEvllPKT_S7_PKT0_SA_PS5_SB_
; %bb.0:
	s_mov_b64 s[38:39], s[2:3]
	s_mov_b64 s[36:37], s[0:1]
	s_add_u32 s36, s36, s8
	s_load_dwordx8 s[12:19], s[4:5], 0x0
	s_load_dwordx2 s[10:11], s[4:5], 0x28
	s_addc_u32 s37, s37, 0
	s_lshl_b32 s20, s7, 8
	s_lshl_b32 s33, s6, 5
	s_mov_b32 s21, 0
	v_mov_b32_e32 v2, s20
	s_or_b32 s0, s33, 31
	v_mov_b32_e32 v3, s21
	v_mov_b32_e32 v48, s0
	;; [unrolled: 1-line block ×3, first 2 shown]
	s_waitcnt lgkmcnt(0)
	v_cmp_gt_i64_e64 s[0:1], s[12:13], v[2:3]
	v_cmp_le_i64_e32 vcc, s[14:15], v[48:49]
	v_mov_b32_e32 v60, v0
	v_cndmask_b32_e64 v0, 0, 1, s[0:1]
	v_cmp_ne_u32_e64 s[0:1], 1, v0
	s_cbranch_vccz .LBB207_49
; %bb.1:
	s_and_b64 vcc, exec, s[0:1]
	s_cbranch_vccnz .LBB207_50
; %bb.2:
	v_lshlrev_b32_e32 v0, 3, v1
	v_add_co_u32_e32 v5, vcc, s20, v0
	v_addc_co_u32_e64 v6, s[2:3], 0, 0, vcc
	v_mul_lo_u32 v10, s15, v5
	v_mul_lo_u32 v9, s14, v6
	v_mad_u64_u32 v[3:4], s[2:3], s14, v5, 0
	v_mov_b32_e32 v2, 0
	s_load_dword s7, s[4:5], 0x44
	v_add_u32_e32 v7, s33, v60
	v_mov_b32_e32 v8, v2
	v_add3_u32 v4, v4, v9, v10
	v_cmp_gt_i64_e64 s[2:3], s[14:15], v[7:8]
	v_lshlrev_b64 v[19:20], 1, v[7:8]
	v_lshlrev_b64 v[7:8], 1, v[3:4]
	s_add_u32 s22, s4, 64
	v_mov_b32_e32 v9, s17
	v_add_co_u32_e32 v61, vcc, s16, v7
	s_addc_u32 s23, s5, 0
	s_waitcnt lgkmcnt(0)
	s_lshl_b32 s7, s7, 8
	v_addc_co_u32_e32 v21, vcc, v9, v8, vcc
	s_mul_i32 s8, s15, s7
	s_mul_hi_u32 s9, s14, s7
	v_add_co_u32_e32 v9, vcc, 7, v5
	s_add_i32 s9, s9, s8
	s_mul_i32 s8, s14, s7
	v_addc_co_u32_e32 v10, vcc, 0, v6, vcc
	s_lshl_b64 s[24:25], s[8:9], 1
	v_mul_lo_u32 v12, s15, v9
	v_mul_lo_u32 v13, s14, v10
	v_mad_u64_u32 v[9:10], s[8:9], s14, v9, 0
	v_mov_b32_e32 v11, s19
	v_add_co_u32_e32 v22, vcc, s18, v7
	v_add3_u32 v10, v10, v13, v12
	v_addc_co_u32_e32 v23, vcc, v11, v8, vcc
	v_lshlrev_b64 v[7:8], 1, v[9:10]
	v_mov_b32_e32 v9, s17
	v_add_co_u32_e32 v24, vcc, s16, v7
	v_addc_co_u32_e32 v25, vcc, v9, v8, vcc
	v_add_co_u32_e32 v9, vcc, 6, v5
	v_addc_co_u32_e32 v10, vcc, 0, v6, vcc
	v_mul_lo_u32 v12, s15, v9
	v_mul_lo_u32 v13, s14, v10
	v_mad_u64_u32 v[9:10], s[8:9], s14, v9, 0
	v_add_co_u32_e32 v26, vcc, s18, v7
	v_add3_u32 v10, v10, v13, v12
	v_addc_co_u32_e32 v27, vcc, v11, v8, vcc
	v_lshlrev_b64 v[7:8], 1, v[9:10]
	v_mov_b32_e32 v9, s17
	v_add_co_u32_e32 v28, vcc, s16, v7
	v_addc_co_u32_e32 v29, vcc, v9, v8, vcc
	v_add_co_u32_e32 v9, vcc, 5, v5
	v_addc_co_u32_e32 v10, vcc, 0, v6, vcc
	v_mul_lo_u32 v12, s15, v9
	v_mul_lo_u32 v13, s14, v10
	v_mad_u64_u32 v[9:10], s[8:9], s14, v9, 0
	;; [unrolled: 12-line block ×5, first 2 shown]
	v_mov_b32_e32 v9, s19
	v_add_co_u32_e32 v42, vcc, s18, v7
	v_add3_u32 v6, v6, v11, v10
	v_lshlrev_b64 v[5:6], 1, v[5:6]
	v_addc_co_u32_e32 v43, vcc, v9, v8, vcc
	v_mov_b32_e32 v7, s17
	v_add_co_u32_e32 v44, vcc, s16, v5
	v_addc_co_u32_e32 v45, vcc, v7, v6, vcc
	v_mov_b32_e32 v7, s19
	v_add_co_u32_e32 v46, vcc, s18, v5
	;; [unrolled: 3-line block ×3, first 2 shown]
	v_addc_co_u32_e32 v4, vcc, v4, v5, vcc
	v_lshlrev_b64 v[3:4], 1, v[3:4]
	v_mov_b32_e32 v5, s17
	v_add_co_u32_e32 v48, vcc, s16, v3
	v_addc_co_u32_e32 v50, vcc, v5, v4, vcc
	v_add_co_u32_e32 v51, vcc, s18, v3
	v_mbcnt_lo_u32_b32 v3, -1, 0
	v_mbcnt_hi_u32_b32 v3, -1, v3
	v_mov_b32_e32 v5, s19
	s_add_u32 s26, s20, 0xff
	v_lshlrev_b32_e32 v3, 2, v3
	v_addc_co_u32_e32 v52, vcc, v5, v4, vcc
	s_addc_u32 s27, 0, 0
	v_and_b32_e32 v53, 0x100, v3
	s_mov_b64 s[28:29], s[20:21]
	v_mov_b32_e32 v54, 0
.LBB207_3:                              ; =>This Inner Loop Header: Depth=1
	v_mov_b32_e32 v3, s12
	v_mov_b32_e32 v4, s13
	v_cmp_ge_i64_e32 vcc, s[26:27], v[3:4]
	v_mov_b32_e32 v3, s27
	v_add_co_u32_e64 v55, s[8:9], s26, v0
	v_addc_co_u32_e64 v56, s[8:9], 0, v3, s[8:9]
	s_mov_b64 s[8:9], -1
	s_and_b64 vcc, exec, vcc
                                        ; implicit-def: $vgpr3_vgpr4_vgpr5_vgpr6_vgpr7_vgpr8_vgpr9_vgpr10
                                        ; implicit-def: $vgpr49
                                        ; implicit-def: $vgpr11_vgpr12_vgpr13_vgpr14_vgpr15_vgpr16_vgpr17_vgpr18
                                        ; implicit-def: $vgpr3
	s_cbranch_vccz .LBB207_25
; %bb.4:                                ;   in Loop: Header=BB207_3 Depth=1
	s_load_dword s8, s[22:23], 0xc
	v_mov_b32_e32 v57, 0
	s_waitcnt lgkmcnt(0)
	s_and_b32 s8, s8, 0xffff
	v_mad_u32_u24 v3, v1, s8, v60
	v_and_b32_e32 v3, 63, v3
	v_cmp_gt_u32_e32 vcc, 8, v3
	s_and_saveexec_b64 s[8:9], vcc
	s_cbranch_execz .LBB207_8
; %bb.5:                                ;   in Loop: Header=BB207_3 Depth=1
	v_add_co_u32_e32 v3, vcc, v55, v3
	v_addc_co_u32_e32 v4, vcc, 0, v56, vcc
	v_add_co_u32_e32 v3, vcc, 0xffffff01, v3
	v_addc_co_u32_e32 v4, vcc, -1, v4, vcc
	v_cmp_gt_i64_e32 vcc, s[12:13], v[3:4]
	v_mov_b32_e32 v57, 0
	s_and_saveexec_b64 s[30:31], vcc
	s_cbranch_execz .LBB207_7
; %bb.6:                                ;   in Loop: Header=BB207_3 Depth=1
	v_lshlrev_b64 v[3:4], 2, v[3:4]
	v_mov_b32_e32 v5, s11
	v_add_co_u32_e32 v3, vcc, s10, v3
	v_addc_co_u32_e32 v4, vcc, v5, v4, vcc
	global_load_dword v57, v[3:4], off
.LBB207_7:                              ;   in Loop: Header=BB207_3 Depth=1
	s_or_b64 exec, exec, s[30:31]
.LBB207_8:                              ;   in Loop: Header=BB207_3 Depth=1
	s_or_b64 exec, exec, s[8:9]
	v_add_co_u32_e32 v3, vcc, 0xffffff01, v55
	v_addc_co_u32_e32 v4, vcc, -1, v56, vcc
	v_mov_b32_e32 v9, v2
	v_cmp_gt_i64_e32 vcc, s[12:13], v[3:4]
	v_mov_b32_e32 v3, v2
	v_mov_b32_e32 v4, v2
	;; [unrolled: 1-line block ×15, first 2 shown]
	s_and_b64 s[30:31], s[2:3], vcc
	v_mov_b32_e32 v9, v8
	v_mov_b32_e32 v8, v7
	;; [unrolled: 1-line block ×7, first 2 shown]
	s_and_saveexec_b64 s[8:9], s[30:31]
	s_cbranch_execz .LBB207_10
; %bb.9:                                ;   in Loop: Header=BB207_3 Depth=1
	v_add_co_u32_e32 v3, vcc, v61, v19
	v_addc_co_u32_e32 v4, vcc, v21, v20, vcc
	global_load_ushort v11, v[3:4], off
	v_add_co_u32_e32 v3, vcc, v22, v19
	v_addc_co_u32_e32 v4, vcc, v23, v20, vcc
	global_load_ushort v18, v[3:4], off
	v_mov_b32_e32 v4, v2
	v_mov_b32_e32 v5, v2
	;; [unrolled: 1-line block ×13, first 2 shown]
	s_waitcnt vmcnt(1)
	v_lshlrev_b32_e32 v3, 16, v11
	s_waitcnt vmcnt(0)
	v_lshlrev_b32_e32 v11, 16, v18
	v_mov_b32_e32 v18, v2
.LBB207_10:                             ;   in Loop: Header=BB207_3 Depth=1
	s_or_b64 exec, exec, s[8:9]
	v_add_co_u32_e32 v58, vcc, 0xffffff02, v55
	v_addc_co_u32_e32 v59, vcc, -1, v56, vcc
	v_cmp_gt_i64_e32 vcc, s[12:13], v[58:59]
	s_and_b64 s[30:31], s[2:3], vcc
	s_and_saveexec_b64 s[8:9], s[30:31]
	s_cbranch_execz .LBB207_12
; %bb.11:                               ;   in Loop: Header=BB207_3 Depth=1
	v_add_co_u32_e32 v58, vcc, v48, v19
	v_addc_co_u32_e32 v59, vcc, v50, v20, vcc
	global_load_ushort v4, v[58:59], off
	v_add_co_u32_e32 v58, vcc, v51, v19
	v_addc_co_u32_e32 v59, vcc, v52, v20, vcc
	global_load_ushort v12, v[58:59], off
	s_waitcnt vmcnt(1)
	v_lshlrev_b32_e32 v4, 16, v4
	s_waitcnt vmcnt(0)
	v_lshlrev_b32_e32 v12, 16, v12
.LBB207_12:                             ;   in Loop: Header=BB207_3 Depth=1
	s_or_b64 exec, exec, s[8:9]
	v_add_co_u32_e32 v58, vcc, 0xffffff03, v55
	v_addc_co_u32_e32 v59, vcc, -1, v56, vcc
	v_cmp_gt_i64_e32 vcc, s[12:13], v[58:59]
	s_and_b64 s[30:31], s[2:3], vcc
	s_and_saveexec_b64 s[8:9], s[30:31]
	s_cbranch_execz .LBB207_14
; %bb.13:                               ;   in Loop: Header=BB207_3 Depth=1
	v_add_co_u32_e32 v58, vcc, v44, v19
	v_addc_co_u32_e32 v59, vcc, v45, v20, vcc
	global_load_ushort v5, v[58:59], off
	v_add_co_u32_e32 v58, vcc, v46, v19
	v_addc_co_u32_e32 v59, vcc, v47, v20, vcc
	global_load_ushort v13, v[58:59], off
	s_waitcnt vmcnt(1)
	v_lshlrev_b32_e32 v5, 16, v5
	s_waitcnt vmcnt(0)
	v_lshlrev_b32_e32 v13, 16, v13
.LBB207_14:                             ;   in Loop: Header=BB207_3 Depth=1
	;; [unrolled: 19-line block ×7, first 2 shown]
	s_or_b64 exec, exec, s[8:9]
	s_waitcnt vmcnt(0)
	ds_bpermute_b32 v49, v53, v57
	ds_bpermute_b32 v58, v53, v57 offset:4
	v_mul_f32_e32 v3, v11, v3
	ds_bpermute_b32 v11, v53, v57 offset:8
	v_mul_f32_e32 v4, v12, v4
	s_waitcnt lgkmcnt(2)
	v_fma_f32 v49, v3, v49, v54
	s_waitcnt lgkmcnt(1)
	v_fmac_f32_e32 v49, v4, v58
	ds_bpermute_b32 v3, v53, v57 offset:12
	v_mul_f32_e32 v4, v13, v5
	s_waitcnt lgkmcnt(1)
	v_fmac_f32_e32 v49, v4, v11
	ds_bpermute_b32 v4, v53, v57 offset:16
	v_mul_f32_e32 v5, v14, v6
	s_waitcnt lgkmcnt(1)
	v_fmac_f32_e32 v49, v5, v3
	v_mul_f32_e32 v3, v15, v7
	ds_bpermute_b32 v5, v53, v57 offset:20
	s_waitcnt lgkmcnt(1)
	v_fmac_f32_e32 v49, v3, v4
	ds_bpermute_b32 v4, v53, v57 offset:24
	ds_bpermute_b32 v3, v53, v57 offset:28
	v_mul_f32_e32 v6, v16, v8
	s_waitcnt lgkmcnt(2)
	v_fmac_f32_e32 v49, v6, v5
	v_mul_f32_e32 v5, v17, v9
	s_waitcnt lgkmcnt(1)
	v_fmac_f32_e32 v49, v5, v4
	s_mov_b64 s[8:9], 0
.LBB207_25:                             ;   in Loop: Header=BB207_3 Depth=1
	s_and_b64 vcc, exec, s[8:9]
	s_cbranch_vccz .LBB207_40
; %bb.26:                               ;   in Loop: Header=BB207_3 Depth=1
	s_load_dword s8, s[22:23], 0x0
	v_mov_b32_e32 v49, 0
	s_waitcnt lgkmcnt(0)
	s_cmp_lt_u32 s6, s8
	s_cselect_b32 s8, 12, 18
	s_add_u32 s8, s22, s8
	s_addc_u32 s9, s23, 0
	global_load_ushort v3, v2, s[8:9]
	s_waitcnt vmcnt(0)
	v_mad_u32_u24 v3, v1, v3, v60
	v_and_b32_e32 v3, 63, v3
	v_cmp_gt_u32_e32 vcc, 8, v3
	s_and_saveexec_b64 s[8:9], vcc
	s_cbranch_execz .LBB207_30
; %bb.27:                               ;   in Loop: Header=BB207_3 Depth=1
	v_add_co_u32_e32 v3, vcc, v55, v3
	v_addc_co_u32_e32 v4, vcc, 0, v56, vcc
	v_add_co_u32_e32 v3, vcc, 0xffffff01, v3
	v_addc_co_u32_e32 v4, vcc, -1, v4, vcc
	v_cmp_gt_i64_e32 vcc, s[12:13], v[3:4]
	v_mov_b32_e32 v49, 0
	s_and_saveexec_b64 s[30:31], vcc
	s_cbranch_execz .LBB207_29
; %bb.28:                               ;   in Loop: Header=BB207_3 Depth=1
	v_lshlrev_b64 v[3:4], 2, v[3:4]
	v_mov_b32_e32 v5, s11
	v_add_co_u32_e32 v3, vcc, s10, v3
	v_addc_co_u32_e32 v4, vcc, v5, v4, vcc
	global_load_dword v49, v[3:4], off
.LBB207_29:                             ;   in Loop: Header=BB207_3 Depth=1
	s_or_b64 exec, exec, s[30:31]
.LBB207_30:                             ;   in Loop: Header=BB207_3 Depth=1
	s_or_b64 exec, exec, s[8:9]
	v_mov_b32_e32 v9, v2
	v_mov_b32_e32 v3, v2
	;; [unrolled: 1-line block ×23, first 2 shown]
	s_and_saveexec_b64 s[8:9], s[2:3]
	s_cbranch_execnz .LBB207_42
; %bb.31:                               ;   in Loop: Header=BB207_3 Depth=1
	s_or_b64 exec, exec, s[8:9]
	s_and_saveexec_b64 s[8:9], s[2:3]
	s_cbranch_execnz .LBB207_43
.LBB207_32:                             ;   in Loop: Header=BB207_3 Depth=1
	s_or_b64 exec, exec, s[8:9]
	s_and_saveexec_b64 s[8:9], s[2:3]
	s_cbranch_execnz .LBB207_44
.LBB207_33:                             ;   in Loop: Header=BB207_3 Depth=1
	s_or_b64 exec, exec, s[8:9]
	s_and_saveexec_b64 s[8:9], s[2:3]
	s_cbranch_execnz .LBB207_45
.LBB207_34:                             ;   in Loop: Header=BB207_3 Depth=1
	s_or_b64 exec, exec, s[8:9]
	s_and_saveexec_b64 s[8:9], s[2:3]
	s_cbranch_execnz .LBB207_46
.LBB207_35:                             ;   in Loop: Header=BB207_3 Depth=1
	s_or_b64 exec, exec, s[8:9]
	s_and_saveexec_b64 s[8:9], s[2:3]
	s_cbranch_execnz .LBB207_47
.LBB207_36:                             ;   in Loop: Header=BB207_3 Depth=1
	s_or_b64 exec, exec, s[8:9]
	s_and_saveexec_b64 s[8:9], s[2:3]
	s_cbranch_execnz .LBB207_48
.LBB207_37:                             ;   in Loop: Header=BB207_3 Depth=1
	s_or_b64 exec, exec, s[8:9]
	s_and_saveexec_b64 s[8:9], s[2:3]
	s_cbranch_execz .LBB207_39
.LBB207_38:                             ;   in Loop: Header=BB207_3 Depth=1
	v_add_co_u32_e32 v55, vcc, v24, v19
	v_addc_co_u32_e32 v56, vcc, v25, v20, vcc
	global_load_ushort v10, v[55:56], off
	v_add_co_u32_e32 v55, vcc, v26, v19
	v_addc_co_u32_e32 v56, vcc, v27, v20, vcc
	global_load_ushort v18, v[55:56], off
	s_waitcnt vmcnt(1)
	v_lshlrev_b32_e32 v10, 16, v10
	s_waitcnt vmcnt(0)
	v_lshlrev_b32_e32 v18, 16, v18
.LBB207_39:                             ;   in Loop: Header=BB207_3 Depth=1
	s_or_b64 exec, exec, s[8:9]
	s_waitcnt vmcnt(0)
	ds_bpermute_b32 v55, v53, v49
	ds_bpermute_b32 v56, v53, v49 offset:4
	v_mul_f32_e32 v3, v11, v3
	ds_bpermute_b32 v11, v53, v49 offset:8
	v_mul_f32_e32 v4, v12, v4
	s_waitcnt lgkmcnt(2)
	v_fmac_f32_e32 v54, v3, v55
	s_waitcnt lgkmcnt(1)
	v_fmac_f32_e32 v54, v4, v56
	ds_bpermute_b32 v3, v53, v49 offset:12
	v_mul_f32_e32 v4, v13, v5
	s_waitcnt lgkmcnt(1)
	v_fmac_f32_e32 v54, v4, v11
	ds_bpermute_b32 v4, v53, v49 offset:16
	v_mul_f32_e32 v5, v14, v6
	s_waitcnt lgkmcnt(1)
	v_fmac_f32_e32 v54, v5, v3
	v_mul_f32_e32 v3, v15, v7
	ds_bpermute_b32 v5, v53, v49 offset:20
	s_waitcnt lgkmcnt(1)
	v_fmac_f32_e32 v54, v3, v4
	ds_bpermute_b32 v4, v53, v49 offset:24
	ds_bpermute_b32 v3, v53, v49 offset:28
	v_mul_f32_e32 v6, v16, v8
	s_waitcnt lgkmcnt(2)
	v_fmac_f32_e32 v54, v6, v5
	v_mul_f32_e32 v5, v17, v9
	s_waitcnt lgkmcnt(1)
	v_fmac_f32_e32 v54, v5, v4
	v_mov_b32_e32 v49, v54
.LBB207_40:                             ;   in Loop: Header=BB207_3 Depth=1
	v_mul_f32_e32 v4, v10, v18
	s_waitcnt lgkmcnt(0)
	v_fmac_f32_e32 v49, v4, v3
	v_mov_b32_e32 v3, s25
	v_add_co_u32_e32 v61, vcc, s24, v61
	v_addc_co_u32_e32 v21, vcc, v21, v3, vcc
	v_add_co_u32_e32 v22, vcc, s24, v22
	v_addc_co_u32_e32 v23, vcc, v23, v3, vcc
	;; [unrolled: 2-line block ×15, first 2 shown]
	v_add_co_u32_e32 v51, vcc, s24, v51
	s_add_u32 s28, s28, s7
	v_addc_co_u32_e32 v52, vcc, v52, v3, vcc
	v_mov_b32_e32 v3, s12
	s_addc_u32 s29, s29, 0
	v_mov_b32_e32 v4, s13
	v_cmp_lt_i64_e32 vcc, s[28:29], v[3:4]
	s_add_u32 s26, s26, s7
	s_addc_u32 s27, s27, 0
	s_cbranch_vccz .LBB207_50
; %bb.41:                               ;   in Loop: Header=BB207_3 Depth=1
	v_mov_b32_e32 v54, v49
	s_branch .LBB207_3
.LBB207_42:                             ;   in Loop: Header=BB207_3 Depth=1
	v_add_co_u32_e32 v3, vcc, v61, v19
	v_addc_co_u32_e32 v4, vcc, v21, v20, vcc
	global_load_ushort v11, v[3:4], off
	v_add_co_u32_e32 v3, vcc, v22, v19
	v_addc_co_u32_e32 v4, vcc, v23, v20, vcc
	global_load_ushort v18, v[3:4], off
	v_mov_b32_e32 v4, v2
	v_mov_b32_e32 v5, v2
	v_mov_b32_e32 v6, v2
	v_mov_b32_e32 v7, v2
	v_mov_b32_e32 v8, v2
	v_mov_b32_e32 v9, v2
	v_mov_b32_e32 v10, v2
	v_mov_b32_e32 v12, v2
	v_mov_b32_e32 v13, v2
	v_mov_b32_e32 v14, v2
	v_mov_b32_e32 v15, v2
	v_mov_b32_e32 v16, v2
	v_mov_b32_e32 v17, v2
	s_waitcnt vmcnt(1)
	v_lshlrev_b32_e32 v3, 16, v11
	s_waitcnt vmcnt(0)
	v_lshlrev_b32_e32 v11, 16, v18
	v_mov_b32_e32 v18, v2
	s_or_b64 exec, exec, s[8:9]
	s_and_saveexec_b64 s[8:9], s[2:3]
	s_cbranch_execz .LBB207_32
.LBB207_43:                             ;   in Loop: Header=BB207_3 Depth=1
	v_add_co_u32_e32 v55, vcc, v48, v19
	v_addc_co_u32_e32 v56, vcc, v50, v20, vcc
	global_load_ushort v4, v[55:56], off
	v_add_co_u32_e32 v55, vcc, v51, v19
	v_addc_co_u32_e32 v56, vcc, v52, v20, vcc
	global_load_ushort v12, v[55:56], off
	s_waitcnt vmcnt(1)
	v_lshlrev_b32_e32 v4, 16, v4
	s_waitcnt vmcnt(0)
	v_lshlrev_b32_e32 v12, 16, v12
	s_or_b64 exec, exec, s[8:9]
	s_and_saveexec_b64 s[8:9], s[2:3]
	s_cbranch_execz .LBB207_33
.LBB207_44:                             ;   in Loop: Header=BB207_3 Depth=1
	v_add_co_u32_e32 v55, vcc, v44, v19
	v_addc_co_u32_e32 v56, vcc, v45, v20, vcc
	global_load_ushort v5, v[55:56], off
	v_add_co_u32_e32 v55, vcc, v46, v19
	v_addc_co_u32_e32 v56, vcc, v47, v20, vcc
	global_load_ushort v13, v[55:56], off
	s_waitcnt vmcnt(1)
	v_lshlrev_b32_e32 v5, 16, v5
	s_waitcnt vmcnt(0)
	v_lshlrev_b32_e32 v13, 16, v13
	s_or_b64 exec, exec, s[8:9]
	s_and_saveexec_b64 s[8:9], s[2:3]
	s_cbranch_execz .LBB207_34
.LBB207_45:                             ;   in Loop: Header=BB207_3 Depth=1
	v_add_co_u32_e32 v55, vcc, v40, v19
	v_addc_co_u32_e32 v56, vcc, v41, v20, vcc
	global_load_ushort v6, v[55:56], off
	v_add_co_u32_e32 v55, vcc, v42, v19
	v_addc_co_u32_e32 v56, vcc, v43, v20, vcc
	global_load_ushort v14, v[55:56], off
	s_waitcnt vmcnt(1)
	v_lshlrev_b32_e32 v6, 16, v6
	s_waitcnt vmcnt(0)
	v_lshlrev_b32_e32 v14, 16, v14
	s_or_b64 exec, exec, s[8:9]
	s_and_saveexec_b64 s[8:9], s[2:3]
	s_cbranch_execz .LBB207_35
.LBB207_46:                             ;   in Loop: Header=BB207_3 Depth=1
	v_add_co_u32_e32 v55, vcc, v36, v19
	v_addc_co_u32_e32 v56, vcc, v37, v20, vcc
	global_load_ushort v7, v[55:56], off
	v_add_co_u32_e32 v55, vcc, v38, v19
	v_addc_co_u32_e32 v56, vcc, v39, v20, vcc
	global_load_ushort v15, v[55:56], off
	s_waitcnt vmcnt(1)
	v_lshlrev_b32_e32 v7, 16, v7
	s_waitcnt vmcnt(0)
	v_lshlrev_b32_e32 v15, 16, v15
	s_or_b64 exec, exec, s[8:9]
	s_and_saveexec_b64 s[8:9], s[2:3]
	s_cbranch_execz .LBB207_36
.LBB207_47:                             ;   in Loop: Header=BB207_3 Depth=1
	v_add_co_u32_e32 v55, vcc, v32, v19
	v_addc_co_u32_e32 v56, vcc, v33, v20, vcc
	global_load_ushort v8, v[55:56], off
	v_add_co_u32_e32 v55, vcc, v34, v19
	v_addc_co_u32_e32 v56, vcc, v35, v20, vcc
	global_load_ushort v16, v[55:56], off
	s_waitcnt vmcnt(1)
	v_lshlrev_b32_e32 v8, 16, v8
	s_waitcnt vmcnt(0)
	v_lshlrev_b32_e32 v16, 16, v16
	s_or_b64 exec, exec, s[8:9]
	s_and_saveexec_b64 s[8:9], s[2:3]
	s_cbranch_execz .LBB207_37
.LBB207_48:                             ;   in Loop: Header=BB207_3 Depth=1
	v_add_co_u32_e32 v55, vcc, v28, v19
	v_addc_co_u32_e32 v56, vcc, v29, v20, vcc
	global_load_ushort v9, v[55:56], off
	v_add_co_u32_e32 v55, vcc, v30, v19
	v_addc_co_u32_e32 v56, vcc, v31, v20, vcc
	global_load_ushort v17, v[55:56], off
	s_waitcnt vmcnt(1)
	v_lshlrev_b32_e32 v9, 16, v9
	s_waitcnt vmcnt(0)
	v_lshlrev_b32_e32 v17, 16, v17
	s_or_b64 exec, exec, s[8:9]
	s_and_saveexec_b64 s[8:9], s[2:3]
	s_cbranch_execnz .LBB207_38
	s_branch .LBB207_39
.LBB207_49:
                                        ; implicit-def: $vgpr49
	s_branch .LBB207_51
.LBB207_50:
	s_cbranch_execnz .LBB207_84
.LBB207_51:
	s_and_b64 vcc, exec, s[0:1]
	v_mov_b32_e32 v49, 0
	s_cbranch_vccnz .LBB207_84
; %bb.52:
	v_lshlrev_b32_e32 v0, 3, v1
	buffer_store_dword v0, off, s[36:39], 0 offset:100 ; 4-byte Folded Spill
	v_add_co_u32_e32 v0, vcc, s20, v0
	v_addc_co_u32_e64 v17, s[0:1], 0, 0, vcc
	v_mul_lo_u32 v2, s15, v0
	v_mul_lo_u32 v3, s14, v17
	v_mad_u64_u32 v[4:5], s[0:1], s14, v0, 0
	s_load_dword s7, s[4:5], 0x44
	s_add_u32 s2, s4, 64
	v_add3_u32 v5, v5, v3, v2
	v_lshlrev_b64 v[2:3], 1, v[4:5]
	s_addc_u32 s3, s5, 0
	s_waitcnt lgkmcnt(0)
	s_lshl_b32 s7, s7, 8
	v_mov_b32_e32 v6, s17
	v_add_co_u32_e32 v7, vcc, s16, v2
	s_mul_i32 s0, s15, s7
	s_mul_hi_u32 s1, s14, s7
	v_addc_co_u32_e32 v6, vcc, v6, v3, vcc
	s_add_i32 s1, s1, s0
	s_mul_i32 s0, s14, s7
	buffer_store_dword v6, off, s[36:39], 0 offset:4 ; 4-byte Folded Spill
	s_lshl_b64 s[8:9], s[0:1], 1
	v_mov_b32_e32 v6, s19
	v_add_co_u32_e32 v2, vcc, s18, v2
	buffer_store_dword v2, off, s[36:39], 0 offset:8 ; 4-byte Folded Spill
	v_addc_co_u32_e32 v2, vcc, v6, v3, vcc
	s_add_u32 s22, s20, 0xff
	buffer_store_dword v2, off, s[36:39], 0 offset:12 ; 4-byte Folded Spill
	s_addc_u32 s23, 0, 0
	v_lshlrev_b32_e32 v2, 4, v1
	s_lshl_b64 s[0:1], s[20:21], 1
	v_mov_b32_e32 v3, s1
	v_add_co_u32_e32 v6, vcc, s0, v2
	buffer_store_dword v7, off, s[36:39], 0 ; 4-byte Folded Spill
	v_addc_co_u32_e32 v7, vcc, 0, v3, vcc
	v_add_co_u32_e32 v8, vcc, 2, v6
	v_addc_co_u32_e32 v9, vcc, 0, v7, vcc
	v_mov_b32_e32 v2, s16
	v_mul_lo_u32 v12, s14, v9
	v_mov_b32_e32 v9, s18
	v_mov_b32_e32 v3, s17
	;; [unrolled: 1-line block ×3, first 2 shown]
	v_mad_u64_u32 v[19:20], s[0:1], s14, v8, v[2:3]
	v_mul_lo_u32 v13, s15, v8
	v_mad_u64_u32 v[21:22], s[0:1], s14, v8, v[9:10]
	v_add_co_u32_e32 v8, vcc, 4, v6
	v_addc_co_u32_e32 v14, vcc, 0, v7, vcc
	v_mov_b32_e32 v11, s15
	v_add_co_u32_e32 v4, vcc, s14, v4
	v_addc_co_u32_e32 v5, vcc, v5, v11, vcc
	v_mul_lo_u32 v15, s15, v8
	v_mad_u64_u32 v[23:24], s[0:1], s14, v8, v[2:3]
	v_mad_u64_u32 v[25:26], s[0:1], s14, v8, v[9:10]
	v_add_co_u32_e32 v8, vcc, 6, v6
	v_addc_co_u32_e32 v11, vcc, 0, v7, vcc
	v_add3_u32 v20, v13, v20, v12
	v_add3_u32 v22, v13, v22, v12
	v_mul_lo_u32 v11, s14, v11
	v_mul_lo_u32 v12, s15, v8
	v_mad_u64_u32 v[27:28], s[0:1], s14, v8, v[2:3]
	v_mad_u64_u32 v[29:30], s[0:1], s14, v8, v[9:10]
	v_add_co_u32_e32 v8, vcc, 8, v6
	v_mul_lo_u32 v14, s14, v14
	v_addc_co_u32_e32 v13, vcc, 0, v7, vcc
	v_mul_lo_u32 v16, s15, v8
	v_mad_u64_u32 v[31:32], s[0:1], s14, v8, v[2:3]
	v_mad_u64_u32 v[33:34], s[0:1], s14, v8, v[9:10]
	v_add_co_u32_e32 v8, vcc, 10, v6
	v_add3_u32 v28, v12, v28, v11
	v_add3_u32 v30, v12, v30, v11
	v_addc_co_u32_e32 v11, vcc, 0, v7, vcc
	v_mul_lo_u32 v12, s15, v8
	v_mad_u64_u32 v[35:36], s[0:1], s14, v8, v[2:3]
	v_mad_u64_u32 v[37:38], s[0:1], s14, v8, v[9:10]
	v_add_co_u32_e32 v8, vcc, 12, v6
	v_add3_u32 v24, v15, v24, v14
	v_add3_u32 v26, v15, v26, v14
	v_addc_co_u32_e32 v14, vcc, 0, v7, vcc
	v_add_co_u32_e32 v6, vcc, 14, v6
	v_addc_co_u32_e32 v7, vcc, 0, v7, vcc
	v_mad_u64_u32 v[39:40], s[0:1], s14, v8, v[2:3]
	v_mad_u64_u32 v[43:44], s[0:1], s14, v6, v[2:3]
	v_add_co_u32_e32 v2, vcc, 7, v0
	v_addc_co_u32_e32 v3, vcc, 0, v17, vcc
	v_mul_lo_u32 v15, s15, v8
	v_mad_u64_u32 v[41:42], s[0:1], s14, v8, v[9:10]
	v_mad_u64_u32 v[45:46], s[0:1], s14, v6, v[9:10]
	v_mul_lo_u32 v8, s14, v3
	v_mul_lo_u32 v9, s15, v2
	v_mad_u64_u32 v[2:3], s[0:1], s14, v2, 0
	v_mul_lo_u32 v7, s14, v7
	v_mul_lo_u32 v6, s15, v6
	v_add3_u32 v3, v3, v8, v9
	v_lshlrev_b64 v[2:3], 1, v[2:3]
	buffer_store_dword v1, off, s[36:39], 0 offset:96 ; 4-byte Folded Spill
	v_add3_u32 v44, v6, v44, v7
	v_add3_u32 v46, v6, v46, v7
	v_mov_b32_e32 v6, s17
	v_add_co_u32_e32 v1, vcc, s16, v2
	buffer_store_dword v1, off, s[36:39], 0 offset:16 ; 4-byte Folded Spill
	v_addc_co_u32_e32 v1, vcc, v6, v3, vcc
	v_add_co_u32_e32 v6, vcc, 6, v0
	v_addc_co_u32_e32 v7, vcc, 0, v17, vcc
	v_mul_lo_u32 v9, s14, v7
	v_mul_lo_u32 v10, s15, v6
	v_mad_u64_u32 v[6:7], s[0:1], s14, v6, 0
	buffer_store_dword v1, off, s[36:39], 0 offset:20 ; 4-byte Folded Spill
	v_mov_b32_e32 v8, s19
	v_add_co_u32_e32 v1, vcc, s18, v2
	v_add3_u32 v7, v7, v9, v10
	buffer_store_dword v1, off, s[36:39], 0 offset:24 ; 4-byte Folded Spill
	v_addc_co_u32_e32 v1, vcc, v8, v3, vcc
	v_lshlrev_b64 v[2:3], 1, v[6:7]
	buffer_store_dword v1, off, s[36:39], 0 offset:28 ; 4-byte Folded Spill
	v_mov_b32_e32 v6, s17
	v_add_co_u32_e32 v1, vcc, s16, v2
	buffer_store_dword v1, off, s[36:39], 0 offset:32 ; 4-byte Folded Spill
	v_addc_co_u32_e32 v1, vcc, v6, v3, vcc
	v_add_co_u32_e32 v6, vcc, 5, v0
	v_addc_co_u32_e32 v7, vcc, 0, v17, vcc
	v_mul_lo_u32 v9, s14, v7
	v_mul_lo_u32 v10, s15, v6
	v_mad_u64_u32 v[6:7], s[0:1], s14, v6, 0
	buffer_store_dword v1, off, s[36:39], 0 offset:36 ; 4-byte Folded Spill
	v_add_co_u32_e32 v1, vcc, s18, v2
	v_add3_u32 v7, v7, v9, v10
	buffer_store_dword v1, off, s[36:39], 0 offset:40 ; 4-byte Folded Spill
	v_addc_co_u32_e32 v1, vcc, v8, v3, vcc
	v_lshlrev_b64 v[2:3], 1, v[6:7]
	buffer_store_dword v1, off, s[36:39], 0 offset:44 ; 4-byte Folded Spill
	v_mov_b32_e32 v6, s17
	v_add_co_u32_e32 v1, vcc, s16, v2
	buffer_store_dword v1, off, s[36:39], 0 offset:48 ; 4-byte Folded Spill
	v_addc_co_u32_e32 v1, vcc, v6, v3, vcc
	v_add_co_u32_e32 v6, vcc, 4, v0
	v_addc_co_u32_e32 v7, vcc, 0, v17, vcc
	v_mul_lo_u32 v9, s14, v7
	v_mul_lo_u32 v10, s15, v6
	v_mad_u64_u32 v[6:7], s[0:1], s14, v6, 0
	buffer_store_dword v1, off, s[36:39], 0 offset:52 ; 4-byte Folded Spill
	v_add_co_u32_e32 v1, vcc, s18, v2
	v_add3_u32 v7, v7, v9, v10
	buffer_store_dword v1, off, s[36:39], 0 offset:56 ; 4-byte Folded Spill
	v_addc_co_u32_e32 v1, vcc, v8, v3, vcc
	v_lshlrev_b64 v[2:3], 1, v[6:7]
	buffer_store_dword v1, off, s[36:39], 0 offset:60 ; 4-byte Folded Spill
	v_mov_b32_e32 v6, s17
	v_add_co_u32_e32 v1, vcc, s16, v2
	buffer_store_dword v1, off, s[36:39], 0 offset:64 ; 4-byte Folded Spill
	v_addc_co_u32_e32 v1, vcc, v6, v3, vcc
	buffer_store_dword v1, off, s[36:39], 0 offset:68 ; 4-byte Folded Spill
	v_mov_b32_e32 v6, s19
	v_add_co_u32_e32 v1, vcc, s18, v2
	buffer_store_dword v1, off, s[36:39], 0 offset:72 ; 4-byte Folded Spill
	v_addc_co_u32_e32 v1, vcc, v6, v3, vcc
	v_add_co_u32_e32 v2, vcc, 3, v0
	v_addc_co_u32_e32 v3, vcc, 0, v17, vcc
	v_mul_lo_u32 v6, s14, v3
	v_mul_lo_u32 v7, s15, v2
	v_mad_u64_u32 v[2:3], s[0:1], s14, v2, 0
	buffer_store_dword v1, off, s[36:39], 0 offset:76 ; 4-byte Folded Spill
	v_mul_lo_u32 v13, s14, v13
	v_add3_u32 v3, v3, v6, v7
	v_lshlrev_b64 v[2:3], 1, v[2:3]
	v_mov_b32_e32 v6, s17
	v_add_co_u32_e32 v1, vcc, s16, v2
	buffer_store_dword v1, off, s[36:39], 0 offset:80 ; 4-byte Folded Spill
	v_addc_co_u32_e32 v1, vcc, v6, v3, vcc
	buffer_store_dword v1, off, s[36:39], 0 offset:84 ; 4-byte Folded Spill
	v_mov_b32_e32 v6, s19
	v_add_co_u32_e32 v1, vcc, s18, v2
	v_addc_co_u32_e32 v58, vcc, v6, v3, vcc
	v_add_co_u32_e32 v0, vcc, 2, v0
	buffer_store_dword v1, off, s[36:39], 0 offset:88 ; 4-byte Folded Spill
	v_addc_co_u32_e32 v1, vcc, 0, v17, vcc
	v_mul_lo_u32 v2, s14, v1
	v_mul_lo_u32 v3, s15, v0
	v_mad_u64_u32 v[0:1], s[0:1], s14, v0, 0
	v_mul_lo_u32 v11, s14, v11
	v_mul_lo_u32 v14, s14, v14
	v_add3_u32 v1, v1, v2, v3
	v_lshlrev_b64 v[0:1], 1, v[0:1]
	v_mov_b32_e32 v2, s17
	v_add_co_u32_e32 v59, vcc, s16, v0
	v_mov_b32_e32 v3, v60
	v_addc_co_u32_e32 v60, vcc, v2, v1, vcc
	v_mov_b32_e32 v2, s19
	v_add_co_u32_e32 v61, vcc, s18, v0
	v_addc_co_u32_e32 v62, vcc, v2, v1, vcc
	v_lshlrev_b64 v[0:1], 1, v[4:5]
	v_mov_b32_e32 v2, s17
	v_add_co_u32_e32 v63, vcc, s16, v0
	v_addc_co_u32_e32 v50, vcc, v2, v1, vcc
	v_mov_b32_e32 v2, s19
	v_add_co_u32_e32 v51, vcc, s18, v0
	v_addc_co_u32_e32 v0, vcc, v2, v1, vcc
	v_mov_b32_e32 v2, 0
	v_mbcnt_lo_u32_b32 v1, -1, 0
	buffer_store_dword v3, off, s[36:39], 0 offset:92 ; 4-byte Folded Spill
	v_add_u32_e32 v3, s33, v3
	v_mov_b32_e32 v4, v2
	v_mbcnt_hi_u32_b32 v1, -1, v1
	v_lshlrev_b64 v[47:48], 1, v[3:4]
	v_lshlrev_b32_e32 v1, 2, v1
	v_add3_u32 v32, v16, v32, v13
	v_add3_u32 v34, v16, v34, v13
	;; [unrolled: 1-line block ×6, first 2 shown]
	v_and_b32_e32 v1, 0x100, v1
	v_mov_b32_e32 v52, 0
.LBB207_53:                             ; =>This Inner Loop Header: Depth=1
	v_mov_b32_e32 v3, s12
	v_mov_b32_e32 v4, s13
	v_cmp_ge_i64_e32 vcc, s[22:23], v[3:4]
	buffer_load_dword v4, off, s[36:39], 0 offset:100 ; 4-byte Folded Reload
	v_mov_b32_e32 v3, s23
	s_and_b64 vcc, exec, vcc
                                        ; implicit-def: $vgpr49
	s_waitcnt vmcnt(0)
	v_add_co_u32_e64 v53, s[0:1], s22, v4
	v_addc_co_u32_e64 v54, s[0:1], 0, v3, s[0:1]
	s_mov_b64 s[0:1], -1
	s_cbranch_vccz .LBB207_75
; %bb.54:                               ;   in Loop: Header=BB207_53 Depth=1
	s_load_dword s0, s[2:3], 0xc
	buffer_load_dword v3, off, s[36:39], 0 offset:92 ; 4-byte Folded Reload
	buffer_load_dword v4, off, s[36:39], 0 offset:96 ; 4-byte Folded Reload
	v_mov_b32_e32 v55, 0
	s_waitcnt lgkmcnt(0)
	s_and_b32 s0, s0, 0xffff
	s_waitcnt vmcnt(0)
	v_mad_u32_u24 v3, v4, s0, v3
	v_and_b32_e32 v3, 63, v3
	v_cmp_gt_u32_e32 vcc, 8, v3
	s_and_saveexec_b64 s[0:1], vcc
	s_cbranch_execz .LBB207_58
; %bb.55:                               ;   in Loop: Header=BB207_53 Depth=1
	v_add_co_u32_e32 v3, vcc, v53, v3
	v_addc_co_u32_e32 v4, vcc, 0, v54, vcc
	v_add_co_u32_e32 v3, vcc, 0xffffff01, v3
	v_addc_co_u32_e32 v4, vcc, -1, v4, vcc
	v_cmp_gt_i64_e32 vcc, s[12:13], v[3:4]
	v_mov_b32_e32 v55, 0
	s_and_saveexec_b64 s[16:17], vcc
	s_cbranch_execz .LBB207_57
; %bb.56:                               ;   in Loop: Header=BB207_53 Depth=1
	v_lshlrev_b64 v[3:4], 2, v[3:4]
	v_mov_b32_e32 v5, s11
	v_add_co_u32_e32 v3, vcc, s10, v3
	v_addc_co_u32_e32 v4, vcc, v5, v4, vcc
	global_load_dword v55, v[3:4], off
.LBB207_57:                             ;   in Loop: Header=BB207_53 Depth=1
	s_or_b64 exec, exec, s[16:17]
.LBB207_58:                             ;   in Loop: Header=BB207_53 Depth=1
	s_or_b64 exec, exec, s[0:1]
	v_add_co_u32_e32 v3, vcc, 0xffffff01, v53
	v_addc_co_u32_e32 v4, vcc, -1, v54, vcc
	v_mov_b32_e32 v9, v2
	v_cmp_gt_i64_e32 vcc, s[12:13], v[3:4]
	v_mov_b32_e32 v3, v2
	v_mov_b32_e32 v4, v2
	;; [unrolled: 1-line block ×22, first 2 shown]
	s_and_saveexec_b64 s[0:1], vcc
	s_cbranch_execz .LBB207_60
; %bb.59:                               ;   in Loop: Header=BB207_53 Depth=1
	buffer_load_dword v3, off, s[36:39], 0  ; 4-byte Folded Reload
	buffer_load_dword v4, off, s[36:39], 0 offset:4 ; 4-byte Folded Reload
	v_mov_b32_e32 v5, v2
	v_mov_b32_e32 v6, v2
	;; [unrolled: 1-line block ×12, first 2 shown]
	s_waitcnt vmcnt(1)
	v_add_co_u32_e32 v3, vcc, v3, v47
	s_waitcnt vmcnt(0)
	v_addc_co_u32_e32 v4, vcc, v4, v48, vcc
	global_load_ushort v11, v[3:4], off
	s_nop 0
	buffer_load_dword v3, off, s[36:39], 0 offset:8 ; 4-byte Folded Reload
	buffer_load_dword v4, off, s[36:39], 0 offset:12 ; 4-byte Folded Reload
	s_waitcnt vmcnt(1)
	v_add_co_u32_e32 v3, vcc, v3, v47
	s_waitcnt vmcnt(0)
	v_addc_co_u32_e32 v4, vcc, v4, v48, vcc
	global_load_ushort v18, v[3:4], off
	v_mov_b32_e32 v4, v2
	v_lshlrev_b32_e32 v3, 16, v11
	s_waitcnt vmcnt(0)
	v_lshlrev_b32_e32 v11, 16, v18
	v_mov_b32_e32 v18, v2
.LBB207_60:                             ;   in Loop: Header=BB207_53 Depth=1
	s_or_b64 exec, exec, s[0:1]
	v_add_co_u32_e32 v56, vcc, 0xffffff02, v53
	v_addc_co_u32_e32 v57, vcc, -1, v54, vcc
	v_cmp_gt_i64_e32 vcc, s[12:13], v[56:57]
	s_and_saveexec_b64 s[0:1], vcc
	s_cbranch_execz .LBB207_62
; %bb.61:                               ;   in Loop: Header=BB207_53 Depth=1
	v_add_co_u32_e32 v56, vcc, v63, v47
	v_addc_co_u32_e32 v57, vcc, v50, v48, vcc
	global_load_ushort v4, v[56:57], off
	v_add_co_u32_e32 v56, vcc, v51, v47
	v_addc_co_u32_e32 v57, vcc, v0, v48, vcc
	global_load_ushort v12, v[56:57], off
	s_waitcnt vmcnt(1)
	v_lshlrev_b32_e32 v4, 16, v4
	s_waitcnt vmcnt(0)
	v_lshlrev_b32_e32 v12, 16, v12
.LBB207_62:                             ;   in Loop: Header=BB207_53 Depth=1
	s_or_b64 exec, exec, s[0:1]
	v_add_co_u32_e32 v56, vcc, 0xffffff03, v53
	v_addc_co_u32_e32 v57, vcc, -1, v54, vcc
	v_cmp_gt_i64_e32 vcc, s[12:13], v[56:57]
	s_and_saveexec_b64 s[0:1], vcc
	s_cbranch_execz .LBB207_64
; %bb.63:                               ;   in Loop: Header=BB207_53 Depth=1
	v_add_co_u32_e32 v56, vcc, v59, v47
	v_addc_co_u32_e32 v57, vcc, v60, v48, vcc
	global_load_ushort v5, v[56:57], off
	v_add_co_u32_e32 v56, vcc, v61, v47
	v_addc_co_u32_e32 v57, vcc, v62, v48, vcc
	global_load_ushort v13, v[56:57], off
	s_waitcnt vmcnt(1)
	v_lshlrev_b32_e32 v5, 16, v5
	s_waitcnt vmcnt(0)
	v_lshlrev_b32_e32 v13, 16, v13
.LBB207_64:                             ;   in Loop: Header=BB207_53 Depth=1
	s_or_b64 exec, exec, s[0:1]
	v_add_co_u32_e32 v56, vcc, 0xffffff04, v53
	v_addc_co_u32_e32 v57, vcc, -1, v54, vcc
	v_cmp_gt_i64_e32 vcc, s[12:13], v[56:57]
	s_and_saveexec_b64 s[0:1], vcc
	s_cbranch_execz .LBB207_66
; %bb.65:                               ;   in Loop: Header=BB207_53 Depth=1
	buffer_load_dword v6, off, s[36:39], 0 offset:80 ; 4-byte Folded Reload
	buffer_load_dword v14, off, s[36:39], 0 offset:88 ; 4-byte Folded Reload
	s_waitcnt vmcnt(1)
	v_add_co_u32_e32 v56, vcc, v6, v47
	buffer_load_dword v6, off, s[36:39], 0 offset:84 ; 4-byte Folded Reload
	s_waitcnt vmcnt(0)
	v_addc_co_u32_e32 v57, vcc, v6, v48, vcc
	global_load_ushort v6, v[56:57], off
	v_add_co_u32_e32 v56, vcc, v14, v47
	v_addc_co_u32_e32 v57, vcc, v58, v48, vcc
	global_load_ushort v14, v[56:57], off
	s_waitcnt vmcnt(1)
	v_lshlrev_b32_e32 v6, 16, v6
	s_waitcnt vmcnt(0)
	v_lshlrev_b32_e32 v14, 16, v14
.LBB207_66:                             ;   in Loop: Header=BB207_53 Depth=1
	s_or_b64 exec, exec, s[0:1]
	v_add_co_u32_e32 v56, vcc, 0xffffff05, v53
	v_addc_co_u32_e32 v57, vcc, -1, v54, vcc
	v_cmp_gt_i64_e32 vcc, s[12:13], v[56:57]
	s_and_saveexec_b64 s[0:1], vcc
	s_cbranch_execz .LBB207_68
; %bb.67:                               ;   in Loop: Header=BB207_53 Depth=1
	buffer_load_dword v7, off, s[36:39], 0 offset:64 ; 4-byte Folded Reload
	buffer_load_dword v15, off, s[36:39], 0 offset:72 ; 4-byte Folded Reload
	s_waitcnt vmcnt(1)
	v_add_co_u32_e32 v56, vcc, v7, v47
	buffer_load_dword v7, off, s[36:39], 0 offset:68 ; 4-byte Folded Reload
	s_waitcnt vmcnt(0)
	v_addc_co_u32_e32 v57, vcc, v7, v48, vcc
	global_load_ushort v7, v[56:57], off
	v_add_co_u32_e32 v56, vcc, v15, v47
	buffer_load_dword v15, off, s[36:39], 0 offset:76 ; 4-byte Folded Reload
	s_waitcnt vmcnt(1)
	v_lshlrev_b32_e32 v7, 16, v7
	s_waitcnt vmcnt(0)
	v_addc_co_u32_e32 v57, vcc, v15, v48, vcc
	global_load_ushort v15, v[56:57], off
	s_waitcnt vmcnt(0)
	v_lshlrev_b32_e32 v15, 16, v15
.LBB207_68:                             ;   in Loop: Header=BB207_53 Depth=1
	s_or_b64 exec, exec, s[0:1]
	v_add_co_u32_e32 v56, vcc, 0xffffff06, v53
	v_addc_co_u32_e32 v57, vcc, -1, v54, vcc
	v_cmp_gt_i64_e32 vcc, s[12:13], v[56:57]
	s_and_saveexec_b64 s[0:1], vcc
	s_cbranch_execz .LBB207_70
; %bb.69:                               ;   in Loop: Header=BB207_53 Depth=1
	buffer_load_dword v8, off, s[36:39], 0 offset:48 ; 4-byte Folded Reload
	buffer_load_dword v16, off, s[36:39], 0 offset:56 ; 4-byte Folded Reload
	s_waitcnt vmcnt(1)
	v_add_co_u32_e32 v56, vcc, v8, v47
	buffer_load_dword v8, off, s[36:39], 0 offset:52 ; 4-byte Folded Reload
	s_waitcnt vmcnt(0)
	v_addc_co_u32_e32 v57, vcc, v8, v48, vcc
	global_load_ushort v8, v[56:57], off
	v_add_co_u32_e32 v56, vcc, v16, v47
	buffer_load_dword v16, off, s[36:39], 0 offset:60 ; 4-byte Folded Reload
	s_waitcnt vmcnt(1)
	v_lshlrev_b32_e32 v8, 16, v8
	s_waitcnt vmcnt(0)
	v_addc_co_u32_e32 v57, vcc, v16, v48, vcc
	global_load_ushort v16, v[56:57], off
	s_waitcnt vmcnt(0)
	v_lshlrev_b32_e32 v16, 16, v16
.LBB207_70:                             ;   in Loop: Header=BB207_53 Depth=1
	s_or_b64 exec, exec, s[0:1]
	v_add_co_u32_e32 v56, vcc, 0xffffff07, v53
	v_addc_co_u32_e32 v57, vcc, -1, v54, vcc
	v_cmp_gt_i64_e32 vcc, s[12:13], v[56:57]
	s_and_saveexec_b64 s[0:1], vcc
	s_cbranch_execz .LBB207_72
; %bb.71:                               ;   in Loop: Header=BB207_53 Depth=1
	buffer_load_dword v9, off, s[36:39], 0 offset:32 ; 4-byte Folded Reload
	buffer_load_dword v17, off, s[36:39], 0 offset:40 ; 4-byte Folded Reload
	s_waitcnt vmcnt(1)
	v_add_co_u32_e32 v56, vcc, v9, v47
	buffer_load_dword v9, off, s[36:39], 0 offset:36 ; 4-byte Folded Reload
	s_waitcnt vmcnt(0)
	v_addc_co_u32_e32 v57, vcc, v9, v48, vcc
	global_load_ushort v9, v[56:57], off
	v_add_co_u32_e32 v56, vcc, v17, v47
	buffer_load_dword v17, off, s[36:39], 0 offset:44 ; 4-byte Folded Reload
	s_waitcnt vmcnt(1)
	v_lshlrev_b32_e32 v9, 16, v9
	s_waitcnt vmcnt(0)
	v_addc_co_u32_e32 v57, vcc, v17, v48, vcc
	global_load_ushort v17, v[56:57], off
	s_waitcnt vmcnt(0)
	v_lshlrev_b32_e32 v17, 16, v17
.LBB207_72:                             ;   in Loop: Header=BB207_53 Depth=1
	s_or_b64 exec, exec, s[0:1]
	v_add_co_u32_e32 v56, vcc, 0xffffff08, v53
	v_addc_co_u32_e32 v57, vcc, -1, v54, vcc
	v_cmp_gt_i64_e32 vcc, s[12:13], v[56:57]
	s_and_saveexec_b64 s[0:1], vcc
	s_cbranch_execz .LBB207_74
; %bb.73:                               ;   in Loop: Header=BB207_53 Depth=1
	buffer_load_dword v10, off, s[36:39], 0 offset:16 ; 4-byte Folded Reload
	buffer_load_dword v18, off, s[36:39], 0 offset:24 ; 4-byte Folded Reload
	s_waitcnt vmcnt(1)
	v_add_co_u32_e32 v56, vcc, v10, v47
	buffer_load_dword v10, off, s[36:39], 0 offset:20 ; 4-byte Folded Reload
	s_waitcnt vmcnt(0)
	v_addc_co_u32_e32 v57, vcc, v10, v48, vcc
	global_load_ushort v10, v[56:57], off
	v_add_co_u32_e32 v56, vcc, v18, v47
	buffer_load_dword v18, off, s[36:39], 0 offset:28 ; 4-byte Folded Reload
	s_waitcnt vmcnt(1)
	v_lshlrev_b32_e32 v10, 16, v10
	s_waitcnt vmcnt(0)
	v_addc_co_u32_e32 v57, vcc, v18, v48, vcc
	global_load_ushort v18, v[56:57], off
	s_waitcnt vmcnt(0)
	v_lshlrev_b32_e32 v18, 16, v18
.LBB207_74:                             ;   in Loop: Header=BB207_53 Depth=1
	s_or_b64 exec, exec, s[0:1]
	s_waitcnt vmcnt(0)
	ds_bpermute_b32 v49, v1, v55
	v_mul_f32_e32 v3, v11, v3
	v_mul_f32_e32 v4, v12, v4
	s_mov_b64 s[0:1], 0
	s_waitcnt lgkmcnt(0)
	v_fma_f32 v49, v3, v49, v52
	ds_bpermute_b32 v3, v1, v55 offset:4
	s_waitcnt lgkmcnt(0)
	v_fmac_f32_e32 v49, v4, v3
	ds_bpermute_b32 v3, v1, v55 offset:8
	v_mul_f32_e32 v4, v13, v5
	s_waitcnt lgkmcnt(0)
	v_fmac_f32_e32 v49, v4, v3
	ds_bpermute_b32 v3, v1, v55 offset:12
	v_mul_f32_e32 v4, v14, v6
	;; [unrolled: 4-line block ×6, first 2 shown]
	s_waitcnt lgkmcnt(0)
	v_fmac_f32_e32 v49, v4, v3
.LBB207_75:                             ;   in Loop: Header=BB207_53 Depth=1
	s_and_b64 vcc, exec, s[0:1]
	s_cbranch_vccz .LBB207_81
; %bb.76:                               ;   in Loop: Header=BB207_53 Depth=1
	s_load_dword s0, s[2:3], 0x0
	s_waitcnt lgkmcnt(0)
	s_cmp_lt_u32 s6, s0
	s_cselect_b32 s0, 12, 18
	s_add_u32 s0, s2, s0
	s_addc_u32 s1, s3, 0
	global_load_ushort v3, v2, s[0:1]
	buffer_load_dword v4, off, s[36:39], 0 offset:92 ; 4-byte Folded Reload
	buffer_load_dword v5, off, s[36:39], 0 offset:96 ; 4-byte Folded Reload
	s_waitcnt vmcnt(0)
	v_mad_u32_u24 v3, v5, v3, v4
	v_and_b32_e32 v3, 63, v3
	v_cmp_gt_u32_e32 vcc, 8, v3
	v_mov_b32_e32 v5, 0
	s_and_saveexec_b64 s[0:1], vcc
	s_cbranch_execz .LBB207_80
; %bb.77:                               ;   in Loop: Header=BB207_53 Depth=1
	v_add_co_u32_e32 v3, vcc, v53, v3
	v_addc_co_u32_e32 v4, vcc, 0, v54, vcc
	v_add_co_u32_e32 v3, vcc, 0xffffff01, v3
	v_addc_co_u32_e32 v4, vcc, -1, v4, vcc
	v_cmp_gt_i64_e32 vcc, s[12:13], v[3:4]
	v_mov_b32_e32 v5, 0
	s_and_saveexec_b64 s[16:17], vcc
	s_cbranch_execz .LBB207_79
; %bb.78:                               ;   in Loop: Header=BB207_53 Depth=1
	v_lshlrev_b64 v[3:4], 2, v[3:4]
	v_mov_b32_e32 v5, s11
	v_add_co_u32_e32 v3, vcc, s10, v3
	v_addc_co_u32_e32 v4, vcc, v5, v4, vcc
	global_load_dword v5, v[3:4], off
.LBB207_79:                             ;   in Loop: Header=BB207_53 Depth=1
	s_or_b64 exec, exec, s[16:17]
.LBB207_80:                             ;   in Loop: Header=BB207_53 Depth=1
	s_or_b64 exec, exec, s[0:1]
	buffer_load_dword v3, off, s[36:39], 0  ; 4-byte Folded Reload
	buffer_load_dword v4, off, s[36:39], 0 offset:4 ; 4-byte Folded Reload
	buffer_load_dword v6, off, s[36:39], 0 offset:8 ; 4-byte Folded Reload
	buffer_load_dword v7, off, s[36:39], 0 offset:12 ; 4-byte Folded Reload
	s_waitcnt vmcnt(3)
	v_add_co_u32_e32 v3, vcc, v3, v47
	s_waitcnt vmcnt(2)
	v_addc_co_u32_e32 v4, vcc, v4, v48, vcc
	s_waitcnt vmcnt(1)
	v_add_co_u32_e32 v6, vcc, v6, v47
	s_waitcnt vmcnt(0)
	v_addc_co_u32_e32 v7, vcc, v7, v48, vcc
	global_load_ushort v8, v[3:4], off
	global_load_ushort v9, v[6:7], off
	v_add_co_u32_e32 v3, vcc, v19, v47
	v_addc_co_u32_e32 v4, vcc, v20, v48, vcc
	v_add_co_u32_e32 v6, vcc, v21, v47
	v_addc_co_u32_e32 v7, vcc, v22, v48, vcc
	global_load_ushort v10, v[3:4], off
	global_load_ushort v11, v[6:7], off
	v_add_co_u32_e32 v3, vcc, v23, v47
	v_addc_co_u32_e32 v4, vcc, v24, v48, vcc
	v_add_co_u32_e32 v6, vcc, v25, v47
	v_addc_co_u32_e32 v7, vcc, v26, v48, vcc
	global_load_ushort v12, v[3:4], off
	global_load_ushort v13, v[6:7], off
	v_add_co_u32_e32 v3, vcc, v27, v47
	v_addc_co_u32_e32 v4, vcc, v28, v48, vcc
	v_add_co_u32_e32 v6, vcc, v29, v47
	v_addc_co_u32_e32 v7, vcc, v30, v48, vcc
	global_load_ushort v14, v[3:4], off
	global_load_ushort v15, v[6:7], off
	v_add_co_u32_e32 v3, vcc, v31, v47
	v_addc_co_u32_e32 v4, vcc, v32, v48, vcc
	v_add_co_u32_e32 v6, vcc, v33, v47
	v_addc_co_u32_e32 v7, vcc, v34, v48, vcc
	global_load_ushort v16, v[3:4], off
	global_load_ushort v17, v[6:7], off
	v_add_co_u32_e32 v3, vcc, v35, v47
	v_addc_co_u32_e32 v4, vcc, v36, v48, vcc
	v_add_co_u32_e32 v6, vcc, v37, v47
	v_addc_co_u32_e32 v7, vcc, v38, v48, vcc
	global_load_ushort v18, v[3:4], off
	global_load_ushort v49, v[6:7], off
	v_add_co_u32_e32 v3, vcc, v39, v47
	v_addc_co_u32_e32 v4, vcc, v40, v48, vcc
	v_add_co_u32_e32 v6, vcc, v41, v47
	v_addc_co_u32_e32 v7, vcc, v42, v48, vcc
	global_load_ushort v53, v[3:4], off
	s_nop 0
	global_load_ushort v6, v[6:7], off
	v_add_co_u32_e32 v3, vcc, v45, v47
	v_addc_co_u32_e32 v4, vcc, v46, v48, vcc
	global_load_ushort v7, v[3:4], off
	v_add_co_u32_e32 v3, vcc, v43, v47
	v_addc_co_u32_e32 v4, vcc, v44, v48, vcc
	global_load_ushort v3, v[3:4], off
	s_waitcnt vmcnt(15)
	v_lshlrev_b32_e32 v8, 16, v8
	s_waitcnt vmcnt(14)
	v_lshlrev_b32_e32 v4, 16, v9
	v_mul_f32_e32 v4, v8, v4
	ds_bpermute_b32 v8, v1, v5
	s_waitcnt lgkmcnt(0)
	v_fmac_f32_e32 v52, v4, v8
	ds_bpermute_b32 v4, v1, v5 offset:4
	ds_bpermute_b32 v8, v1, v5 offset:8
	s_waitcnt vmcnt(12)
	v_lshlrev_b32_e32 v9, 16, v11
	v_lshlrev_b32_e32 v10, 16, v10
	v_mul_f32_e32 v9, v10, v9
	s_waitcnt lgkmcnt(1)
	v_fmac_f32_e32 v52, v9, v4
	ds_bpermute_b32 v4, v1, v5 offset:12
	s_waitcnt vmcnt(11)
	v_lshlrev_b32_e32 v12, 16, v12
	s_waitcnt vmcnt(10)
	v_lshlrev_b32_e32 v11, 16, v13
	v_mul_f32_e32 v9, v12, v11
	s_waitcnt lgkmcnt(1)
	v_fmac_f32_e32 v52, v9, v8
	ds_bpermute_b32 v8, v1, v5 offset:16
	s_waitcnt vmcnt(9)
	v_lshlrev_b32_e32 v14, 16, v14
	s_waitcnt vmcnt(8)
	v_lshlrev_b32_e32 v13, 16, v15
	v_mul_f32_e32 v9, v14, v13
	s_waitcnt lgkmcnt(1)
	v_fmac_f32_e32 v52, v9, v4
	ds_bpermute_b32 v9, v1, v5 offset:20
	s_waitcnt vmcnt(7)
	v_lshlrev_b32_e32 v16, 16, v16
	s_waitcnt vmcnt(6)
	v_lshlrev_b32_e32 v15, 16, v17
	v_mul_f32_e32 v4, v16, v15
	s_waitcnt lgkmcnt(1)
	v_fmac_f32_e32 v52, v4, v8
	ds_bpermute_b32 v4, v1, v5 offset:24
	ds_bpermute_b32 v5, v1, v5 offset:28
	s_waitcnt vmcnt(5)
	v_lshlrev_b32_e32 v18, 16, v18
	s_waitcnt vmcnt(4)
	v_lshlrev_b32_e32 v17, 16, v49
	v_mul_f32_e32 v8, v18, v17
	s_waitcnt lgkmcnt(2)
	v_fmac_f32_e32 v52, v8, v9
	s_waitcnt vmcnt(3)
	v_lshlrev_b32_e32 v49, 16, v53
	s_waitcnt vmcnt(2)
	v_lshlrev_b32_e32 v6, 16, v6
	v_mul_f32_e32 v6, v49, v6
	s_waitcnt lgkmcnt(1)
	v_fmac_f32_e32 v52, v6, v4
	;; [unrolled: 7-line block ×3, first 2 shown]
	v_mov_b32_e32 v49, v52
.LBB207_81:                             ;   in Loop: Header=BB207_53 Depth=1
	buffer_load_dword v3, off, s[36:39], 0  ; 4-byte Folded Reload
	buffer_load_dword v4, off, s[36:39], 0 offset:4 ; 4-byte Folded Reload
	s_add_u32 s20, s20, s7
	s_addc_u32 s21, s21, 0
	s_add_u32 s22, s22, s7
	s_addc_u32 s23, s23, 0
	s_waitcnt vmcnt(1)
	v_add_co_u32_e32 v3, vcc, s8, v3
	buffer_store_dword v3, off, s[36:39], 0 ; 4-byte Folded Spill
	v_mov_b32_e32 v3, s9
	s_waitcnt vmcnt(1)
	v_addc_co_u32_e32 v4, vcc, v4, v3, vcc
	buffer_store_dword v4, off, s[36:39], 0 offset:4 ; 4-byte Folded Spill
	buffer_load_dword v4, off, s[36:39], 0 offset:8 ; 4-byte Folded Reload
	s_waitcnt vmcnt(0)
	v_add_co_u32_e32 v4, vcc, s8, v4
	buffer_store_dword v4, off, s[36:39], 0 offset:8 ; 4-byte Folded Spill
	buffer_load_dword v4, off, s[36:39], 0 offset:12 ; 4-byte Folded Reload
	s_waitcnt vmcnt(0)
	v_addc_co_u32_e32 v4, vcc, v4, v3, vcc
	buffer_store_dword v4, off, s[36:39], 0 offset:12 ; 4-byte Folded Spill
	buffer_load_dword v4, off, s[36:39], 0 offset:16 ; 4-byte Folded Reload
	v_add_co_u32_e32 v19, vcc, s8, v19
	v_addc_co_u32_e32 v20, vcc, v20, v3, vcc
	v_add_co_u32_e32 v23, vcc, s8, v23
	v_addc_co_u32_e32 v24, vcc, v24, v3, vcc
	v_add_co_u32_e32 v27, vcc, s8, v27
	v_addc_co_u32_e32 v28, vcc, v28, v3, vcc
	v_add_co_u32_e32 v31, vcc, s8, v31
	v_addc_co_u32_e32 v32, vcc, v32, v3, vcc
	v_add_co_u32_e32 v35, vcc, s8, v35
	v_addc_co_u32_e32 v36, vcc, v36, v3, vcc
	v_add_co_u32_e32 v39, vcc, s8, v39
	v_addc_co_u32_e32 v40, vcc, v40, v3, vcc
	v_add_co_u32_e32 v43, vcc, s8, v43
	v_addc_co_u32_e32 v44, vcc, v44, v3, vcc
	v_add_co_u32_e32 v21, vcc, s8, v21
	v_addc_co_u32_e32 v22, vcc, v22, v3, vcc
	v_add_co_u32_e32 v25, vcc, s8, v25
	v_addc_co_u32_e32 v26, vcc, v26, v3, vcc
	v_add_co_u32_e32 v29, vcc, s8, v29
	v_addc_co_u32_e32 v30, vcc, v30, v3, vcc
	v_add_co_u32_e32 v33, vcc, s8, v33
	v_addc_co_u32_e32 v34, vcc, v34, v3, vcc
	v_add_co_u32_e32 v37, vcc, s8, v37
	v_addc_co_u32_e32 v38, vcc, v38, v3, vcc
	v_add_co_u32_e32 v41, vcc, s8, v41
	v_addc_co_u32_e32 v42, vcc, v42, v3, vcc
	v_add_co_u32_e32 v45, vcc, s8, v45
	v_addc_co_u32_e32 v46, vcc, v46, v3, vcc
	s_waitcnt vmcnt(0)
	v_add_co_u32_e32 v4, vcc, s8, v4
	buffer_store_dword v4, off, s[36:39], 0 offset:16 ; 4-byte Folded Spill
	buffer_load_dword v4, off, s[36:39], 0 offset:20 ; 4-byte Folded Reload
	s_waitcnt vmcnt(0)
	v_addc_co_u32_e32 v4, vcc, v4, v3, vcc
	buffer_store_dword v4, off, s[36:39], 0 offset:20 ; 4-byte Folded Spill
	buffer_load_dword v4, off, s[36:39], 0 offset:24 ; 4-byte Folded Reload
	s_waitcnt vmcnt(0)
	v_add_co_u32_e32 v4, vcc, s8, v4
	buffer_store_dword v4, off, s[36:39], 0 offset:24 ; 4-byte Folded Spill
	buffer_load_dword v4, off, s[36:39], 0 offset:28 ; 4-byte Folded Reload
	s_waitcnt vmcnt(0)
	v_addc_co_u32_e32 v4, vcc, v4, v3, vcc
	buffer_store_dword v4, off, s[36:39], 0 offset:28 ; 4-byte Folded Spill
	buffer_load_dword v4, off, s[36:39], 0 offset:32 ; 4-byte Folded Reload
	;; [unrolled: 8-line block ×9, first 2 shown]
	s_waitcnt vmcnt(0)
	v_add_co_u32_e32 v4, vcc, s8, v4
	v_addc_co_u32_e32 v58, vcc, v58, v3, vcc
	v_add_co_u32_e32 v59, vcc, s8, v59
	v_addc_co_u32_e32 v60, vcc, v60, v3, vcc
	;; [unrolled: 2-line block ×4, first 2 shown]
	v_add_co_u32_e32 v51, vcc, s8, v51
	buffer_store_dword v4, off, s[36:39], 0 offset:88 ; 4-byte Folded Spill
	v_addc_co_u32_e32 v0, vcc, v0, v3, vcc
	v_mov_b32_e32 v3, s12
	v_mov_b32_e32 v4, s13
	v_cmp_ge_i64_e32 vcc, s[20:21], v[3:4]
	s_cbranch_vccnz .LBB207_83
; %bb.82:                               ;   in Loop: Header=BB207_53 Depth=1
	v_mov_b32_e32 v52, v49
	s_branch .LBB207_53
.LBB207_83:
	buffer_load_dword v60, off, s[36:39], 0 offset:92 ; 4-byte Folded Reload
	buffer_load_dword v1, off, s[36:39], 0 offset:96 ; 4-byte Folded Reload
.LBB207_84:
	s_waitcnt vmcnt(0)
	v_mad_u32_u24 v0, v1, 33, v60
	v_sub_u32_e32 v4, v0, v1
	s_movk_i32 s0, 0x800
	v_lshl_add_u32 v3, v0, 2, 0
	v_mov_b32_e32 v2, 0
	v_cmp_gt_u32_e32 vcc, s0, v4
	ds_write_b32 v3, v49
	ds_write_b32 v3, v2 offset:4224
	s_waitcnt lgkmcnt(0)
	s_barrier
	s_and_saveexec_b64 s[0:1], vcc
	s_cbranch_execz .LBB207_94
; %bb.85:
	s_load_dwordx2 s[4:5], s[4:5], 0x30
	v_and_b32_e32 v0, 63, v4
	v_lshrrev_b32_e32 v2, 6, v4
	v_cmp_gt_u32_e64 s[0:1], 32, v0
	v_mul_u32_u24_e32 v3, 33, v0
                                        ; implicit-def: $vgpr0
	s_and_saveexec_b64 s[2:3], s[0:1]
; %bb.86:
	v_lshlrev_b32_e32 v0, 2, v2
	v_lshlrev_b32_e32 v1, 2, v3
	v_add3_u32 v0, 0, v0, v1
	ds_read_b32 v0, v0
; %bb.87:
	s_or_b64 exec, exec, s[2:3]
	v_mbcnt_lo_u32_b32 v1, -1, 0
	v_mbcnt_hi_u32_b32 v1, -1, v1
	v_and_b32_e32 v5, 64, v1
	v_add_u32_e32 v9, 64, v5
	v_xor_b32_e32 v5, 16, v1
	v_cmp_lt_i32_e32 vcc, v5, v9
	v_cndmask_b32_e32 v5, v1, v5, vcc
	v_lshlrev_b32_e32 v5, 2, v5
	s_waitcnt lgkmcnt(0)
	ds_bpermute_b32 v6, v5, v0
	v_xor_b32_e32 v7, 8, v1
	v_cmp_lt_i32_e32 vcc, v7, v9
	v_xor_b32_e32 v8, 4, v1
	v_xor_b32_e32 v10, 2, v1
	s_waitcnt lgkmcnt(0)
	v_add_f32_e32 v0, v0, v6
	v_cndmask_b32_e32 v6, v1, v7, vcc
	v_lshlrev_b32_e32 v6, 2, v6
	ds_bpermute_b32 v7, v6, v0
	v_cmp_lt_i32_e32 vcc, v8, v9
	s_mov_b32 s7, 0
	s_lshl_b64 s[6:7], s[6:7], 5
	v_cmp_ne_u32_e64 s[2:3], 0, v60
	s_waitcnt lgkmcnt(0)
	v_add_f32_e32 v0, v0, v7
	v_cndmask_b32_e32 v7, v1, v8, vcc
	v_lshlrev_b32_e32 v7, 2, v7
	ds_bpermute_b32 v8, v7, v0
	v_cmp_lt_i32_e32 vcc, v10, v9
	s_cmp_eq_u64 s[4:5], 0
	s_cselect_b64 s[8:9], -1, 0
	s_waitcnt lgkmcnt(0)
	v_add_f32_e32 v0, v0, v8
	v_cndmask_b32_e32 v8, v1, v10, vcc
	v_lshlrev_b32_e32 v8, 2, v8
	ds_bpermute_b32 v10, v8, v0
	s_waitcnt lgkmcnt(0)
	v_add_f32_e32 v10, v0, v10
	v_xor_b32_e32 v0, 1, v1
	v_cmp_lt_i32_e32 vcc, v0, v9
	v_cndmask_b32_e32 v0, v1, v0, vcc
	v_lshlrev_b32_e32 v9, 2, v0
	ds_bpermute_b32 v11, v9, v10
	v_or_b32_e32 v0, s6, v2
	v_mov_b32_e32 v1, s7
	v_cmp_le_i64_e32 vcc, s[14:15], v[0:1]
	s_or_b64 s[10:11], s[2:3], vcc
	s_waitcnt lgkmcnt(0)
	v_add_f32_e32 v10, v10, v11
	s_nor_b64 s[12:13], s[8:9], s[10:11]
	s_and_saveexec_b64 s[10:11], s[12:13]
	s_cbranch_execz .LBB207_89
; %bb.88:
	v_bfe_u32 v11, v10, 16, 1
	s_movk_i32 s12, 0x7fff
	v_lshlrev_b64 v[0:1], 1, v[0:1]
	v_add3_u32 v11, v10, v11, s12
	v_cmp_o_f32_e32 vcc, v10, v10
	v_mov_b32_e32 v12, 0x7fc0
	v_cndmask_b32_sdwa v11, v12, v11, vcc dst_sel:DWORD dst_unused:UNUSED_PAD src0_sel:DWORD src1_sel:WORD_1
	v_mov_b32_e32 v12, s5
	v_add_co_u32_e32 v0, vcc, s4, v0
	v_addc_co_u32_e32 v1, vcc, v12, v1, vcc
	global_store_short v[0:1], v11, off
.LBB207_89:
	s_or_b64 exec, exec, s[10:11]
	s_movk_i32 s10, 0x400
	v_cmp_gt_u32_e32 vcc, s10, v4
	s_and_b64 exec, exec, vcc
	s_cbranch_execz .LBB207_94
; %bb.90:
	s_and_saveexec_b64 s[10:11], s[0:1]
; %bb.91:
	v_lshlrev_b32_e32 v0, 2, v2
	v_lshlrev_b32_e32 v1, 2, v3
	v_add3_u32 v0, 0, v0, v1
	ds_read_b32 v10, v0 offset:64
; %bb.92:
	s_or_b64 exec, exec, s[10:11]
	s_waitcnt lgkmcnt(0)
	ds_bpermute_b32 v0, v5, v10
	v_add_u32_e32 v3, 16, v2
	v_or_b32_e32 v3, s6, v3
	v_mov_b32_e32 v4, s7
	v_cmp_le_i64_e32 vcc, s[14:15], v[3:4]
	s_waitcnt lgkmcnt(0)
	v_add_f32_e32 v0, v10, v0
	ds_bpermute_b32 v1, v6, v0
	s_or_b64 s[0:1], s[2:3], vcc
	s_nor_b64 s[0:1], s[8:9], s[0:1]
	s_waitcnt lgkmcnt(0)
	v_add_f32_e32 v0, v0, v1
	ds_bpermute_b32 v1, v7, v0
	s_waitcnt lgkmcnt(0)
	v_add_f32_e32 v0, v0, v1
	ds_bpermute_b32 v1, v8, v0
	;; [unrolled: 3-line block ×3, first 2 shown]
	s_and_saveexec_b64 s[2:3], s[0:1]
	s_xor_b64 s[2:3], exec, s[2:3]
	s_cbranch_execz .LBB207_94
; %bb.93:
	s_waitcnt lgkmcnt(0)
	v_add_f32_e32 v0, v0, v1
	v_bfe_u32 v1, v0, 16, 1
	s_movk_i32 s0, 0x7fff
	v_add3_u32 v1, v0, v1, s0
	v_cmp_o_f32_e32 vcc, v0, v0
	v_mov_b32_e32 v0, 0x7fc0
	v_cndmask_b32_sdwa v3, v0, v1, vcc dst_sel:DWORD dst_unused:UNUSED_PAD src0_sel:DWORD src1_sel:WORD_1
	v_mov_b32_e32 v1, s7
	v_add_co_u32_e32 v0, vcc, s6, v2
	v_addc_co_u32_e32 v1, vcc, 0, v1, vcc
	v_lshlrev_b64 v[0:1], 1, v[0:1]
	v_mov_b32_e32 v2, s5
	v_add_co_u32_e32 v0, vcc, s4, v0
	v_addc_co_u32_e32 v1, vcc, v2, v1, vcc
	global_store_short v[0:1], v3, off offset:32
.LBB207_94:
	s_endpgm
	.section	.rodata,"a",@progbits
	.p2align	6, 0x0
	.amdhsa_kernel _ZN2at6native12_GLOBAL__N_135GammaBetaBackwardCUDAKernelTemplateIN3c108BFloat16EfLj32ELj32ELj256ELb0ELb0ELb1EEEvllPKT_S7_PKT0_SA_PS5_SB_
		.amdhsa_group_segment_fixed_size 0
		.amdhsa_private_segment_fixed_size 108
		.amdhsa_kernarg_size 320
		.amdhsa_user_sgpr_count 6
		.amdhsa_user_sgpr_private_segment_buffer 1
		.amdhsa_user_sgpr_dispatch_ptr 0
		.amdhsa_user_sgpr_queue_ptr 0
		.amdhsa_user_sgpr_kernarg_segment_ptr 1
		.amdhsa_user_sgpr_dispatch_id 0
		.amdhsa_user_sgpr_flat_scratch_init 0
		.amdhsa_user_sgpr_private_segment_size 0
		.amdhsa_uses_dynamic_stack 0
		.amdhsa_system_sgpr_private_segment_wavefront_offset 1
		.amdhsa_system_sgpr_workgroup_id_x 1
		.amdhsa_system_sgpr_workgroup_id_y 1
		.amdhsa_system_sgpr_workgroup_id_z 0
		.amdhsa_system_sgpr_workgroup_info 0
		.amdhsa_system_vgpr_workitem_id 1
		.amdhsa_next_free_vgpr 64
		.amdhsa_next_free_sgpr 40
		.amdhsa_reserve_vcc 1
		.amdhsa_reserve_flat_scratch 0
		.amdhsa_float_round_mode_32 0
		.amdhsa_float_round_mode_16_64 0
		.amdhsa_float_denorm_mode_32 3
		.amdhsa_float_denorm_mode_16_64 3
		.amdhsa_dx10_clamp 1
		.amdhsa_ieee_mode 1
		.amdhsa_fp16_overflow 0
		.amdhsa_exception_fp_ieee_invalid_op 0
		.amdhsa_exception_fp_denorm_src 0
		.amdhsa_exception_fp_ieee_div_zero 0
		.amdhsa_exception_fp_ieee_overflow 0
		.amdhsa_exception_fp_ieee_underflow 0
		.amdhsa_exception_fp_ieee_inexact 0
		.amdhsa_exception_int_div_zero 0
	.end_amdhsa_kernel
	.section	.text._ZN2at6native12_GLOBAL__N_135GammaBetaBackwardCUDAKernelTemplateIN3c108BFloat16EfLj32ELj32ELj256ELb0ELb0ELb1EEEvllPKT_S7_PKT0_SA_PS5_SB_,"axG",@progbits,_ZN2at6native12_GLOBAL__N_135GammaBetaBackwardCUDAKernelTemplateIN3c108BFloat16EfLj32ELj32ELj256ELb0ELb0ELb1EEEvllPKT_S7_PKT0_SA_PS5_SB_,comdat
.Lfunc_end207:
	.size	_ZN2at6native12_GLOBAL__N_135GammaBetaBackwardCUDAKernelTemplateIN3c108BFloat16EfLj32ELj32ELj256ELb0ELb0ELb1EEEvllPKT_S7_PKT0_SA_PS5_SB_, .Lfunc_end207-_ZN2at6native12_GLOBAL__N_135GammaBetaBackwardCUDAKernelTemplateIN3c108BFloat16EfLj32ELj32ELj256ELb0ELb0ELb1EEEvllPKT_S7_PKT0_SA_PS5_SB_
                                        ; -- End function
	.set _ZN2at6native12_GLOBAL__N_135GammaBetaBackwardCUDAKernelTemplateIN3c108BFloat16EfLj32ELj32ELj256ELb0ELb0ELb1EEEvllPKT_S7_PKT0_SA_PS5_SB_.num_vgpr, 64
	.set _ZN2at6native12_GLOBAL__N_135GammaBetaBackwardCUDAKernelTemplateIN3c108BFloat16EfLj32ELj32ELj256ELb0ELb0ELb1EEEvllPKT_S7_PKT0_SA_PS5_SB_.num_agpr, 0
	.set _ZN2at6native12_GLOBAL__N_135GammaBetaBackwardCUDAKernelTemplateIN3c108BFloat16EfLj32ELj32ELj256ELb0ELb0ELb1EEEvllPKT_S7_PKT0_SA_PS5_SB_.numbered_sgpr, 40
	.set _ZN2at6native12_GLOBAL__N_135GammaBetaBackwardCUDAKernelTemplateIN3c108BFloat16EfLj32ELj32ELj256ELb0ELb0ELb1EEEvllPKT_S7_PKT0_SA_PS5_SB_.num_named_barrier, 0
	.set _ZN2at6native12_GLOBAL__N_135GammaBetaBackwardCUDAKernelTemplateIN3c108BFloat16EfLj32ELj32ELj256ELb0ELb0ELb1EEEvllPKT_S7_PKT0_SA_PS5_SB_.private_seg_size, 108
	.set _ZN2at6native12_GLOBAL__N_135GammaBetaBackwardCUDAKernelTemplateIN3c108BFloat16EfLj32ELj32ELj256ELb0ELb0ELb1EEEvllPKT_S7_PKT0_SA_PS5_SB_.uses_vcc, 1
	.set _ZN2at6native12_GLOBAL__N_135GammaBetaBackwardCUDAKernelTemplateIN3c108BFloat16EfLj32ELj32ELj256ELb0ELb0ELb1EEEvllPKT_S7_PKT0_SA_PS5_SB_.uses_flat_scratch, 0
	.set _ZN2at6native12_GLOBAL__N_135GammaBetaBackwardCUDAKernelTemplateIN3c108BFloat16EfLj32ELj32ELj256ELb0ELb0ELb1EEEvllPKT_S7_PKT0_SA_PS5_SB_.has_dyn_sized_stack, 0
	.set _ZN2at6native12_GLOBAL__N_135GammaBetaBackwardCUDAKernelTemplateIN3c108BFloat16EfLj32ELj32ELj256ELb0ELb0ELb1EEEvllPKT_S7_PKT0_SA_PS5_SB_.has_recursion, 0
	.set _ZN2at6native12_GLOBAL__N_135GammaBetaBackwardCUDAKernelTemplateIN3c108BFloat16EfLj32ELj32ELj256ELb0ELb0ELb1EEEvllPKT_S7_PKT0_SA_PS5_SB_.has_indirect_call, 0
	.section	.AMDGPU.csdata,"",@progbits
; Kernel info:
; codeLenInByte = 7996
; TotalNumSgprs: 44
; NumVgprs: 64
; ScratchSize: 108
; MemoryBound: 0
; FloatMode: 240
; IeeeMode: 1
; LDSByteSize: 0 bytes/workgroup (compile time only)
; SGPRBlocks: 5
; VGPRBlocks: 15
; NumSGPRsForWavesPerEU: 44
; NumVGPRsForWavesPerEU: 64
; Occupancy: 4
; WaveLimiterHint : 0
; COMPUTE_PGM_RSRC2:SCRATCH_EN: 1
; COMPUTE_PGM_RSRC2:USER_SGPR: 6
; COMPUTE_PGM_RSRC2:TRAP_HANDLER: 0
; COMPUTE_PGM_RSRC2:TGID_X_EN: 1
; COMPUTE_PGM_RSRC2:TGID_Y_EN: 1
; COMPUTE_PGM_RSRC2:TGID_Z_EN: 0
; COMPUTE_PGM_RSRC2:TIDIG_COMP_CNT: 1
	.section	.AMDGPU.gpr_maximums,"",@progbits
	.set amdgpu.max_num_vgpr, 0
	.set amdgpu.max_num_agpr, 0
	.set amdgpu.max_num_sgpr, 0
	.section	.AMDGPU.csdata,"",@progbits
	.type	__hip_cuid_9b96a498d8320f6,@object ; @__hip_cuid_9b96a498d8320f6
	.section	.bss,"aw",@nobits
	.globl	__hip_cuid_9b96a498d8320f6
__hip_cuid_9b96a498d8320f6:
	.byte	0                               ; 0x0
	.size	__hip_cuid_9b96a498d8320f6, 1

	.ident	"AMD clang version 22.0.0git (https://github.com/RadeonOpenCompute/llvm-project roc-7.2.4 26084 f58b06dce1f9c15707c5f808fd002e18c2accf7e)"
	.section	".note.GNU-stack","",@progbits
	.addrsig
	.addrsig_sym __hip_cuid_9b96a498d8320f6
	.amdgpu_metadata
---
amdhsa.kernels:
  - .args:
      - .offset:         0
        .size:           4
        .value_kind:     by_value
      - .offset:         8
        .size:           8
        .value_kind:     by_value
      - .actual_access:  read_only
        .address_space:  global
        .offset:         16
        .size:           8
        .value_kind:     global_buffer
      - .address_space:  global
        .offset:         24
        .size:           8
        .value_kind:     global_buffer
      - .address_space:  global
        .offset:         32
        .size:           8
        .value_kind:     global_buffer
      - .address_space:  global
        .offset:         40
        .size:           8
        .value_kind:     global_buffer
      - .address_space:  global
        .offset:         48
        .size:           8
        .value_kind:     global_buffer
      - .address_space:  global
        .offset:         56
        .size:           8
        .value_kind:     global_buffer
    .group_segment_fixed_size: 0
    .kernarg_segment_align: 8
    .kernarg_segment_size: 64
    .language:       OpenCL C
    .language_version:
      - 2
      - 0
    .max_flat_workgroup_size: 1024
    .name:           _ZN2at6native12_GLOBAL__N_128vectorized_layer_norm_kernelIddLb0EEEviT0_PKT_S6_S6_PS3_S7_PS4_
    .private_segment_fixed_size: 0
    .sgpr_count:     4
    .sgpr_spill_count: 0
    .symbol:         _ZN2at6native12_GLOBAL__N_128vectorized_layer_norm_kernelIddLb0EEEviT0_PKT_S6_S6_PS3_S7_PS4_.kd
    .uniform_work_group_size: 1
    .uses_dynamic_stack: false
    .vgpr_count:     0
    .vgpr_spill_count: 0
    .wavefront_size: 64
  - .args:
      - .offset:         0
        .size:           8
        .value_kind:     by_value
      - .offset:         8
        .size:           8
        .value_kind:     by_value
      - .address_space:  global
        .offset:         16
        .size:           8
        .value_kind:     global_buffer
      - .address_space:  global
        .offset:         24
        .size:           8
        .value_kind:     global_buffer
      - .address_space:  global
        .offset:         32
        .size:           8
        .value_kind:     global_buffer
      - .offset:         40
        .size:           4
        .value_kind:     hidden_block_count_x
      - .offset:         44
        .size:           4
        .value_kind:     hidden_block_count_y
      - .offset:         48
        .size:           4
        .value_kind:     hidden_block_count_z
      - .offset:         52
        .size:           2
        .value_kind:     hidden_group_size_x
      - .offset:         54
        .size:           2
        .value_kind:     hidden_group_size_y
      - .offset:         56
        .size:           2
        .value_kind:     hidden_group_size_z
      - .offset:         58
        .size:           2
        .value_kind:     hidden_remainder_x
      - .offset:         60
        .size:           2
        .value_kind:     hidden_remainder_y
      - .offset:         62
        .size:           2
        .value_kind:     hidden_remainder_z
      - .offset:         80
        .size:           8
        .value_kind:     hidden_global_offset_x
      - .offset:         88
        .size:           8
        .value_kind:     hidden_global_offset_y
      - .offset:         96
        .size:           8
        .value_kind:     hidden_global_offset_z
      - .offset:         104
        .size:           2
        .value_kind:     hidden_grid_dims
    .group_segment_fixed_size: 2048
    .kernarg_segment_align: 8
    .kernarg_segment_size: 296
    .language:       OpenCL C
    .language_version:
      - 2
      - 0
    .max_flat_workgroup_size: 1024
    .name:           _ZN2at6native12_GLOBAL__N_124RowwiseMomentsCUDAKernelIddLb0EEEvlT0_PKT_PS3_S7_
    .private_segment_fixed_size: 0
    .sgpr_count:     26
    .sgpr_spill_count: 0
    .symbol:         _ZN2at6native12_GLOBAL__N_124RowwiseMomentsCUDAKernelIddLb0EEEvlT0_PKT_PS3_S7_.kd
    .uniform_work_group_size: 1
    .uses_dynamic_stack: false
    .vgpr_count:     31
    .vgpr_spill_count: 0
    .wavefront_size: 64
  - .args:
      - .offset:         0
        .size:           8
        .value_kind:     by_value
      - .address_space:  global
        .offset:         8
        .size:           8
        .value_kind:     global_buffer
      - .address_space:  global
        .offset:         16
        .size:           8
        .value_kind:     global_buffer
      - .address_space:  global
        .offset:         24
        .size:           8
        .value_kind:     global_buffer
      - .address_space:  global
        .offset:         32
        .size:           8
        .value_kind:     global_buffer
      - .address_space:  global
        .offset:         40
        .size:           8
        .value_kind:     global_buffer
      - .address_space:  global
        .offset:         48
        .size:           8
        .value_kind:     global_buffer
      - .offset:         56
        .size:           4
        .value_kind:     hidden_block_count_x
      - .offset:         60
        .size:           4
        .value_kind:     hidden_block_count_y
      - .offset:         64
        .size:           4
        .value_kind:     hidden_block_count_z
      - .offset:         68
        .size:           2
        .value_kind:     hidden_group_size_x
      - .offset:         70
        .size:           2
        .value_kind:     hidden_group_size_y
      - .offset:         72
        .size:           2
        .value_kind:     hidden_group_size_z
      - .offset:         74
        .size:           2
        .value_kind:     hidden_remainder_x
      - .offset:         76
        .size:           2
        .value_kind:     hidden_remainder_y
      - .offset:         78
        .size:           2
        .value_kind:     hidden_remainder_z
      - .offset:         96
        .size:           8
        .value_kind:     hidden_global_offset_x
      - .offset:         104
        .size:           8
        .value_kind:     hidden_global_offset_y
      - .offset:         112
        .size:           8
        .value_kind:     hidden_global_offset_z
      - .offset:         120
        .size:           2
        .value_kind:     hidden_grid_dims
    .group_segment_fixed_size: 0
    .kernarg_segment_align: 8
    .kernarg_segment_size: 312
    .language:       OpenCL C
    .language_version:
      - 2
      - 0
    .max_flat_workgroup_size: 1024
    .name:           _ZN2at6native12_GLOBAL__N_126LayerNormForwardCUDAKernelIddLb0EEEvlPKT_PKT0_S8_S5_S5_PS3_
    .private_segment_fixed_size: 0
    .sgpr_count:     30
    .sgpr_spill_count: 0
    .symbol:         _ZN2at6native12_GLOBAL__N_126LayerNormForwardCUDAKernelIddLb0EEEvlPKT_PKT0_S8_S5_S5_PS3_.kd
    .uniform_work_group_size: 1
    .uses_dynamic_stack: false
    .vgpr_count:     20
    .vgpr_spill_count: 0
    .wavefront_size: 64
  - .args:
      - .offset:         0
        .size:           4
        .value_kind:     by_value
      - .offset:         4
        .size:           4
        .value_kind:     by_value
      - .actual_access:  read_only
        .address_space:  global
        .offset:         8
        .size:           8
        .value_kind:     global_buffer
      - .address_space:  global
        .offset:         16
        .size:           8
        .value_kind:     global_buffer
      - .address_space:  global
        .offset:         24
        .size:           8
        .value_kind:     global_buffer
      - .address_space:  global
        .offset:         32
        .size:           8
        .value_kind:     global_buffer
      - .address_space:  global
        .offset:         40
        .size:           8
        .value_kind:     global_buffer
      - .address_space:  global
        .offset:         48
        .size:           8
        .value_kind:     global_buffer
      - .offset:         56
        .size:           4
        .value_kind:     hidden_block_count_x
      - .offset:         60
        .size:           4
        .value_kind:     hidden_block_count_y
      - .offset:         64
        .size:           4
        .value_kind:     hidden_block_count_z
      - .offset:         68
        .size:           2
        .value_kind:     hidden_group_size_x
      - .offset:         70
        .size:           2
        .value_kind:     hidden_group_size_y
      - .offset:         72
        .size:           2
        .value_kind:     hidden_group_size_z
      - .offset:         74
        .size:           2
        .value_kind:     hidden_remainder_x
      - .offset:         76
        .size:           2
        .value_kind:     hidden_remainder_y
      - .offset:         78
        .size:           2
        .value_kind:     hidden_remainder_z
      - .offset:         96
        .size:           8
        .value_kind:     hidden_global_offset_x
      - .offset:         104
        .size:           8
        .value_kind:     hidden_global_offset_y
      - .offset:         112
        .size:           8
        .value_kind:     hidden_global_offset_z
      - .offset:         120
        .size:           2
        .value_kind:     hidden_grid_dims
      - .offset:         176
        .size:           4
        .value_kind:     hidden_dynamic_lds_size
    .group_segment_fixed_size: 0
    .kernarg_segment_align: 8
    .kernarg_segment_size: 312
    .language:       OpenCL C
    .language_version:
      - 2
      - 0
    .max_flat_workgroup_size: 1024
    .name:           _ZN2at6native12_GLOBAL__N_128vectorized_layer_norm_kernelIffLb0EEEviT0_PKT_S6_S6_PS3_S7_PS4_
    .private_segment_fixed_size: 0
    .sgpr_count:     35
    .sgpr_spill_count: 0
    .symbol:         _ZN2at6native12_GLOBAL__N_128vectorized_layer_norm_kernelIffLb0EEEviT0_PKT_S6_S6_PS3_S7_PS4_.kd
    .uniform_work_group_size: 1
    .uses_dynamic_stack: false
    .vgpr_count:     21
    .vgpr_spill_count: 0
    .wavefront_size: 64
  - .args:
      - .offset:         0
        .size:           8
        .value_kind:     by_value
      - .offset:         8
        .size:           4
        .value_kind:     by_value
      - .address_space:  global
        .offset:         16
        .size:           8
        .value_kind:     global_buffer
      - .address_space:  global
        .offset:         24
        .size:           8
        .value_kind:     global_buffer
      - .address_space:  global
        .offset:         32
        .size:           8
        .value_kind:     global_buffer
      - .offset:         40
        .size:           4
        .value_kind:     hidden_block_count_x
      - .offset:         44
        .size:           4
        .value_kind:     hidden_block_count_y
      - .offset:         48
        .size:           4
        .value_kind:     hidden_block_count_z
      - .offset:         52
        .size:           2
        .value_kind:     hidden_group_size_x
      - .offset:         54
        .size:           2
        .value_kind:     hidden_group_size_y
      - .offset:         56
        .size:           2
        .value_kind:     hidden_group_size_z
      - .offset:         58
        .size:           2
        .value_kind:     hidden_remainder_x
      - .offset:         60
        .size:           2
        .value_kind:     hidden_remainder_y
      - .offset:         62
        .size:           2
        .value_kind:     hidden_remainder_z
      - .offset:         80
        .size:           8
        .value_kind:     hidden_global_offset_x
      - .offset:         88
        .size:           8
        .value_kind:     hidden_global_offset_y
      - .offset:         96
        .size:           8
        .value_kind:     hidden_global_offset_z
      - .offset:         104
        .size:           2
        .value_kind:     hidden_grid_dims
    .group_segment_fixed_size: 1536
    .kernarg_segment_align: 8
    .kernarg_segment_size: 296
    .language:       OpenCL C
    .language_version:
      - 2
      - 0
    .max_flat_workgroup_size: 1024
    .name:           _ZN2at6native12_GLOBAL__N_124RowwiseMomentsCUDAKernelIffLb0EEEvlT0_PKT_PS3_S7_
    .private_segment_fixed_size: 0
    .sgpr_count:     25
    .sgpr_spill_count: 0
    .symbol:         _ZN2at6native12_GLOBAL__N_124RowwiseMomentsCUDAKernelIffLb0EEEvlT0_PKT_PS3_S7_.kd
    .uniform_work_group_size: 1
    .uses_dynamic_stack: false
    .vgpr_count:     20
    .vgpr_spill_count: 0
    .wavefront_size: 64
  - .args:
      - .offset:         0
        .size:           8
        .value_kind:     by_value
      - .address_space:  global
        .offset:         8
        .size:           8
        .value_kind:     global_buffer
      - .address_space:  global
        .offset:         16
        .size:           8
        .value_kind:     global_buffer
      - .address_space:  global
        .offset:         24
        .size:           8
        .value_kind:     global_buffer
      - .address_space:  global
        .offset:         32
        .size:           8
        .value_kind:     global_buffer
      - .address_space:  global
        .offset:         40
        .size:           8
        .value_kind:     global_buffer
      - .address_space:  global
        .offset:         48
        .size:           8
        .value_kind:     global_buffer
      - .offset:         56
        .size:           4
        .value_kind:     hidden_block_count_x
      - .offset:         60
        .size:           4
        .value_kind:     hidden_block_count_y
      - .offset:         64
        .size:           4
        .value_kind:     hidden_block_count_z
      - .offset:         68
        .size:           2
        .value_kind:     hidden_group_size_x
      - .offset:         70
        .size:           2
        .value_kind:     hidden_group_size_y
      - .offset:         72
        .size:           2
        .value_kind:     hidden_group_size_z
      - .offset:         74
        .size:           2
        .value_kind:     hidden_remainder_x
      - .offset:         76
        .size:           2
        .value_kind:     hidden_remainder_y
      - .offset:         78
        .size:           2
        .value_kind:     hidden_remainder_z
      - .offset:         96
        .size:           8
        .value_kind:     hidden_global_offset_x
      - .offset:         104
        .size:           8
        .value_kind:     hidden_global_offset_y
      - .offset:         112
        .size:           8
        .value_kind:     hidden_global_offset_z
      - .offset:         120
        .size:           2
        .value_kind:     hidden_grid_dims
    .group_segment_fixed_size: 0
    .kernarg_segment_align: 8
    .kernarg_segment_size: 312
    .language:       OpenCL C
    .language_version:
      - 2
      - 0
    .max_flat_workgroup_size: 1024
    .name:           _ZN2at6native12_GLOBAL__N_126LayerNormForwardCUDAKernelIffLb0EEEvlPKT_PKT0_S8_S5_S5_PS3_
    .private_segment_fixed_size: 0
    .sgpr_count:     30
    .sgpr_spill_count: 0
    .symbol:         _ZN2at6native12_GLOBAL__N_126LayerNormForwardCUDAKernelIffLb0EEEvlPKT_PKT0_S8_S5_S5_PS3_.kd
    .uniform_work_group_size: 1
    .uses_dynamic_stack: false
    .vgpr_count:     14
    .vgpr_spill_count: 0
    .wavefront_size: 64
  - .args:
      - .offset:         0
        .size:           4
        .value_kind:     by_value
      - .offset:         4
        .size:           4
        .value_kind:     by_value
      - .actual_access:  read_only
        .address_space:  global
        .offset:         8
        .size:           8
        .value_kind:     global_buffer
      - .address_space:  global
        .offset:         16
        .size:           8
        .value_kind:     global_buffer
      - .address_space:  global
        .offset:         24
        .size:           8
        .value_kind:     global_buffer
      - .address_space:  global
        .offset:         32
        .size:           8
        .value_kind:     global_buffer
      - .address_space:  global
        .offset:         40
        .size:           8
        .value_kind:     global_buffer
      - .address_space:  global
        .offset:         48
        .size:           8
        .value_kind:     global_buffer
      - .offset:         56
        .size:           4
        .value_kind:     hidden_block_count_x
      - .offset:         60
        .size:           4
        .value_kind:     hidden_block_count_y
      - .offset:         64
        .size:           4
        .value_kind:     hidden_block_count_z
      - .offset:         68
        .size:           2
        .value_kind:     hidden_group_size_x
      - .offset:         70
        .size:           2
        .value_kind:     hidden_group_size_y
      - .offset:         72
        .size:           2
        .value_kind:     hidden_group_size_z
      - .offset:         74
        .size:           2
        .value_kind:     hidden_remainder_x
      - .offset:         76
        .size:           2
        .value_kind:     hidden_remainder_y
      - .offset:         78
        .size:           2
        .value_kind:     hidden_remainder_z
      - .offset:         96
        .size:           8
        .value_kind:     hidden_global_offset_x
      - .offset:         104
        .size:           8
        .value_kind:     hidden_global_offset_y
      - .offset:         112
        .size:           8
        .value_kind:     hidden_global_offset_z
      - .offset:         120
        .size:           2
        .value_kind:     hidden_grid_dims
      - .offset:         176
        .size:           4
        .value_kind:     hidden_dynamic_lds_size
    .group_segment_fixed_size: 0
    .kernarg_segment_align: 8
    .kernarg_segment_size: 312
    .language:       OpenCL C
    .language_version:
      - 2
      - 0
    .max_flat_workgroup_size: 1024
    .name:           _ZN2at6native12_GLOBAL__N_128vectorized_layer_norm_kernelIN3c104HalfEfLb0EEEviT0_PKT_S8_S8_PS5_S9_PS6_
    .private_segment_fixed_size: 0
    .sgpr_count:     36
    .sgpr_spill_count: 0
    .symbol:         _ZN2at6native12_GLOBAL__N_128vectorized_layer_norm_kernelIN3c104HalfEfLb0EEEviT0_PKT_S8_S8_PS5_S9_PS6_.kd
    .uniform_work_group_size: 1
    .uses_dynamic_stack: false
    .vgpr_count:     21
    .vgpr_spill_count: 0
    .wavefront_size: 64
  - .args:
      - .offset:         0
        .size:           8
        .value_kind:     by_value
      - .offset:         8
        .size:           4
        .value_kind:     by_value
      - .address_space:  global
        .offset:         16
        .size:           8
        .value_kind:     global_buffer
      - .address_space:  global
        .offset:         24
        .size:           8
        .value_kind:     global_buffer
      - .address_space:  global
        .offset:         32
        .size:           8
        .value_kind:     global_buffer
      - .offset:         40
        .size:           4
        .value_kind:     hidden_block_count_x
      - .offset:         44
        .size:           4
        .value_kind:     hidden_block_count_y
      - .offset:         48
        .size:           4
        .value_kind:     hidden_block_count_z
      - .offset:         52
        .size:           2
        .value_kind:     hidden_group_size_x
      - .offset:         54
        .size:           2
        .value_kind:     hidden_group_size_y
      - .offset:         56
        .size:           2
        .value_kind:     hidden_group_size_z
      - .offset:         58
        .size:           2
        .value_kind:     hidden_remainder_x
      - .offset:         60
        .size:           2
        .value_kind:     hidden_remainder_y
      - .offset:         62
        .size:           2
        .value_kind:     hidden_remainder_z
      - .offset:         80
        .size:           8
        .value_kind:     hidden_global_offset_x
      - .offset:         88
        .size:           8
        .value_kind:     hidden_global_offset_y
      - .offset:         96
        .size:           8
        .value_kind:     hidden_global_offset_z
      - .offset:         104
        .size:           2
        .value_kind:     hidden_grid_dims
    .group_segment_fixed_size: 1536
    .kernarg_segment_align: 8
    .kernarg_segment_size: 296
    .language:       OpenCL C
    .language_version:
      - 2
      - 0
    .max_flat_workgroup_size: 1024
    .name:           _ZN2at6native12_GLOBAL__N_124RowwiseMomentsCUDAKernelIN3c104HalfEfLb0EEEvlT0_PKT_PS5_S9_
    .private_segment_fixed_size: 0
    .sgpr_count:     25
    .sgpr_spill_count: 0
    .symbol:         _ZN2at6native12_GLOBAL__N_124RowwiseMomentsCUDAKernelIN3c104HalfEfLb0EEEvlT0_PKT_PS5_S9_.kd
    .uniform_work_group_size: 1
    .uses_dynamic_stack: false
    .vgpr_count:     20
    .vgpr_spill_count: 0
    .wavefront_size: 64
  - .args:
      - .offset:         0
        .size:           8
        .value_kind:     by_value
      - .address_space:  global
        .offset:         8
        .size:           8
        .value_kind:     global_buffer
      - .address_space:  global
        .offset:         16
        .size:           8
        .value_kind:     global_buffer
      - .address_space:  global
        .offset:         24
        .size:           8
        .value_kind:     global_buffer
      - .address_space:  global
        .offset:         32
        .size:           8
        .value_kind:     global_buffer
      - .address_space:  global
        .offset:         40
        .size:           8
        .value_kind:     global_buffer
      - .address_space:  global
        .offset:         48
        .size:           8
        .value_kind:     global_buffer
      - .offset:         56
        .size:           4
        .value_kind:     hidden_block_count_x
      - .offset:         60
        .size:           4
        .value_kind:     hidden_block_count_y
      - .offset:         64
        .size:           4
        .value_kind:     hidden_block_count_z
      - .offset:         68
        .size:           2
        .value_kind:     hidden_group_size_x
      - .offset:         70
        .size:           2
        .value_kind:     hidden_group_size_y
      - .offset:         72
        .size:           2
        .value_kind:     hidden_group_size_z
      - .offset:         74
        .size:           2
        .value_kind:     hidden_remainder_x
      - .offset:         76
        .size:           2
        .value_kind:     hidden_remainder_y
      - .offset:         78
        .size:           2
        .value_kind:     hidden_remainder_z
      - .offset:         96
        .size:           8
        .value_kind:     hidden_global_offset_x
      - .offset:         104
        .size:           8
        .value_kind:     hidden_global_offset_y
      - .offset:         112
        .size:           8
        .value_kind:     hidden_global_offset_z
      - .offset:         120
        .size:           2
        .value_kind:     hidden_grid_dims
    .group_segment_fixed_size: 0
    .kernarg_segment_align: 8
    .kernarg_segment_size: 312
    .language:       OpenCL C
    .language_version:
      - 2
      - 0
    .max_flat_workgroup_size: 1024
    .name:           _ZN2at6native12_GLOBAL__N_126LayerNormForwardCUDAKernelIN3c104HalfEfLb0EEEvlPKT_PKT0_SA_S7_S7_PS5_
    .private_segment_fixed_size: 0
    .sgpr_count:     31
    .sgpr_spill_count: 0
    .symbol:         _ZN2at6native12_GLOBAL__N_126LayerNormForwardCUDAKernelIN3c104HalfEfLb0EEEvlPKT_PKT0_SA_S7_S7_PS5_.kd
    .uniform_work_group_size: 1
    .uses_dynamic_stack: false
    .vgpr_count:     11
    .vgpr_spill_count: 0
    .wavefront_size: 64
  - .args:
      - .offset:         0
        .size:           4
        .value_kind:     by_value
      - .offset:         4
        .size:           4
        .value_kind:     by_value
      - .actual_access:  read_only
        .address_space:  global
        .offset:         8
        .size:           8
        .value_kind:     global_buffer
      - .address_space:  global
        .offset:         16
        .size:           8
        .value_kind:     global_buffer
      - .address_space:  global
        .offset:         24
        .size:           8
        .value_kind:     global_buffer
      - .address_space:  global
        .offset:         32
        .size:           8
        .value_kind:     global_buffer
      - .address_space:  global
        .offset:         40
        .size:           8
        .value_kind:     global_buffer
      - .address_space:  global
        .offset:         48
        .size:           8
        .value_kind:     global_buffer
      - .offset:         56
        .size:           4
        .value_kind:     hidden_block_count_x
      - .offset:         60
        .size:           4
        .value_kind:     hidden_block_count_y
      - .offset:         64
        .size:           4
        .value_kind:     hidden_block_count_z
      - .offset:         68
        .size:           2
        .value_kind:     hidden_group_size_x
      - .offset:         70
        .size:           2
        .value_kind:     hidden_group_size_y
      - .offset:         72
        .size:           2
        .value_kind:     hidden_group_size_z
      - .offset:         74
        .size:           2
        .value_kind:     hidden_remainder_x
      - .offset:         76
        .size:           2
        .value_kind:     hidden_remainder_y
      - .offset:         78
        .size:           2
        .value_kind:     hidden_remainder_z
      - .offset:         96
        .size:           8
        .value_kind:     hidden_global_offset_x
      - .offset:         104
        .size:           8
        .value_kind:     hidden_global_offset_y
      - .offset:         112
        .size:           8
        .value_kind:     hidden_global_offset_z
      - .offset:         120
        .size:           2
        .value_kind:     hidden_grid_dims
      - .offset:         176
        .size:           4
        .value_kind:     hidden_dynamic_lds_size
    .group_segment_fixed_size: 0
    .kernarg_segment_align: 8
    .kernarg_segment_size: 312
    .language:       OpenCL C
    .language_version:
      - 2
      - 0
    .max_flat_workgroup_size: 1024
    .name:           _ZN2at6native12_GLOBAL__N_128vectorized_layer_norm_kernelIN3c108BFloat16EfLb0EEEviT0_PKT_S8_S8_PS5_S9_PS6_
    .private_segment_fixed_size: 0
    .sgpr_count:     35
    .sgpr_spill_count: 0
    .symbol:         _ZN2at6native12_GLOBAL__N_128vectorized_layer_norm_kernelIN3c108BFloat16EfLb0EEEviT0_PKT_S8_S8_PS5_S9_PS6_.kd
    .uniform_work_group_size: 1
    .uses_dynamic_stack: false
    .vgpr_count:     24
    .vgpr_spill_count: 0
    .wavefront_size: 64
  - .args:
      - .offset:         0
        .size:           8
        .value_kind:     by_value
      - .offset:         8
        .size:           4
        .value_kind:     by_value
      - .address_space:  global
        .offset:         16
        .size:           8
        .value_kind:     global_buffer
      - .address_space:  global
        .offset:         24
        .size:           8
        .value_kind:     global_buffer
      - .address_space:  global
        .offset:         32
        .size:           8
        .value_kind:     global_buffer
      - .offset:         40
        .size:           4
        .value_kind:     hidden_block_count_x
      - .offset:         44
        .size:           4
        .value_kind:     hidden_block_count_y
      - .offset:         48
        .size:           4
        .value_kind:     hidden_block_count_z
      - .offset:         52
        .size:           2
        .value_kind:     hidden_group_size_x
      - .offset:         54
        .size:           2
        .value_kind:     hidden_group_size_y
      - .offset:         56
        .size:           2
        .value_kind:     hidden_group_size_z
      - .offset:         58
        .size:           2
        .value_kind:     hidden_remainder_x
      - .offset:         60
        .size:           2
        .value_kind:     hidden_remainder_y
      - .offset:         62
        .size:           2
        .value_kind:     hidden_remainder_z
      - .offset:         80
        .size:           8
        .value_kind:     hidden_global_offset_x
      - .offset:         88
        .size:           8
        .value_kind:     hidden_global_offset_y
      - .offset:         96
        .size:           8
        .value_kind:     hidden_global_offset_z
      - .offset:         104
        .size:           2
        .value_kind:     hidden_grid_dims
    .group_segment_fixed_size: 1536
    .kernarg_segment_align: 8
    .kernarg_segment_size: 296
    .language:       OpenCL C
    .language_version:
      - 2
      - 0
    .max_flat_workgroup_size: 1024
    .name:           _ZN2at6native12_GLOBAL__N_124RowwiseMomentsCUDAKernelIN3c108BFloat16EfLb0EEEvlT0_PKT_PS5_S9_
    .private_segment_fixed_size: 0
    .sgpr_count:     25
    .sgpr_spill_count: 0
    .symbol:         _ZN2at6native12_GLOBAL__N_124RowwiseMomentsCUDAKernelIN3c108BFloat16EfLb0EEEvlT0_PKT_PS5_S9_.kd
    .uniform_work_group_size: 1
    .uses_dynamic_stack: false
    .vgpr_count:     20
    .vgpr_spill_count: 0
    .wavefront_size: 64
  - .args:
      - .offset:         0
        .size:           8
        .value_kind:     by_value
      - .address_space:  global
        .offset:         8
        .size:           8
        .value_kind:     global_buffer
      - .address_space:  global
        .offset:         16
        .size:           8
        .value_kind:     global_buffer
      - .address_space:  global
        .offset:         24
        .size:           8
        .value_kind:     global_buffer
      - .address_space:  global
        .offset:         32
        .size:           8
        .value_kind:     global_buffer
      - .address_space:  global
        .offset:         40
        .size:           8
        .value_kind:     global_buffer
      - .address_space:  global
        .offset:         48
        .size:           8
        .value_kind:     global_buffer
      - .offset:         56
        .size:           4
        .value_kind:     hidden_block_count_x
      - .offset:         60
        .size:           4
        .value_kind:     hidden_block_count_y
      - .offset:         64
        .size:           4
        .value_kind:     hidden_block_count_z
      - .offset:         68
        .size:           2
        .value_kind:     hidden_group_size_x
      - .offset:         70
        .size:           2
        .value_kind:     hidden_group_size_y
      - .offset:         72
        .size:           2
        .value_kind:     hidden_group_size_z
      - .offset:         74
        .size:           2
        .value_kind:     hidden_remainder_x
      - .offset:         76
        .size:           2
        .value_kind:     hidden_remainder_y
      - .offset:         78
        .size:           2
        .value_kind:     hidden_remainder_z
      - .offset:         96
        .size:           8
        .value_kind:     hidden_global_offset_x
      - .offset:         104
        .size:           8
        .value_kind:     hidden_global_offset_y
      - .offset:         112
        .size:           8
        .value_kind:     hidden_global_offset_z
      - .offset:         120
        .size:           2
        .value_kind:     hidden_grid_dims
    .group_segment_fixed_size: 0
    .kernarg_segment_align: 8
    .kernarg_segment_size: 312
    .language:       OpenCL C
    .language_version:
      - 2
      - 0
    .max_flat_workgroup_size: 1024
    .name:           _ZN2at6native12_GLOBAL__N_126LayerNormForwardCUDAKernelIN3c108BFloat16EfLb0EEEvlPKT_PKT0_SA_S7_S7_PS5_
    .private_segment_fixed_size: 0
    .sgpr_count:     31
    .sgpr_spill_count: 0
    .symbol:         _ZN2at6native12_GLOBAL__N_126LayerNormForwardCUDAKernelIN3c108BFloat16EfLb0EEEvlPKT_PKT0_SA_S7_S7_PS5_.kd
    .uniform_work_group_size: 1
    .uses_dynamic_stack: false
    .vgpr_count:     12
    .vgpr_spill_count: 0
    .wavefront_size: 64
  - .args:
      - .offset:         0
        .size:           4
        .value_kind:     by_value
      - .offset:         8
        .size:           8
        .value_kind:     by_value
      - .actual_access:  read_only
        .address_space:  global
        .offset:         16
        .size:           8
        .value_kind:     global_buffer
      - .address_space:  global
        .offset:         24
        .size:           8
        .value_kind:     global_buffer
      - .address_space:  global
        .offset:         32
        .size:           8
        .value_kind:     global_buffer
      - .address_space:  global
        .offset:         40
        .size:           8
        .value_kind:     global_buffer
      - .address_space:  global
        .offset:         48
        .size:           8
        .value_kind:     global_buffer
      - .address_space:  global
        .offset:         56
        .size:           8
        .value_kind:     global_buffer
    .group_segment_fixed_size: 0
    .kernarg_segment_align: 8
    .kernarg_segment_size: 64
    .language:       OpenCL C
    .language_version:
      - 2
      - 0
    .max_flat_workgroup_size: 1024
    .name:           _ZN2at6native12_GLOBAL__N_128vectorized_layer_norm_kernelIddLb1EEEviT0_PKT_S6_S6_PS3_S7_PS4_
    .private_segment_fixed_size: 0
    .sgpr_count:     4
    .sgpr_spill_count: 0
    .symbol:         _ZN2at6native12_GLOBAL__N_128vectorized_layer_norm_kernelIddLb1EEEviT0_PKT_S6_S6_PS3_S7_PS4_.kd
    .uniform_work_group_size: 1
    .uses_dynamic_stack: false
    .vgpr_count:     0
    .vgpr_spill_count: 0
    .wavefront_size: 64
  - .args:
      - .offset:         0
        .size:           8
        .value_kind:     by_value
      - .offset:         8
        .size:           8
        .value_kind:     by_value
      - .address_space:  global
        .offset:         16
        .size:           8
        .value_kind:     global_buffer
      - .address_space:  global
        .offset:         24
        .size:           8
        .value_kind:     global_buffer
      - .address_space:  global
        .offset:         32
        .size:           8
        .value_kind:     global_buffer
      - .offset:         40
        .size:           4
        .value_kind:     hidden_block_count_x
      - .offset:         44
        .size:           4
        .value_kind:     hidden_block_count_y
      - .offset:         48
        .size:           4
        .value_kind:     hidden_block_count_z
      - .offset:         52
        .size:           2
        .value_kind:     hidden_group_size_x
      - .offset:         54
        .size:           2
        .value_kind:     hidden_group_size_y
      - .offset:         56
        .size:           2
        .value_kind:     hidden_group_size_z
      - .offset:         58
        .size:           2
        .value_kind:     hidden_remainder_x
      - .offset:         60
        .size:           2
        .value_kind:     hidden_remainder_y
      - .offset:         62
        .size:           2
        .value_kind:     hidden_remainder_z
      - .offset:         80
        .size:           8
        .value_kind:     hidden_global_offset_x
      - .offset:         88
        .size:           8
        .value_kind:     hidden_global_offset_y
      - .offset:         96
        .size:           8
        .value_kind:     hidden_global_offset_z
      - .offset:         104
        .size:           2
        .value_kind:     hidden_grid_dims
    .group_segment_fixed_size: 2048
    .kernarg_segment_align: 8
    .kernarg_segment_size: 296
    .language:       OpenCL C
    .language_version:
      - 2
      - 0
    .max_flat_workgroup_size: 1024
    .name:           _ZN2at6native12_GLOBAL__N_124RowwiseMomentsCUDAKernelIddLb1EEEvlT0_PKT_PS3_S7_
    .private_segment_fixed_size: 0
    .sgpr_count:     22
    .sgpr_spill_count: 0
    .symbol:         _ZN2at6native12_GLOBAL__N_124RowwiseMomentsCUDAKernelIddLb1EEEvlT0_PKT_PS3_S7_.kd
    .uniform_work_group_size: 1
    .uses_dynamic_stack: false
    .vgpr_count:     31
    .vgpr_spill_count: 0
    .wavefront_size: 64
  - .args:
      - .offset:         0
        .size:           8
        .value_kind:     by_value
      - .address_space:  global
        .offset:         8
        .size:           8
        .value_kind:     global_buffer
      - .address_space:  global
        .offset:         16
        .size:           8
        .value_kind:     global_buffer
      - .address_space:  global
        .offset:         24
        .size:           8
        .value_kind:     global_buffer
      - .address_space:  global
        .offset:         32
        .size:           8
        .value_kind:     global_buffer
      - .address_space:  global
        .offset:         40
        .size:           8
        .value_kind:     global_buffer
      - .address_space:  global
        .offset:         48
        .size:           8
        .value_kind:     global_buffer
      - .offset:         56
        .size:           4
        .value_kind:     hidden_block_count_x
      - .offset:         60
        .size:           4
        .value_kind:     hidden_block_count_y
      - .offset:         64
        .size:           4
        .value_kind:     hidden_block_count_z
      - .offset:         68
        .size:           2
        .value_kind:     hidden_group_size_x
      - .offset:         70
        .size:           2
        .value_kind:     hidden_group_size_y
      - .offset:         72
        .size:           2
        .value_kind:     hidden_group_size_z
      - .offset:         74
        .size:           2
        .value_kind:     hidden_remainder_x
      - .offset:         76
        .size:           2
        .value_kind:     hidden_remainder_y
      - .offset:         78
        .size:           2
        .value_kind:     hidden_remainder_z
      - .offset:         96
        .size:           8
        .value_kind:     hidden_global_offset_x
      - .offset:         104
        .size:           8
        .value_kind:     hidden_global_offset_y
      - .offset:         112
        .size:           8
        .value_kind:     hidden_global_offset_z
      - .offset:         120
        .size:           2
        .value_kind:     hidden_grid_dims
    .group_segment_fixed_size: 0
    .kernarg_segment_align: 8
    .kernarg_segment_size: 312
    .language:       OpenCL C
    .language_version:
      - 2
      - 0
    .max_flat_workgroup_size: 1024
    .name:           _ZN2at6native12_GLOBAL__N_126LayerNormForwardCUDAKernelIddLb1EEEvlPKT_PKT0_S8_S5_S5_PS3_
    .private_segment_fixed_size: 0
    .sgpr_count:     23
    .sgpr_spill_count: 0
    .symbol:         _ZN2at6native12_GLOBAL__N_126LayerNormForwardCUDAKernelIddLb1EEEvlPKT_PKT0_S8_S5_S5_PS3_.kd
    .uniform_work_group_size: 1
    .uses_dynamic_stack: false
    .vgpr_count:     16
    .vgpr_spill_count: 0
    .wavefront_size: 64
  - .args:
      - .offset:         0
        .size:           4
        .value_kind:     by_value
      - .offset:         4
        .size:           4
        .value_kind:     by_value
      - .actual_access:  read_only
        .address_space:  global
        .offset:         8
        .size:           8
        .value_kind:     global_buffer
      - .address_space:  global
        .offset:         16
        .size:           8
        .value_kind:     global_buffer
      - .address_space:  global
        .offset:         24
        .size:           8
        .value_kind:     global_buffer
      - .address_space:  global
        .offset:         32
        .size:           8
        .value_kind:     global_buffer
      - .address_space:  global
        .offset:         40
        .size:           8
        .value_kind:     global_buffer
      - .address_space:  global
        .offset:         48
        .size:           8
        .value_kind:     global_buffer
      - .offset:         56
        .size:           4
        .value_kind:     hidden_block_count_x
      - .offset:         60
        .size:           4
        .value_kind:     hidden_block_count_y
      - .offset:         64
        .size:           4
        .value_kind:     hidden_block_count_z
      - .offset:         68
        .size:           2
        .value_kind:     hidden_group_size_x
      - .offset:         70
        .size:           2
        .value_kind:     hidden_group_size_y
      - .offset:         72
        .size:           2
        .value_kind:     hidden_group_size_z
      - .offset:         74
        .size:           2
        .value_kind:     hidden_remainder_x
      - .offset:         76
        .size:           2
        .value_kind:     hidden_remainder_y
      - .offset:         78
        .size:           2
        .value_kind:     hidden_remainder_z
      - .offset:         96
        .size:           8
        .value_kind:     hidden_global_offset_x
      - .offset:         104
        .size:           8
        .value_kind:     hidden_global_offset_y
      - .offset:         112
        .size:           8
        .value_kind:     hidden_global_offset_z
      - .offset:         120
        .size:           2
        .value_kind:     hidden_grid_dims
      - .offset:         176
        .size:           4
        .value_kind:     hidden_dynamic_lds_size
    .group_segment_fixed_size: 0
    .kernarg_segment_align: 8
    .kernarg_segment_size: 312
    .language:       OpenCL C
    .language_version:
      - 2
      - 0
    .max_flat_workgroup_size: 1024
    .name:           _ZN2at6native12_GLOBAL__N_128vectorized_layer_norm_kernelIffLb1EEEviT0_PKT_S6_S6_PS3_S7_PS4_
    .private_segment_fixed_size: 0
    .sgpr_count:     33
    .sgpr_spill_count: 0
    .symbol:         _ZN2at6native12_GLOBAL__N_128vectorized_layer_norm_kernelIffLb1EEEviT0_PKT_S6_S6_PS3_S7_PS4_.kd
    .uniform_work_group_size: 1
    .uses_dynamic_stack: false
    .vgpr_count:     17
    .vgpr_spill_count: 0
    .wavefront_size: 64
  - .args:
      - .offset:         0
        .size:           8
        .value_kind:     by_value
      - .offset:         8
        .size:           4
        .value_kind:     by_value
      - .address_space:  global
        .offset:         16
        .size:           8
        .value_kind:     global_buffer
      - .address_space:  global
        .offset:         24
        .size:           8
        .value_kind:     global_buffer
      - .address_space:  global
        .offset:         32
        .size:           8
        .value_kind:     global_buffer
      - .offset:         40
        .size:           4
        .value_kind:     hidden_block_count_x
      - .offset:         44
        .size:           4
        .value_kind:     hidden_block_count_y
      - .offset:         48
        .size:           4
        .value_kind:     hidden_block_count_z
      - .offset:         52
        .size:           2
        .value_kind:     hidden_group_size_x
      - .offset:         54
        .size:           2
        .value_kind:     hidden_group_size_y
      - .offset:         56
        .size:           2
        .value_kind:     hidden_group_size_z
      - .offset:         58
        .size:           2
        .value_kind:     hidden_remainder_x
      - .offset:         60
        .size:           2
        .value_kind:     hidden_remainder_y
      - .offset:         62
        .size:           2
        .value_kind:     hidden_remainder_z
      - .offset:         80
        .size:           8
        .value_kind:     hidden_global_offset_x
      - .offset:         88
        .size:           8
        .value_kind:     hidden_global_offset_y
      - .offset:         96
        .size:           8
        .value_kind:     hidden_global_offset_z
      - .offset:         104
        .size:           2
        .value_kind:     hidden_grid_dims
    .group_segment_fixed_size: 1536
    .kernarg_segment_align: 8
    .kernarg_segment_size: 296
    .language:       OpenCL C
    .language_version:
      - 2
      - 0
    .max_flat_workgroup_size: 1024
    .name:           _ZN2at6native12_GLOBAL__N_124RowwiseMomentsCUDAKernelIffLb1EEEvlT0_PKT_PS3_S7_
    .private_segment_fixed_size: 0
    .sgpr_count:     21
    .sgpr_spill_count: 0
    .symbol:         _ZN2at6native12_GLOBAL__N_124RowwiseMomentsCUDAKernelIffLb1EEEvlT0_PKT_PS3_S7_.kd
    .uniform_work_group_size: 1
    .uses_dynamic_stack: false
    .vgpr_count:     20
    .vgpr_spill_count: 0
    .wavefront_size: 64
  - .args:
      - .offset:         0
        .size:           8
        .value_kind:     by_value
      - .address_space:  global
        .offset:         8
        .size:           8
        .value_kind:     global_buffer
      - .address_space:  global
        .offset:         16
        .size:           8
        .value_kind:     global_buffer
      - .address_space:  global
        .offset:         24
        .size:           8
        .value_kind:     global_buffer
      - .address_space:  global
        .offset:         32
        .size:           8
        .value_kind:     global_buffer
      - .address_space:  global
        .offset:         40
        .size:           8
        .value_kind:     global_buffer
      - .address_space:  global
        .offset:         48
        .size:           8
        .value_kind:     global_buffer
      - .offset:         56
        .size:           4
        .value_kind:     hidden_block_count_x
      - .offset:         60
        .size:           4
        .value_kind:     hidden_block_count_y
      - .offset:         64
        .size:           4
        .value_kind:     hidden_block_count_z
      - .offset:         68
        .size:           2
        .value_kind:     hidden_group_size_x
      - .offset:         70
        .size:           2
        .value_kind:     hidden_group_size_y
      - .offset:         72
        .size:           2
        .value_kind:     hidden_group_size_z
      - .offset:         74
        .size:           2
        .value_kind:     hidden_remainder_x
      - .offset:         76
        .size:           2
        .value_kind:     hidden_remainder_y
      - .offset:         78
        .size:           2
        .value_kind:     hidden_remainder_z
      - .offset:         96
        .size:           8
        .value_kind:     hidden_global_offset_x
      - .offset:         104
        .size:           8
        .value_kind:     hidden_global_offset_y
      - .offset:         112
        .size:           8
        .value_kind:     hidden_global_offset_z
      - .offset:         120
        .size:           2
        .value_kind:     hidden_grid_dims
    .group_segment_fixed_size: 0
    .kernarg_segment_align: 8
    .kernarg_segment_size: 312
    .language:       OpenCL C
    .language_version:
      - 2
      - 0
    .max_flat_workgroup_size: 1024
    .name:           _ZN2at6native12_GLOBAL__N_126LayerNormForwardCUDAKernelIffLb1EEEvlPKT_PKT0_S8_S5_S5_PS3_
    .private_segment_fixed_size: 0
    .sgpr_count:     23
    .sgpr_spill_count: 0
    .symbol:         _ZN2at6native12_GLOBAL__N_126LayerNormForwardCUDAKernelIffLb1EEEvlPKT_PKT0_S8_S5_S5_PS3_.kd
    .uniform_work_group_size: 1
    .uses_dynamic_stack: false
    .vgpr_count:     12
    .vgpr_spill_count: 0
    .wavefront_size: 64
  - .args:
      - .offset:         0
        .size:           4
        .value_kind:     by_value
      - .offset:         4
        .size:           4
        .value_kind:     by_value
      - .actual_access:  read_only
        .address_space:  global
        .offset:         8
        .size:           8
        .value_kind:     global_buffer
      - .address_space:  global
        .offset:         16
        .size:           8
        .value_kind:     global_buffer
      - .address_space:  global
        .offset:         24
        .size:           8
        .value_kind:     global_buffer
      - .address_space:  global
        .offset:         32
        .size:           8
        .value_kind:     global_buffer
      - .address_space:  global
        .offset:         40
        .size:           8
        .value_kind:     global_buffer
      - .address_space:  global
        .offset:         48
        .size:           8
        .value_kind:     global_buffer
      - .offset:         56
        .size:           4
        .value_kind:     hidden_block_count_x
      - .offset:         60
        .size:           4
        .value_kind:     hidden_block_count_y
      - .offset:         64
        .size:           4
        .value_kind:     hidden_block_count_z
      - .offset:         68
        .size:           2
        .value_kind:     hidden_group_size_x
      - .offset:         70
        .size:           2
        .value_kind:     hidden_group_size_y
      - .offset:         72
        .size:           2
        .value_kind:     hidden_group_size_z
      - .offset:         74
        .size:           2
        .value_kind:     hidden_remainder_x
      - .offset:         76
        .size:           2
        .value_kind:     hidden_remainder_y
      - .offset:         78
        .size:           2
        .value_kind:     hidden_remainder_z
      - .offset:         96
        .size:           8
        .value_kind:     hidden_global_offset_x
      - .offset:         104
        .size:           8
        .value_kind:     hidden_global_offset_y
      - .offset:         112
        .size:           8
        .value_kind:     hidden_global_offset_z
      - .offset:         120
        .size:           2
        .value_kind:     hidden_grid_dims
      - .offset:         176
        .size:           4
        .value_kind:     hidden_dynamic_lds_size
    .group_segment_fixed_size: 0
    .kernarg_segment_align: 8
    .kernarg_segment_size: 312
    .language:       OpenCL C
    .language_version:
      - 2
      - 0
    .max_flat_workgroup_size: 1024
    .name:           _ZN2at6native12_GLOBAL__N_128vectorized_layer_norm_kernelIN3c104HalfEfLb1EEEviT0_PKT_S8_S8_PS5_S9_PS6_
    .private_segment_fixed_size: 0
    .sgpr_count:     34
    .sgpr_spill_count: 0
    .symbol:         _ZN2at6native12_GLOBAL__N_128vectorized_layer_norm_kernelIN3c104HalfEfLb1EEEviT0_PKT_S8_S8_PS5_S9_PS6_.kd
    .uniform_work_group_size: 1
    .uses_dynamic_stack: false
    .vgpr_count:     20
    .vgpr_spill_count: 0
    .wavefront_size: 64
  - .args:
      - .offset:         0
        .size:           8
        .value_kind:     by_value
      - .offset:         8
        .size:           4
        .value_kind:     by_value
      - .address_space:  global
        .offset:         16
        .size:           8
        .value_kind:     global_buffer
      - .address_space:  global
        .offset:         24
        .size:           8
        .value_kind:     global_buffer
      - .address_space:  global
        .offset:         32
        .size:           8
        .value_kind:     global_buffer
      - .offset:         40
        .size:           4
        .value_kind:     hidden_block_count_x
      - .offset:         44
        .size:           4
        .value_kind:     hidden_block_count_y
      - .offset:         48
        .size:           4
        .value_kind:     hidden_block_count_z
      - .offset:         52
        .size:           2
        .value_kind:     hidden_group_size_x
      - .offset:         54
        .size:           2
        .value_kind:     hidden_group_size_y
      - .offset:         56
        .size:           2
        .value_kind:     hidden_group_size_z
      - .offset:         58
        .size:           2
        .value_kind:     hidden_remainder_x
      - .offset:         60
        .size:           2
        .value_kind:     hidden_remainder_y
      - .offset:         62
        .size:           2
        .value_kind:     hidden_remainder_z
      - .offset:         80
        .size:           8
        .value_kind:     hidden_global_offset_x
      - .offset:         88
        .size:           8
        .value_kind:     hidden_global_offset_y
      - .offset:         96
        .size:           8
        .value_kind:     hidden_global_offset_z
      - .offset:         104
        .size:           2
        .value_kind:     hidden_grid_dims
    .group_segment_fixed_size: 1536
    .kernarg_segment_align: 8
    .kernarg_segment_size: 296
    .language:       OpenCL C
    .language_version:
      - 2
      - 0
    .max_flat_workgroup_size: 1024
    .name:           _ZN2at6native12_GLOBAL__N_124RowwiseMomentsCUDAKernelIN3c104HalfEfLb1EEEvlT0_PKT_PS5_S9_
    .private_segment_fixed_size: 0
    .sgpr_count:     21
    .sgpr_spill_count: 0
    .symbol:         _ZN2at6native12_GLOBAL__N_124RowwiseMomentsCUDAKernelIN3c104HalfEfLb1EEEvlT0_PKT_PS5_S9_.kd
    .uniform_work_group_size: 1
    .uses_dynamic_stack: false
    .vgpr_count:     20
    .vgpr_spill_count: 0
    .wavefront_size: 64
  - .args:
      - .offset:         0
        .size:           8
        .value_kind:     by_value
      - .address_space:  global
        .offset:         8
        .size:           8
        .value_kind:     global_buffer
      - .address_space:  global
        .offset:         16
        .size:           8
        .value_kind:     global_buffer
      - .address_space:  global
        .offset:         24
        .size:           8
        .value_kind:     global_buffer
      - .address_space:  global
        .offset:         32
        .size:           8
        .value_kind:     global_buffer
      - .address_space:  global
        .offset:         40
        .size:           8
        .value_kind:     global_buffer
      - .address_space:  global
        .offset:         48
        .size:           8
        .value_kind:     global_buffer
      - .offset:         56
        .size:           4
        .value_kind:     hidden_block_count_x
      - .offset:         60
        .size:           4
        .value_kind:     hidden_block_count_y
      - .offset:         64
        .size:           4
        .value_kind:     hidden_block_count_z
      - .offset:         68
        .size:           2
        .value_kind:     hidden_group_size_x
      - .offset:         70
        .size:           2
        .value_kind:     hidden_group_size_y
      - .offset:         72
        .size:           2
        .value_kind:     hidden_group_size_z
      - .offset:         74
        .size:           2
        .value_kind:     hidden_remainder_x
      - .offset:         76
        .size:           2
        .value_kind:     hidden_remainder_y
      - .offset:         78
        .size:           2
        .value_kind:     hidden_remainder_z
      - .offset:         96
        .size:           8
        .value_kind:     hidden_global_offset_x
      - .offset:         104
        .size:           8
        .value_kind:     hidden_global_offset_y
      - .offset:         112
        .size:           8
        .value_kind:     hidden_global_offset_z
      - .offset:         120
        .size:           2
        .value_kind:     hidden_grid_dims
    .group_segment_fixed_size: 0
    .kernarg_segment_align: 8
    .kernarg_segment_size: 312
    .language:       OpenCL C
    .language_version:
      - 2
      - 0
    .max_flat_workgroup_size: 1024
    .name:           _ZN2at6native12_GLOBAL__N_126LayerNormForwardCUDAKernelIN3c104HalfEfLb1EEEvlPKT_PKT0_SA_S7_S7_PS5_
    .private_segment_fixed_size: 0
    .sgpr_count:     23
    .sgpr_spill_count: 0
    .symbol:         _ZN2at6native12_GLOBAL__N_126LayerNormForwardCUDAKernelIN3c104HalfEfLb1EEEvlPKT_PKT0_SA_S7_S7_PS5_.kd
    .uniform_work_group_size: 1
    .uses_dynamic_stack: false
    .vgpr_count:     10
    .vgpr_spill_count: 0
    .wavefront_size: 64
  - .args:
      - .offset:         0
        .size:           4
        .value_kind:     by_value
      - .offset:         4
        .size:           4
        .value_kind:     by_value
      - .actual_access:  read_only
        .address_space:  global
        .offset:         8
        .size:           8
        .value_kind:     global_buffer
      - .address_space:  global
        .offset:         16
        .size:           8
        .value_kind:     global_buffer
      - .address_space:  global
        .offset:         24
        .size:           8
        .value_kind:     global_buffer
      - .address_space:  global
        .offset:         32
        .size:           8
        .value_kind:     global_buffer
      - .address_space:  global
        .offset:         40
        .size:           8
        .value_kind:     global_buffer
      - .address_space:  global
        .offset:         48
        .size:           8
        .value_kind:     global_buffer
      - .offset:         56
        .size:           4
        .value_kind:     hidden_block_count_x
      - .offset:         60
        .size:           4
        .value_kind:     hidden_block_count_y
      - .offset:         64
        .size:           4
        .value_kind:     hidden_block_count_z
      - .offset:         68
        .size:           2
        .value_kind:     hidden_group_size_x
      - .offset:         70
        .size:           2
        .value_kind:     hidden_group_size_y
      - .offset:         72
        .size:           2
        .value_kind:     hidden_group_size_z
      - .offset:         74
        .size:           2
        .value_kind:     hidden_remainder_x
      - .offset:         76
        .size:           2
        .value_kind:     hidden_remainder_y
      - .offset:         78
        .size:           2
        .value_kind:     hidden_remainder_z
      - .offset:         96
        .size:           8
        .value_kind:     hidden_global_offset_x
      - .offset:         104
        .size:           8
        .value_kind:     hidden_global_offset_y
      - .offset:         112
        .size:           8
        .value_kind:     hidden_global_offset_z
      - .offset:         120
        .size:           2
        .value_kind:     hidden_grid_dims
      - .offset:         176
        .size:           4
        .value_kind:     hidden_dynamic_lds_size
    .group_segment_fixed_size: 0
    .kernarg_segment_align: 8
    .kernarg_segment_size: 312
    .language:       OpenCL C
    .language_version:
      - 2
      - 0
    .max_flat_workgroup_size: 1024
    .name:           _ZN2at6native12_GLOBAL__N_128vectorized_layer_norm_kernelIN3c108BFloat16EfLb1EEEviT0_PKT_S8_S8_PS5_S9_PS6_
    .private_segment_fixed_size: 0
    .sgpr_count:     33
    .sgpr_spill_count: 0
    .symbol:         _ZN2at6native12_GLOBAL__N_128vectorized_layer_norm_kernelIN3c108BFloat16EfLb1EEEviT0_PKT_S8_S8_PS5_S9_PS6_.kd
    .uniform_work_group_size: 1
    .uses_dynamic_stack: false
    .vgpr_count:     22
    .vgpr_spill_count: 0
    .wavefront_size: 64
  - .args:
      - .offset:         0
        .size:           8
        .value_kind:     by_value
      - .offset:         8
        .size:           4
        .value_kind:     by_value
      - .address_space:  global
        .offset:         16
        .size:           8
        .value_kind:     global_buffer
      - .address_space:  global
        .offset:         24
        .size:           8
        .value_kind:     global_buffer
      - .address_space:  global
        .offset:         32
        .size:           8
        .value_kind:     global_buffer
      - .offset:         40
        .size:           4
        .value_kind:     hidden_block_count_x
      - .offset:         44
        .size:           4
        .value_kind:     hidden_block_count_y
      - .offset:         48
        .size:           4
        .value_kind:     hidden_block_count_z
      - .offset:         52
        .size:           2
        .value_kind:     hidden_group_size_x
      - .offset:         54
        .size:           2
        .value_kind:     hidden_group_size_y
      - .offset:         56
        .size:           2
        .value_kind:     hidden_group_size_z
      - .offset:         58
        .size:           2
        .value_kind:     hidden_remainder_x
      - .offset:         60
        .size:           2
        .value_kind:     hidden_remainder_y
      - .offset:         62
        .size:           2
        .value_kind:     hidden_remainder_z
      - .offset:         80
        .size:           8
        .value_kind:     hidden_global_offset_x
      - .offset:         88
        .size:           8
        .value_kind:     hidden_global_offset_y
      - .offset:         96
        .size:           8
        .value_kind:     hidden_global_offset_z
      - .offset:         104
        .size:           2
        .value_kind:     hidden_grid_dims
    .group_segment_fixed_size: 1536
    .kernarg_segment_align: 8
    .kernarg_segment_size: 296
    .language:       OpenCL C
    .language_version:
      - 2
      - 0
    .max_flat_workgroup_size: 1024
    .name:           _ZN2at6native12_GLOBAL__N_124RowwiseMomentsCUDAKernelIN3c108BFloat16EfLb1EEEvlT0_PKT_PS5_S9_
    .private_segment_fixed_size: 0
    .sgpr_count:     21
    .sgpr_spill_count: 0
    .symbol:         _ZN2at6native12_GLOBAL__N_124RowwiseMomentsCUDAKernelIN3c108BFloat16EfLb1EEEvlT0_PKT_PS5_S9_.kd
    .uniform_work_group_size: 1
    .uses_dynamic_stack: false
    .vgpr_count:     20
    .vgpr_spill_count: 0
    .wavefront_size: 64
  - .args:
      - .offset:         0
        .size:           8
        .value_kind:     by_value
      - .address_space:  global
        .offset:         8
        .size:           8
        .value_kind:     global_buffer
      - .address_space:  global
        .offset:         16
        .size:           8
        .value_kind:     global_buffer
      - .address_space:  global
        .offset:         24
        .size:           8
        .value_kind:     global_buffer
      - .address_space:  global
        .offset:         32
        .size:           8
        .value_kind:     global_buffer
      - .address_space:  global
        .offset:         40
        .size:           8
        .value_kind:     global_buffer
      - .address_space:  global
        .offset:         48
        .size:           8
        .value_kind:     global_buffer
      - .offset:         56
        .size:           4
        .value_kind:     hidden_block_count_x
      - .offset:         60
        .size:           4
        .value_kind:     hidden_block_count_y
      - .offset:         64
        .size:           4
        .value_kind:     hidden_block_count_z
      - .offset:         68
        .size:           2
        .value_kind:     hidden_group_size_x
      - .offset:         70
        .size:           2
        .value_kind:     hidden_group_size_y
      - .offset:         72
        .size:           2
        .value_kind:     hidden_group_size_z
      - .offset:         74
        .size:           2
        .value_kind:     hidden_remainder_x
      - .offset:         76
        .size:           2
        .value_kind:     hidden_remainder_y
      - .offset:         78
        .size:           2
        .value_kind:     hidden_remainder_z
      - .offset:         96
        .size:           8
        .value_kind:     hidden_global_offset_x
      - .offset:         104
        .size:           8
        .value_kind:     hidden_global_offset_y
      - .offset:         112
        .size:           8
        .value_kind:     hidden_global_offset_z
      - .offset:         120
        .size:           2
        .value_kind:     hidden_grid_dims
    .group_segment_fixed_size: 0
    .kernarg_segment_align: 8
    .kernarg_segment_size: 312
    .language:       OpenCL C
    .language_version:
      - 2
      - 0
    .max_flat_workgroup_size: 1024
    .name:           _ZN2at6native12_GLOBAL__N_126LayerNormForwardCUDAKernelIN3c108BFloat16EfLb1EEEvlPKT_PKT0_SA_S7_S7_PS5_
    .private_segment_fixed_size: 0
    .sgpr_count:     23
    .sgpr_spill_count: 0
    .symbol:         _ZN2at6native12_GLOBAL__N_126LayerNormForwardCUDAKernelIN3c108BFloat16EfLb1EEEvlPKT_PKT0_SA_S7_S7_PS5_.kd
    .uniform_work_group_size: 1
    .uses_dynamic_stack: false
    .vgpr_count:     11
    .vgpr_spill_count: 0
    .wavefront_size: 64
  - .args:
      - .actual_access:  read_only
        .address_space:  global
        .offset:         0
        .size:           8
        .value_kind:     global_buffer
      - .actual_access:  read_only
        .address_space:  global
        .offset:         8
        .size:           8
        .value_kind:     global_buffer
      - .offset:         16
        .size:           8
        .value_kind:     by_value
      - .offset:         24
        .size:           8
        .value_kind:     by_value
      - .actual_access:  read_only
        .address_space:  global
        .offset:         32
        .size:           8
        .value_kind:     global_buffer
      - .actual_access:  read_only
        .address_space:  global
        .offset:         40
        .size:           8
        .value_kind:     global_buffer
      - .address_space:  global
        .offset:         48
        .size:           8
        .value_kind:     global_buffer
      - .address_space:  global
        .offset:         56
        .size:           8
        .value_kind:     global_buffer
      - .offset:         64
        .size:           4
        .value_kind:     hidden_block_count_x
      - .offset:         68
        .size:           4
        .value_kind:     hidden_block_count_y
      - .offset:         72
        .size:           4
        .value_kind:     hidden_block_count_z
      - .offset:         76
        .size:           2
        .value_kind:     hidden_group_size_x
      - .offset:         78
        .size:           2
        .value_kind:     hidden_group_size_y
      - .offset:         80
        .size:           2
        .value_kind:     hidden_group_size_z
      - .offset:         82
        .size:           2
        .value_kind:     hidden_remainder_x
      - .offset:         84
        .size:           2
        .value_kind:     hidden_remainder_y
      - .offset:         86
        .size:           2
        .value_kind:     hidden_remainder_z
      - .offset:         104
        .size:           8
        .value_kind:     hidden_global_offset_x
      - .offset:         112
        .size:           8
        .value_kind:     hidden_global_offset_y
      - .offset:         120
        .size:           8
        .value_kind:     hidden_global_offset_z
      - .offset:         128
        .size:           2
        .value_kind:     hidden_grid_dims
      - .offset:         184
        .size:           4
        .value_kind:     hidden_dynamic_lds_size
    .group_segment_fixed_size: 0
    .kernarg_segment_align: 8
    .kernarg_segment_size: 320
    .language:       OpenCL C
    .language_version:
      - 2
      - 0
    .max_flat_workgroup_size: 1024
    .name:           _ZN2at6native12_GLOBAL__N_118cuComputeGradInputIddLb0EEEvPKT_S5_llPKT0_S8_S5_PS3_
    .private_segment_fixed_size: 0
    .sgpr_count:     57
    .sgpr_spill_count: 0
    .symbol:         _ZN2at6native12_GLOBAL__N_118cuComputeGradInputIddLb0EEEvPKT_S5_llPKT0_S8_S5_PS3_.kd
    .uniform_work_group_size: 1
    .uses_dynamic_stack: false
    .vgpr_count:     29
    .vgpr_spill_count: 0
    .wavefront_size: 64
  - .args:
      - .actual_access:  read_only
        .address_space:  global
        .offset:         0
        .size:           8
        .value_kind:     global_buffer
      - .actual_access:  read_only
        .address_space:  global
        .offset:         8
        .size:           8
        .value_kind:     global_buffer
      - .actual_access:  read_only
        .address_space:  global
        .offset:         16
        .size:           8
        .value_kind:     global_buffer
      - .actual_access:  read_only
        .address_space:  global
        .offset:         24
        .size:           8
        .value_kind:     global_buffer
      - .actual_access:  read_only
        .address_space:  global
        .offset:         32
        .size:           8
        .value_kind:     global_buffer
      - .address_space:  global
        .offset:         40
        .size:           8
        .value_kind:     global_buffer
      - .offset:         48
        .size:           4
        .value_kind:     by_value
      - .offset:         56
        .size:           4
        .value_kind:     hidden_block_count_x
      - .offset:         60
        .size:           4
        .value_kind:     hidden_block_count_y
      - .offset:         64
        .size:           4
        .value_kind:     hidden_block_count_z
      - .offset:         68
        .size:           2
        .value_kind:     hidden_group_size_x
      - .offset:         70
        .size:           2
        .value_kind:     hidden_group_size_y
      - .offset:         72
        .size:           2
        .value_kind:     hidden_group_size_z
      - .offset:         74
        .size:           2
        .value_kind:     hidden_remainder_x
      - .offset:         76
        .size:           2
        .value_kind:     hidden_remainder_y
      - .offset:         78
        .size:           2
        .value_kind:     hidden_remainder_z
      - .offset:         96
        .size:           8
        .value_kind:     hidden_global_offset_x
      - .offset:         104
        .size:           8
        .value_kind:     hidden_global_offset_y
      - .offset:         112
        .size:           8
        .value_kind:     hidden_global_offset_z
      - .offset:         120
        .size:           2
        .value_kind:     hidden_grid_dims
      - .offset:         176
        .size:           4
        .value_kind:     hidden_dynamic_lds_size
    .group_segment_fixed_size: 0
    .kernarg_segment_align: 8
    .kernarg_segment_size: 312
    .language:       OpenCL C
    .language_version:
      - 2
      - 0
    .max_flat_workgroup_size: 1024
    .name:           _ZN2at6native12_GLOBAL__N_128layer_norm_grad_input_kernelIddLb0EEEvPKT_S5_PKT0_S8_S5_PS3_i
    .private_segment_fixed_size: 0
    .sgpr_count:     32
    .sgpr_spill_count: 0
    .symbol:         _ZN2at6native12_GLOBAL__N_128layer_norm_grad_input_kernelIddLb0EEEvPKT_S5_PKT0_S8_S5_PS3_i.kd
    .uniform_work_group_size: 1
    .uses_dynamic_stack: false
    .vgpr_count:     35
    .vgpr_spill_count: 0
    .wavefront_size: 64
  - .args:
      - .offset:         0
        .size:           8
        .value_kind:     by_value
      - .offset:         8
        .size:           8
        .value_kind:     by_value
      - .address_space:  global
        .offset:         16
        .size:           8
        .value_kind:     global_buffer
      - .address_space:  global
        .offset:         24
        .size:           8
        .value_kind:     global_buffer
      - .address_space:  global
        .offset:         32
        .size:           8
        .value_kind:     global_buffer
      - .address_space:  global
        .offset:         40
        .size:           8
        .value_kind:     global_buffer
      - .address_space:  global
        .offset:         48
        .size:           8
        .value_kind:     global_buffer
      - .address_space:  global
        .offset:         56
        .size:           8
        .value_kind:     global_buffer
      - .offset:         64
        .size:           4
        .value_kind:     hidden_block_count_x
      - .offset:         68
        .size:           4
        .value_kind:     hidden_block_count_y
      - .offset:         72
        .size:           4
        .value_kind:     hidden_block_count_z
      - .offset:         76
        .size:           2
        .value_kind:     hidden_group_size_x
      - .offset:         78
        .size:           2
        .value_kind:     hidden_group_size_y
      - .offset:         80
        .size:           2
        .value_kind:     hidden_group_size_z
      - .offset:         82
        .size:           2
        .value_kind:     hidden_remainder_x
      - .offset:         84
        .size:           2
        .value_kind:     hidden_remainder_y
      - .offset:         86
        .size:           2
        .value_kind:     hidden_remainder_z
      - .offset:         104
        .size:           8
        .value_kind:     hidden_global_offset_x
      - .offset:         112
        .size:           8
        .value_kind:     hidden_global_offset_y
      - .offset:         120
        .size:           8
        .value_kind:     hidden_global_offset_z
      - .offset:         128
        .size:           2
        .value_kind:     hidden_grid_dims
    .group_segment_fixed_size: 0
    .kernarg_segment_align: 8
    .kernarg_segment_size: 320
    .language:       OpenCL C
    .language_version:
      - 2
      - 0
    .max_flat_workgroup_size: 1024
    .name:           _ZN2at6native12_GLOBAL__N_133GammaBetaBackwardSimpleCUDAKernelIddLb0EEEvllPKT_S5_PKT0_S8_PS3_S9_
    .private_segment_fixed_size: 0
    .sgpr_count:     28
    .sgpr_spill_count: 0
    .symbol:         _ZN2at6native12_GLOBAL__N_133GammaBetaBackwardSimpleCUDAKernelIddLb0EEEvllPKT_S5_PKT0_S8_PS3_S9_.kd
    .uniform_work_group_size: 1
    .uses_dynamic_stack: false
    .vgpr_count:     13
    .vgpr_spill_count: 0
    .wavefront_size: 64
  - .args:
      - .offset:         0
        .size:           8
        .value_kind:     by_value
      - .offset:         8
        .size:           8
        .value_kind:     by_value
      - .actual_access:  read_only
        .address_space:  global
        .offset:         16
        .size:           8
        .value_kind:     global_buffer
      - .actual_access:  read_only
        .address_space:  global
        .offset:         24
        .size:           8
        .value_kind:     global_buffer
      - .actual_access:  read_only
        .address_space:  global
        .offset:         32
        .size:           8
        .value_kind:     global_buffer
      - .actual_access:  read_only
        .address_space:  global
        .offset:         40
        .size:           8
        .value_kind:     global_buffer
      - .actual_access:  write_only
        .address_space:  global
        .offset:         48
        .size:           8
        .value_kind:     global_buffer
      - .actual_access:  write_only
        .address_space:  global
        .offset:         56
        .size:           8
        .value_kind:     global_buffer
      - .offset:         64
        .size:           4
        .value_kind:     hidden_block_count_x
      - .offset:         68
        .size:           4
        .value_kind:     hidden_block_count_y
      - .offset:         72
        .size:           4
        .value_kind:     hidden_block_count_z
      - .offset:         76
        .size:           2
        .value_kind:     hidden_group_size_x
      - .offset:         78
        .size:           2
        .value_kind:     hidden_group_size_y
      - .offset:         80
        .size:           2
        .value_kind:     hidden_group_size_z
      - .offset:         82
        .size:           2
        .value_kind:     hidden_remainder_x
      - .offset:         84
        .size:           2
        .value_kind:     hidden_remainder_y
      - .offset:         86
        .size:           2
        .value_kind:     hidden_remainder_z
      - .offset:         104
        .size:           8
        .value_kind:     hidden_global_offset_x
      - .offset:         112
        .size:           8
        .value_kind:     hidden_global_offset_y
      - .offset:         120
        .size:           8
        .value_kind:     hidden_global_offset_z
      - .offset:         128
        .size:           2
        .value_kind:     hidden_grid_dims
    .group_segment_fixed_size: 0
    .kernarg_segment_align: 8
    .kernarg_segment_size: 320
    .language:       OpenCL C
    .language_version:
      - 2
      - 0
    .max_flat_workgroup_size: 64
    .name:           _ZN2at6native12_GLOBAL__N_135GammaBetaBackwardCUDAKernelTemplateIddLj64ELj1ELj32ELb1ELb1ELb0EEEvllPKT_S5_PKT0_S8_PS3_S9_
    .private_segment_fixed_size: 0
    .sgpr_count:     44
    .sgpr_spill_count: 0
    .symbol:         _ZN2at6native12_GLOBAL__N_135GammaBetaBackwardCUDAKernelTemplateIddLj64ELj1ELj32ELb1ELb1ELb0EEEvllPKT_S5_PKT0_S8_PS3_S9_.kd
    .uniform_work_group_size: 1
    .uses_dynamic_stack: false
    .vgpr_count:     115
    .vgpr_spill_count: 0
    .wavefront_size: 64
  - .args:
      - .offset:         0
        .size:           8
        .value_kind:     by_value
      - .offset:         8
        .size:           8
        .value_kind:     by_value
      - .actual_access:  read_only
        .address_space:  global
        .offset:         16
        .size:           8
        .value_kind:     global_buffer
      - .actual_access:  read_only
        .address_space:  global
        .offset:         24
        .size:           8
        .value_kind:     global_buffer
      - .actual_access:  read_only
        .address_space:  global
        .offset:         32
        .size:           8
        .value_kind:     global_buffer
      - .actual_access:  read_only
        .address_space:  global
        .offset:         40
        .size:           8
        .value_kind:     global_buffer
      - .actual_access:  write_only
        .address_space:  global
        .offset:         48
        .size:           8
        .value_kind:     global_buffer
      - .actual_access:  write_only
        .address_space:  global
        .offset:         56
        .size:           8
        .value_kind:     global_buffer
      - .offset:         64
        .size:           4
        .value_kind:     hidden_block_count_x
      - .offset:         68
        .size:           4
        .value_kind:     hidden_block_count_y
      - .offset:         72
        .size:           4
        .value_kind:     hidden_block_count_z
      - .offset:         76
        .size:           2
        .value_kind:     hidden_group_size_x
      - .offset:         78
        .size:           2
        .value_kind:     hidden_group_size_y
      - .offset:         80
        .size:           2
        .value_kind:     hidden_group_size_z
      - .offset:         82
        .size:           2
        .value_kind:     hidden_remainder_x
      - .offset:         84
        .size:           2
        .value_kind:     hidden_remainder_y
      - .offset:         86
        .size:           2
        .value_kind:     hidden_remainder_z
      - .offset:         104
        .size:           8
        .value_kind:     hidden_global_offset_x
      - .offset:         112
        .size:           8
        .value_kind:     hidden_global_offset_y
      - .offset:         120
        .size:           8
        .value_kind:     hidden_global_offset_z
      - .offset:         128
        .size:           2
        .value_kind:     hidden_grid_dims
    .group_segment_fixed_size: 0
    .kernarg_segment_align: 8
    .kernarg_segment_size: 320
    .language:       OpenCL C
    .language_version:
      - 2
      - 0
    .max_flat_workgroup_size: 64
    .name:           _ZN2at6native12_GLOBAL__N_135GammaBetaBackwardCUDAKernelTemplateIddLj64ELj1ELj32ELb1ELb0ELb0EEEvllPKT_S5_PKT0_S8_PS3_S9_
    .private_segment_fixed_size: 628
    .sgpr_count:     48
    .sgpr_spill_count: 0
    .symbol:         _ZN2at6native12_GLOBAL__N_135GammaBetaBackwardCUDAKernelTemplateIddLj64ELj1ELj32ELb1ELb0ELb0EEEvllPKT_S5_PKT0_S8_PS3_S9_.kd
    .uniform_work_group_size: 1
    .uses_dynamic_stack: false
    .vgpr_count:     256
    .vgpr_spill_count: 342
    .wavefront_size: 64
  - .args:
      - .offset:         0
        .size:           8
        .value_kind:     by_value
      - .offset:         8
        .size:           8
        .value_kind:     by_value
      - .actual_access:  read_only
        .address_space:  global
        .offset:         16
        .size:           8
        .value_kind:     global_buffer
      - .actual_access:  read_only
        .address_space:  global
        .offset:         24
        .size:           8
        .value_kind:     global_buffer
      - .actual_access:  read_only
        .address_space:  global
        .offset:         32
        .size:           8
        .value_kind:     global_buffer
      - .actual_access:  read_only
        .address_space:  global
        .offset:         40
        .size:           8
        .value_kind:     global_buffer
      - .actual_access:  write_only
        .address_space:  global
        .offset:         48
        .size:           8
        .value_kind:     global_buffer
      - .actual_access:  write_only
        .address_space:  global
        .offset:         56
        .size:           8
        .value_kind:     global_buffer
      - .offset:         64
        .size:           4
        .value_kind:     hidden_block_count_x
      - .offset:         68
        .size:           4
        .value_kind:     hidden_block_count_y
      - .offset:         72
        .size:           4
        .value_kind:     hidden_block_count_z
      - .offset:         76
        .size:           2
        .value_kind:     hidden_group_size_x
      - .offset:         78
        .size:           2
        .value_kind:     hidden_group_size_y
      - .offset:         80
        .size:           2
        .value_kind:     hidden_group_size_z
      - .offset:         82
        .size:           2
        .value_kind:     hidden_remainder_x
      - .offset:         84
        .size:           2
        .value_kind:     hidden_remainder_y
      - .offset:         86
        .size:           2
        .value_kind:     hidden_remainder_z
      - .offset:         104
        .size:           8
        .value_kind:     hidden_global_offset_x
      - .offset:         112
        .size:           8
        .value_kind:     hidden_global_offset_y
      - .offset:         120
        .size:           8
        .value_kind:     hidden_global_offset_z
      - .offset:         128
        .size:           2
        .value_kind:     hidden_grid_dims
    .group_segment_fixed_size: 0
    .kernarg_segment_align: 8
    .kernarg_segment_size: 320
    .language:       OpenCL C
    .language_version:
      - 2
      - 0
    .max_flat_workgroup_size: 64
    .name:           _ZN2at6native12_GLOBAL__N_135GammaBetaBackwardCUDAKernelTemplateIddLj64ELj1ELj8ELb1ELb1ELb0EEEvllPKT_S5_PKT0_S8_PS3_S9_
    .private_segment_fixed_size: 0
    .sgpr_count:     44
    .sgpr_spill_count: 0
    .symbol:         _ZN2at6native12_GLOBAL__N_135GammaBetaBackwardCUDAKernelTemplateIddLj64ELj1ELj8ELb1ELb1ELb0EEEvllPKT_S5_PKT0_S8_PS3_S9_.kd
    .uniform_work_group_size: 1
    .uses_dynamic_stack: false
    .vgpr_count:     46
    .vgpr_spill_count: 0
    .wavefront_size: 64
  - .args:
      - .offset:         0
        .size:           8
        .value_kind:     by_value
      - .offset:         8
        .size:           8
        .value_kind:     by_value
      - .actual_access:  read_only
        .address_space:  global
        .offset:         16
        .size:           8
        .value_kind:     global_buffer
      - .actual_access:  read_only
        .address_space:  global
        .offset:         24
        .size:           8
        .value_kind:     global_buffer
      - .actual_access:  read_only
        .address_space:  global
        .offset:         32
        .size:           8
        .value_kind:     global_buffer
      - .actual_access:  read_only
        .address_space:  global
        .offset:         40
        .size:           8
        .value_kind:     global_buffer
      - .actual_access:  write_only
        .address_space:  global
        .offset:         48
        .size:           8
        .value_kind:     global_buffer
      - .actual_access:  write_only
        .address_space:  global
        .offset:         56
        .size:           8
        .value_kind:     global_buffer
      - .offset:         64
        .size:           4
        .value_kind:     hidden_block_count_x
      - .offset:         68
        .size:           4
        .value_kind:     hidden_block_count_y
      - .offset:         72
        .size:           4
        .value_kind:     hidden_block_count_z
      - .offset:         76
        .size:           2
        .value_kind:     hidden_group_size_x
      - .offset:         78
        .size:           2
        .value_kind:     hidden_group_size_y
      - .offset:         80
        .size:           2
        .value_kind:     hidden_group_size_z
      - .offset:         82
        .size:           2
        .value_kind:     hidden_remainder_x
      - .offset:         84
        .size:           2
        .value_kind:     hidden_remainder_y
      - .offset:         86
        .size:           2
        .value_kind:     hidden_remainder_z
      - .offset:         104
        .size:           8
        .value_kind:     hidden_global_offset_x
      - .offset:         112
        .size:           8
        .value_kind:     hidden_global_offset_y
      - .offset:         120
        .size:           8
        .value_kind:     hidden_global_offset_z
      - .offset:         128
        .size:           2
        .value_kind:     hidden_grid_dims
    .group_segment_fixed_size: 0
    .kernarg_segment_align: 8
    .kernarg_segment_size: 320
    .language:       OpenCL C
    .language_version:
      - 2
      - 0
    .max_flat_workgroup_size: 64
    .name:           _ZN2at6native12_GLOBAL__N_135GammaBetaBackwardCUDAKernelTemplateIddLj64ELj1ELj8ELb1ELb0ELb0EEEvllPKT_S5_PKT0_S8_PS3_S9_
    .private_segment_fixed_size: 0
    .sgpr_count:     42
    .sgpr_spill_count: 0
    .symbol:         _ZN2at6native12_GLOBAL__N_135GammaBetaBackwardCUDAKernelTemplateIddLj64ELj1ELj8ELb1ELb0ELb0EEEvllPKT_S5_PKT0_S8_PS3_S9_.kd
    .uniform_work_group_size: 1
    .uses_dynamic_stack: false
    .vgpr_count:     116
    .vgpr_spill_count: 0
    .wavefront_size: 64
  - .args:
      - .offset:         0
        .size:           8
        .value_kind:     by_value
      - .offset:         8
        .size:           8
        .value_kind:     by_value
      - .actual_access:  read_only
        .address_space:  global
        .offset:         16
        .size:           8
        .value_kind:     global_buffer
      - .actual_access:  read_only
        .address_space:  global
        .offset:         24
        .size:           8
        .value_kind:     global_buffer
      - .actual_access:  read_only
        .address_space:  global
        .offset:         32
        .size:           8
        .value_kind:     global_buffer
      - .actual_access:  read_only
        .address_space:  global
        .offset:         40
        .size:           8
        .value_kind:     global_buffer
      - .actual_access:  write_only
        .address_space:  global
        .offset:         48
        .size:           8
        .value_kind:     global_buffer
      - .actual_access:  write_only
        .address_space:  global
        .offset:         56
        .size:           8
        .value_kind:     global_buffer
      - .offset:         64
        .size:           4
        .value_kind:     hidden_block_count_x
      - .offset:         68
        .size:           4
        .value_kind:     hidden_block_count_y
      - .offset:         72
        .size:           4
        .value_kind:     hidden_block_count_z
      - .offset:         76
        .size:           2
        .value_kind:     hidden_group_size_x
      - .offset:         78
        .size:           2
        .value_kind:     hidden_group_size_y
      - .offset:         80
        .size:           2
        .value_kind:     hidden_group_size_z
      - .offset:         82
        .size:           2
        .value_kind:     hidden_remainder_x
      - .offset:         84
        .size:           2
        .value_kind:     hidden_remainder_y
      - .offset:         86
        .size:           2
        .value_kind:     hidden_remainder_z
      - .offset:         104
        .size:           8
        .value_kind:     hidden_global_offset_x
      - .offset:         112
        .size:           8
        .value_kind:     hidden_global_offset_y
      - .offset:         120
        .size:           8
        .value_kind:     hidden_global_offset_z
      - .offset:         128
        .size:           2
        .value_kind:     hidden_grid_dims
      - .offset:         184
        .size:           4
        .value_kind:     hidden_dynamic_lds_size
    .group_segment_fixed_size: 0
    .kernarg_segment_align: 8
    .kernarg_segment_size: 320
    .language:       OpenCL C
    .language_version:
      - 2
      - 0
    .max_flat_workgroup_size: 512
    .name:           _ZN2at6native12_GLOBAL__N_135GammaBetaBackwardCUDAKernelTemplateIddLj64ELj8ELj64ELb0ELb1ELb0EEEvllPKT_S5_PKT0_S8_PS3_S9_
    .private_segment_fixed_size: 0
    .sgpr_count:     36
    .sgpr_spill_count: 0
    .symbol:         _ZN2at6native12_GLOBAL__N_135GammaBetaBackwardCUDAKernelTemplateIddLj64ELj8ELj64ELb0ELb1ELb0EEEvllPKT_S5_PKT0_S8_PS3_S9_.kd
    .uniform_work_group_size: 1
    .uses_dynamic_stack: false
    .vgpr_count:     46
    .vgpr_spill_count: 0
    .wavefront_size: 64
  - .args:
      - .offset:         0
        .size:           8
        .value_kind:     by_value
      - .offset:         8
        .size:           8
        .value_kind:     by_value
      - .actual_access:  read_only
        .address_space:  global
        .offset:         16
        .size:           8
        .value_kind:     global_buffer
      - .actual_access:  read_only
        .address_space:  global
        .offset:         24
        .size:           8
        .value_kind:     global_buffer
      - .actual_access:  read_only
        .address_space:  global
        .offset:         32
        .size:           8
        .value_kind:     global_buffer
      - .actual_access:  read_only
        .address_space:  global
        .offset:         40
        .size:           8
        .value_kind:     global_buffer
      - .actual_access:  write_only
        .address_space:  global
        .offset:         48
        .size:           8
        .value_kind:     global_buffer
      - .actual_access:  write_only
        .address_space:  global
        .offset:         56
        .size:           8
        .value_kind:     global_buffer
      - .offset:         64
        .size:           4
        .value_kind:     hidden_block_count_x
      - .offset:         68
        .size:           4
        .value_kind:     hidden_block_count_y
      - .offset:         72
        .size:           4
        .value_kind:     hidden_block_count_z
      - .offset:         76
        .size:           2
        .value_kind:     hidden_group_size_x
      - .offset:         78
        .size:           2
        .value_kind:     hidden_group_size_y
      - .offset:         80
        .size:           2
        .value_kind:     hidden_group_size_z
      - .offset:         82
        .size:           2
        .value_kind:     hidden_remainder_x
      - .offset:         84
        .size:           2
        .value_kind:     hidden_remainder_y
      - .offset:         86
        .size:           2
        .value_kind:     hidden_remainder_z
      - .offset:         104
        .size:           8
        .value_kind:     hidden_global_offset_x
      - .offset:         112
        .size:           8
        .value_kind:     hidden_global_offset_y
      - .offset:         120
        .size:           8
        .value_kind:     hidden_global_offset_z
      - .offset:         128
        .size:           2
        .value_kind:     hidden_grid_dims
      - .offset:         184
        .size:           4
        .value_kind:     hidden_dynamic_lds_size
    .group_segment_fixed_size: 0
    .kernarg_segment_align: 8
    .kernarg_segment_size: 320
    .language:       OpenCL C
    .language_version:
      - 2
      - 0
    .max_flat_workgroup_size: 512
    .name:           _ZN2at6native12_GLOBAL__N_135GammaBetaBackwardCUDAKernelTemplateIddLj64ELj8ELj64ELb0ELb0ELb0EEEvllPKT_S5_PKT0_S8_PS3_S9_
    .private_segment_fixed_size: 0
    .sgpr_count:     40
    .sgpr_spill_count: 0
    .symbol:         _ZN2at6native12_GLOBAL__N_135GammaBetaBackwardCUDAKernelTemplateIddLj64ELj8ELj64ELb0ELb0ELb0EEEvllPKT_S5_PKT0_S8_PS3_S9_.kd
    .uniform_work_group_size: 1
    .uses_dynamic_stack: false
    .vgpr_count:     115
    .vgpr_spill_count: 0
    .wavefront_size: 64
  - .args:
      - .offset:         0
        .size:           8
        .value_kind:     by_value
      - .offset:         8
        .size:           8
        .value_kind:     by_value
      - .actual_access:  read_only
        .address_space:  global
        .offset:         16
        .size:           8
        .value_kind:     global_buffer
      - .actual_access:  read_only
        .address_space:  global
        .offset:         24
        .size:           8
        .value_kind:     global_buffer
      - .actual_access:  read_only
        .address_space:  global
        .offset:         32
        .size:           8
        .value_kind:     global_buffer
      - .actual_access:  read_only
        .address_space:  global
        .offset:         40
        .size:           8
        .value_kind:     global_buffer
      - .actual_access:  write_only
        .address_space:  global
        .offset:         48
        .size:           8
        .value_kind:     global_buffer
      - .actual_access:  write_only
        .address_space:  global
        .offset:         56
        .size:           8
        .value_kind:     global_buffer
      - .offset:         64
        .size:           4
        .value_kind:     hidden_block_count_x
      - .offset:         68
        .size:           4
        .value_kind:     hidden_block_count_y
      - .offset:         72
        .size:           4
        .value_kind:     hidden_block_count_z
      - .offset:         76
        .size:           2
        .value_kind:     hidden_group_size_x
      - .offset:         78
        .size:           2
        .value_kind:     hidden_group_size_y
      - .offset:         80
        .size:           2
        .value_kind:     hidden_group_size_z
      - .offset:         82
        .size:           2
        .value_kind:     hidden_remainder_x
      - .offset:         84
        .size:           2
        .value_kind:     hidden_remainder_y
      - .offset:         86
        .size:           2
        .value_kind:     hidden_remainder_z
      - .offset:         104
        .size:           8
        .value_kind:     hidden_global_offset_x
      - .offset:         112
        .size:           8
        .value_kind:     hidden_global_offset_y
      - .offset:         120
        .size:           8
        .value_kind:     hidden_global_offset_z
      - .offset:         128
        .size:           2
        .value_kind:     hidden_grid_dims
      - .offset:         184
        .size:           4
        .value_kind:     hidden_dynamic_lds_size
    .group_segment_fixed_size: 0
    .kernarg_segment_align: 8
    .kernarg_segment_size: 320
    .language:       OpenCL C
    .language_version:
      - 2
      - 0
    .max_flat_workgroup_size: 1024
    .name:           _ZN2at6native12_GLOBAL__N_135GammaBetaBackwardCUDAKernelTemplateIddLj64ELj16ELj128ELb0ELb1ELb0EEEvllPKT_S5_PKT0_S8_PS3_S9_
    .private_segment_fixed_size: 0
    .sgpr_count:     36
    .sgpr_spill_count: 0
    .symbol:         _ZN2at6native12_GLOBAL__N_135GammaBetaBackwardCUDAKernelTemplateIddLj64ELj16ELj128ELb0ELb1ELb0EEEvllPKT_S5_PKT0_S8_PS3_S9_.kd
    .uniform_work_group_size: 1
    .uses_dynamic_stack: false
    .vgpr_count:     44
    .vgpr_spill_count: 0
    .wavefront_size: 64
  - .args:
      - .offset:         0
        .size:           8
        .value_kind:     by_value
      - .offset:         8
        .size:           8
        .value_kind:     by_value
      - .actual_access:  read_only
        .address_space:  global
        .offset:         16
        .size:           8
        .value_kind:     global_buffer
      - .actual_access:  read_only
        .address_space:  global
        .offset:         24
        .size:           8
        .value_kind:     global_buffer
      - .actual_access:  read_only
        .address_space:  global
        .offset:         32
        .size:           8
        .value_kind:     global_buffer
      - .actual_access:  read_only
        .address_space:  global
        .offset:         40
        .size:           8
        .value_kind:     global_buffer
      - .actual_access:  write_only
        .address_space:  global
        .offset:         48
        .size:           8
        .value_kind:     global_buffer
      - .actual_access:  write_only
        .address_space:  global
        .offset:         56
        .size:           8
        .value_kind:     global_buffer
      - .offset:         64
        .size:           4
        .value_kind:     hidden_block_count_x
      - .offset:         68
        .size:           4
        .value_kind:     hidden_block_count_y
      - .offset:         72
        .size:           4
        .value_kind:     hidden_block_count_z
      - .offset:         76
        .size:           2
        .value_kind:     hidden_group_size_x
      - .offset:         78
        .size:           2
        .value_kind:     hidden_group_size_y
      - .offset:         80
        .size:           2
        .value_kind:     hidden_group_size_z
      - .offset:         82
        .size:           2
        .value_kind:     hidden_remainder_x
      - .offset:         84
        .size:           2
        .value_kind:     hidden_remainder_y
      - .offset:         86
        .size:           2
        .value_kind:     hidden_remainder_z
      - .offset:         104
        .size:           8
        .value_kind:     hidden_global_offset_x
      - .offset:         112
        .size:           8
        .value_kind:     hidden_global_offset_y
      - .offset:         120
        .size:           8
        .value_kind:     hidden_global_offset_z
      - .offset:         128
        .size:           2
        .value_kind:     hidden_grid_dims
      - .offset:         184
        .size:           4
        .value_kind:     hidden_dynamic_lds_size
    .group_segment_fixed_size: 0
    .kernarg_segment_align: 8
    .kernarg_segment_size: 320
    .language:       OpenCL C
    .language_version:
      - 2
      - 0
    .max_flat_workgroup_size: 1024
    .name:           _ZN2at6native12_GLOBAL__N_135GammaBetaBackwardCUDAKernelTemplateIddLj64ELj16ELj128ELb0ELb0ELb0EEEvllPKT_S5_PKT0_S8_PS3_S9_
    .private_segment_fixed_size: 216
    .sgpr_count:     44
    .sgpr_spill_count: 0
    .symbol:         _ZN2at6native12_GLOBAL__N_135GammaBetaBackwardCUDAKernelTemplateIddLj64ELj16ELj128ELb0ELb0ELb0EEEvllPKT_S5_PKT0_S8_PS3_S9_.kd
    .uniform_work_group_size: 1
    .uses_dynamic_stack: false
    .vgpr_count:     64
    .vgpr_spill_count: 149
    .wavefront_size: 64
  - .args:
      - .offset:         0
        .size:           8
        .value_kind:     by_value
      - .offset:         8
        .size:           8
        .value_kind:     by_value
      - .actual_access:  read_only
        .address_space:  global
        .offset:         16
        .size:           8
        .value_kind:     global_buffer
      - .actual_access:  read_only
        .address_space:  global
        .offset:         24
        .size:           8
        .value_kind:     global_buffer
      - .actual_access:  read_only
        .address_space:  global
        .offset:         32
        .size:           8
        .value_kind:     global_buffer
      - .actual_access:  read_only
        .address_space:  global
        .offset:         40
        .size:           8
        .value_kind:     global_buffer
      - .actual_access:  write_only
        .address_space:  global
        .offset:         48
        .size:           8
        .value_kind:     global_buffer
      - .actual_access:  write_only
        .address_space:  global
        .offset:         56
        .size:           8
        .value_kind:     global_buffer
      - .offset:         64
        .size:           4
        .value_kind:     hidden_block_count_x
      - .offset:         68
        .size:           4
        .value_kind:     hidden_block_count_y
      - .offset:         72
        .size:           4
        .value_kind:     hidden_block_count_z
      - .offset:         76
        .size:           2
        .value_kind:     hidden_group_size_x
      - .offset:         78
        .size:           2
        .value_kind:     hidden_group_size_y
      - .offset:         80
        .size:           2
        .value_kind:     hidden_group_size_z
      - .offset:         82
        .size:           2
        .value_kind:     hidden_remainder_x
      - .offset:         84
        .size:           2
        .value_kind:     hidden_remainder_y
      - .offset:         86
        .size:           2
        .value_kind:     hidden_remainder_z
      - .offset:         104
        .size:           8
        .value_kind:     hidden_global_offset_x
      - .offset:         112
        .size:           8
        .value_kind:     hidden_global_offset_y
      - .offset:         120
        .size:           8
        .value_kind:     hidden_global_offset_z
      - .offset:         128
        .size:           2
        .value_kind:     hidden_grid_dims
      - .offset:         184
        .size:           4
        .value_kind:     hidden_dynamic_lds_size
    .group_segment_fixed_size: 0
    .kernarg_segment_align: 8
    .kernarg_segment_size: 320
    .language:       OpenCL C
    .language_version:
      - 2
      - 0
    .max_flat_workgroup_size: 1024
    .name:           _ZN2at6native12_GLOBAL__N_135GammaBetaBackwardCUDAKernelTemplateIddLj64ELj16ELj256ELb0ELb1ELb0EEEvllPKT_S5_PKT0_S8_PS3_S9_
    .private_segment_fixed_size: 0
    .sgpr_count:     36
    .sgpr_spill_count: 0
    .symbol:         _ZN2at6native12_GLOBAL__N_135GammaBetaBackwardCUDAKernelTemplateIddLj64ELj16ELj256ELb0ELb1ELb0EEEvllPKT_S5_PKT0_S8_PS3_S9_.kd
    .uniform_work_group_size: 1
    .uses_dynamic_stack: false
    .vgpr_count:     64
    .vgpr_spill_count: 0
    .wavefront_size: 64
  - .args:
      - .offset:         0
        .size:           8
        .value_kind:     by_value
      - .offset:         8
        .size:           8
        .value_kind:     by_value
      - .actual_access:  read_only
        .address_space:  global
        .offset:         16
        .size:           8
        .value_kind:     global_buffer
      - .actual_access:  read_only
        .address_space:  global
        .offset:         24
        .size:           8
        .value_kind:     global_buffer
      - .actual_access:  read_only
        .address_space:  global
        .offset:         32
        .size:           8
        .value_kind:     global_buffer
      - .actual_access:  read_only
        .address_space:  global
        .offset:         40
        .size:           8
        .value_kind:     global_buffer
      - .actual_access:  write_only
        .address_space:  global
        .offset:         48
        .size:           8
        .value_kind:     global_buffer
      - .actual_access:  write_only
        .address_space:  global
        .offset:         56
        .size:           8
        .value_kind:     global_buffer
      - .offset:         64
        .size:           4
        .value_kind:     hidden_block_count_x
      - .offset:         68
        .size:           4
        .value_kind:     hidden_block_count_y
      - .offset:         72
        .size:           4
        .value_kind:     hidden_block_count_z
      - .offset:         76
        .size:           2
        .value_kind:     hidden_group_size_x
      - .offset:         78
        .size:           2
        .value_kind:     hidden_group_size_y
      - .offset:         80
        .size:           2
        .value_kind:     hidden_group_size_z
      - .offset:         82
        .size:           2
        .value_kind:     hidden_remainder_x
      - .offset:         84
        .size:           2
        .value_kind:     hidden_remainder_y
      - .offset:         86
        .size:           2
        .value_kind:     hidden_remainder_z
      - .offset:         104
        .size:           8
        .value_kind:     hidden_global_offset_x
      - .offset:         112
        .size:           8
        .value_kind:     hidden_global_offset_y
      - .offset:         120
        .size:           8
        .value_kind:     hidden_global_offset_z
      - .offset:         128
        .size:           2
        .value_kind:     hidden_grid_dims
      - .offset:         184
        .size:           4
        .value_kind:     hidden_dynamic_lds_size
    .group_segment_fixed_size: 0
    .kernarg_segment_align: 8
    .kernarg_segment_size: 320
    .language:       OpenCL C
    .language_version:
      - 2
      - 0
    .max_flat_workgroup_size: 1024
    .name:           _ZN2at6native12_GLOBAL__N_135GammaBetaBackwardCUDAKernelTemplateIddLj64ELj16ELj256ELb0ELb0ELb0EEEvllPKT_S5_PKT0_S8_PS3_S9_
    .private_segment_fixed_size: 632
    .sgpr_count:     44
    .sgpr_spill_count: 0
    .symbol:         _ZN2at6native12_GLOBAL__N_135GammaBetaBackwardCUDAKernelTemplateIddLj64ELj16ELj256ELb0ELb0ELb0EEEvllPKT_S5_PKT0_S8_PS3_S9_.kd
    .uniform_work_group_size: 1
    .uses_dynamic_stack: false
    .vgpr_count:     64
    .vgpr_spill_count: 485
    .wavefront_size: 64
  - .args:
      - .offset:         0
        .size:           8
        .value_kind:     by_value
      - .offset:         8
        .size:           8
        .value_kind:     by_value
      - .actual_access:  read_only
        .address_space:  global
        .offset:         16
        .size:           8
        .value_kind:     global_buffer
      - .actual_access:  read_only
        .address_space:  global
        .offset:         24
        .size:           8
        .value_kind:     global_buffer
      - .actual_access:  read_only
        .address_space:  global
        .offset:         32
        .size:           8
        .value_kind:     global_buffer
      - .actual_access:  read_only
        .address_space:  global
        .offset:         40
        .size:           8
        .value_kind:     global_buffer
      - .actual_access:  write_only
        .address_space:  global
        .offset:         48
        .size:           8
        .value_kind:     global_buffer
      - .actual_access:  write_only
        .address_space:  global
        .offset:         56
        .size:           8
        .value_kind:     global_buffer
      - .offset:         64
        .size:           4
        .value_kind:     hidden_block_count_x
      - .offset:         68
        .size:           4
        .value_kind:     hidden_block_count_y
      - .offset:         72
        .size:           4
        .value_kind:     hidden_block_count_z
      - .offset:         76
        .size:           2
        .value_kind:     hidden_group_size_x
      - .offset:         78
        .size:           2
        .value_kind:     hidden_group_size_y
      - .offset:         80
        .size:           2
        .value_kind:     hidden_group_size_z
      - .offset:         82
        .size:           2
        .value_kind:     hidden_remainder_x
      - .offset:         84
        .size:           2
        .value_kind:     hidden_remainder_y
      - .offset:         86
        .size:           2
        .value_kind:     hidden_remainder_z
      - .offset:         104
        .size:           8
        .value_kind:     hidden_global_offset_x
      - .offset:         112
        .size:           8
        .value_kind:     hidden_global_offset_y
      - .offset:         120
        .size:           8
        .value_kind:     hidden_global_offset_z
      - .offset:         128
        .size:           2
        .value_kind:     hidden_grid_dims
    .group_segment_fixed_size: 0
    .kernarg_segment_align: 8
    .kernarg_segment_size: 320
    .language:       OpenCL C
    .language_version:
      - 2
      - 0
    .max_flat_workgroup_size: 32
    .name:           _ZN2at6native12_GLOBAL__N_135GammaBetaBackwardCUDAKernelTemplateIddLj32ELj1ELj32ELb1ELb1ELb0EEEvllPKT_S5_PKT0_S8_PS3_S9_
    .private_segment_fixed_size: 0
    .sgpr_count:     44
    .sgpr_spill_count: 0
    .symbol:         _ZN2at6native12_GLOBAL__N_135GammaBetaBackwardCUDAKernelTemplateIddLj32ELj1ELj32ELb1ELb1ELb0EEEvllPKT_S5_PKT0_S8_PS3_S9_.kd
    .uniform_work_group_size: 1
    .uses_dynamic_stack: false
    .vgpr_count:     115
    .vgpr_spill_count: 0
    .wavefront_size: 64
  - .args:
      - .offset:         0
        .size:           8
        .value_kind:     by_value
      - .offset:         8
        .size:           8
        .value_kind:     by_value
      - .actual_access:  read_only
        .address_space:  global
        .offset:         16
        .size:           8
        .value_kind:     global_buffer
      - .actual_access:  read_only
        .address_space:  global
        .offset:         24
        .size:           8
        .value_kind:     global_buffer
      - .actual_access:  read_only
        .address_space:  global
        .offset:         32
        .size:           8
        .value_kind:     global_buffer
      - .actual_access:  read_only
        .address_space:  global
        .offset:         40
        .size:           8
        .value_kind:     global_buffer
      - .actual_access:  write_only
        .address_space:  global
        .offset:         48
        .size:           8
        .value_kind:     global_buffer
      - .actual_access:  write_only
        .address_space:  global
        .offset:         56
        .size:           8
        .value_kind:     global_buffer
      - .offset:         64
        .size:           4
        .value_kind:     hidden_block_count_x
      - .offset:         68
        .size:           4
        .value_kind:     hidden_block_count_y
      - .offset:         72
        .size:           4
        .value_kind:     hidden_block_count_z
      - .offset:         76
        .size:           2
        .value_kind:     hidden_group_size_x
      - .offset:         78
        .size:           2
        .value_kind:     hidden_group_size_y
      - .offset:         80
        .size:           2
        .value_kind:     hidden_group_size_z
      - .offset:         82
        .size:           2
        .value_kind:     hidden_remainder_x
      - .offset:         84
        .size:           2
        .value_kind:     hidden_remainder_y
      - .offset:         86
        .size:           2
        .value_kind:     hidden_remainder_z
      - .offset:         104
        .size:           8
        .value_kind:     hidden_global_offset_x
      - .offset:         112
        .size:           8
        .value_kind:     hidden_global_offset_y
      - .offset:         120
        .size:           8
        .value_kind:     hidden_global_offset_z
      - .offset:         128
        .size:           2
        .value_kind:     hidden_grid_dims
    .group_segment_fixed_size: 0
    .kernarg_segment_align: 8
    .kernarg_segment_size: 320
    .language:       OpenCL C
    .language_version:
      - 2
      - 0
    .max_flat_workgroup_size: 32
    .name:           _ZN2at6native12_GLOBAL__N_135GammaBetaBackwardCUDAKernelTemplateIddLj32ELj1ELj32ELb1ELb0ELb0EEEvllPKT_S5_PKT0_S8_PS3_S9_
    .private_segment_fixed_size: 628
    .sgpr_count:     48
    .sgpr_spill_count: 0
    .symbol:         _ZN2at6native12_GLOBAL__N_135GammaBetaBackwardCUDAKernelTemplateIddLj32ELj1ELj32ELb1ELb0ELb0EEEvllPKT_S5_PKT0_S8_PS3_S9_.kd
    .uniform_work_group_size: 1
    .uses_dynamic_stack: false
    .vgpr_count:     256
    .vgpr_spill_count: 342
    .wavefront_size: 64
  - .args:
      - .offset:         0
        .size:           8
        .value_kind:     by_value
      - .offset:         8
        .size:           8
        .value_kind:     by_value
      - .actual_access:  read_only
        .address_space:  global
        .offset:         16
        .size:           8
        .value_kind:     global_buffer
      - .actual_access:  read_only
        .address_space:  global
        .offset:         24
        .size:           8
        .value_kind:     global_buffer
      - .actual_access:  read_only
        .address_space:  global
        .offset:         32
        .size:           8
        .value_kind:     global_buffer
      - .actual_access:  read_only
        .address_space:  global
        .offset:         40
        .size:           8
        .value_kind:     global_buffer
      - .actual_access:  write_only
        .address_space:  global
        .offset:         48
        .size:           8
        .value_kind:     global_buffer
      - .actual_access:  write_only
        .address_space:  global
        .offset:         56
        .size:           8
        .value_kind:     global_buffer
      - .offset:         64
        .size:           4
        .value_kind:     hidden_block_count_x
      - .offset:         68
        .size:           4
        .value_kind:     hidden_block_count_y
      - .offset:         72
        .size:           4
        .value_kind:     hidden_block_count_z
      - .offset:         76
        .size:           2
        .value_kind:     hidden_group_size_x
      - .offset:         78
        .size:           2
        .value_kind:     hidden_group_size_y
      - .offset:         80
        .size:           2
        .value_kind:     hidden_group_size_z
      - .offset:         82
        .size:           2
        .value_kind:     hidden_remainder_x
      - .offset:         84
        .size:           2
        .value_kind:     hidden_remainder_y
      - .offset:         86
        .size:           2
        .value_kind:     hidden_remainder_z
      - .offset:         104
        .size:           8
        .value_kind:     hidden_global_offset_x
      - .offset:         112
        .size:           8
        .value_kind:     hidden_global_offset_y
      - .offset:         120
        .size:           8
        .value_kind:     hidden_global_offset_z
      - .offset:         128
        .size:           2
        .value_kind:     hidden_grid_dims
    .group_segment_fixed_size: 0
    .kernarg_segment_align: 8
    .kernarg_segment_size: 320
    .language:       OpenCL C
    .language_version:
      - 2
      - 0
    .max_flat_workgroup_size: 32
    .name:           _ZN2at6native12_GLOBAL__N_135GammaBetaBackwardCUDAKernelTemplateIddLj32ELj1ELj8ELb1ELb1ELb0EEEvllPKT_S5_PKT0_S8_PS3_S9_
    .private_segment_fixed_size: 0
    .sgpr_count:     44
    .sgpr_spill_count: 0
    .symbol:         _ZN2at6native12_GLOBAL__N_135GammaBetaBackwardCUDAKernelTemplateIddLj32ELj1ELj8ELb1ELb1ELb0EEEvllPKT_S5_PKT0_S8_PS3_S9_.kd
    .uniform_work_group_size: 1
    .uses_dynamic_stack: false
    .vgpr_count:     46
    .vgpr_spill_count: 0
    .wavefront_size: 64
  - .args:
      - .offset:         0
        .size:           8
        .value_kind:     by_value
      - .offset:         8
        .size:           8
        .value_kind:     by_value
      - .actual_access:  read_only
        .address_space:  global
        .offset:         16
        .size:           8
        .value_kind:     global_buffer
      - .actual_access:  read_only
        .address_space:  global
        .offset:         24
        .size:           8
        .value_kind:     global_buffer
      - .actual_access:  read_only
        .address_space:  global
        .offset:         32
        .size:           8
        .value_kind:     global_buffer
      - .actual_access:  read_only
        .address_space:  global
        .offset:         40
        .size:           8
        .value_kind:     global_buffer
      - .actual_access:  write_only
        .address_space:  global
        .offset:         48
        .size:           8
        .value_kind:     global_buffer
      - .actual_access:  write_only
        .address_space:  global
        .offset:         56
        .size:           8
        .value_kind:     global_buffer
      - .offset:         64
        .size:           4
        .value_kind:     hidden_block_count_x
      - .offset:         68
        .size:           4
        .value_kind:     hidden_block_count_y
      - .offset:         72
        .size:           4
        .value_kind:     hidden_block_count_z
      - .offset:         76
        .size:           2
        .value_kind:     hidden_group_size_x
      - .offset:         78
        .size:           2
        .value_kind:     hidden_group_size_y
      - .offset:         80
        .size:           2
        .value_kind:     hidden_group_size_z
      - .offset:         82
        .size:           2
        .value_kind:     hidden_remainder_x
      - .offset:         84
        .size:           2
        .value_kind:     hidden_remainder_y
      - .offset:         86
        .size:           2
        .value_kind:     hidden_remainder_z
      - .offset:         104
        .size:           8
        .value_kind:     hidden_global_offset_x
      - .offset:         112
        .size:           8
        .value_kind:     hidden_global_offset_y
      - .offset:         120
        .size:           8
        .value_kind:     hidden_global_offset_z
      - .offset:         128
        .size:           2
        .value_kind:     hidden_grid_dims
    .group_segment_fixed_size: 0
    .kernarg_segment_align: 8
    .kernarg_segment_size: 320
    .language:       OpenCL C
    .language_version:
      - 2
      - 0
    .max_flat_workgroup_size: 32
    .name:           _ZN2at6native12_GLOBAL__N_135GammaBetaBackwardCUDAKernelTemplateIddLj32ELj1ELj8ELb1ELb0ELb0EEEvllPKT_S5_PKT0_S8_PS3_S9_
    .private_segment_fixed_size: 0
    .sgpr_count:     42
    .sgpr_spill_count: 0
    .symbol:         _ZN2at6native12_GLOBAL__N_135GammaBetaBackwardCUDAKernelTemplateIddLj32ELj1ELj8ELb1ELb0ELb0EEEvllPKT_S5_PKT0_S8_PS3_S9_.kd
    .uniform_work_group_size: 1
    .uses_dynamic_stack: false
    .vgpr_count:     116
    .vgpr_spill_count: 0
    .wavefront_size: 64
  - .args:
      - .offset:         0
        .size:           8
        .value_kind:     by_value
      - .offset:         8
        .size:           8
        .value_kind:     by_value
      - .actual_access:  read_only
        .address_space:  global
        .offset:         16
        .size:           8
        .value_kind:     global_buffer
      - .actual_access:  read_only
        .address_space:  global
        .offset:         24
        .size:           8
        .value_kind:     global_buffer
      - .actual_access:  read_only
        .address_space:  global
        .offset:         32
        .size:           8
        .value_kind:     global_buffer
      - .actual_access:  read_only
        .address_space:  global
        .offset:         40
        .size:           8
        .value_kind:     global_buffer
      - .actual_access:  write_only
        .address_space:  global
        .offset:         48
        .size:           8
        .value_kind:     global_buffer
      - .actual_access:  write_only
        .address_space:  global
        .offset:         56
        .size:           8
        .value_kind:     global_buffer
      - .offset:         64
        .size:           4
        .value_kind:     hidden_block_count_x
      - .offset:         68
        .size:           4
        .value_kind:     hidden_block_count_y
      - .offset:         72
        .size:           4
        .value_kind:     hidden_block_count_z
      - .offset:         76
        .size:           2
        .value_kind:     hidden_group_size_x
      - .offset:         78
        .size:           2
        .value_kind:     hidden_group_size_y
      - .offset:         80
        .size:           2
        .value_kind:     hidden_group_size_z
      - .offset:         82
        .size:           2
        .value_kind:     hidden_remainder_x
      - .offset:         84
        .size:           2
        .value_kind:     hidden_remainder_y
      - .offset:         86
        .size:           2
        .value_kind:     hidden_remainder_z
      - .offset:         104
        .size:           8
        .value_kind:     hidden_global_offset_x
      - .offset:         112
        .size:           8
        .value_kind:     hidden_global_offset_y
      - .offset:         120
        .size:           8
        .value_kind:     hidden_global_offset_z
      - .offset:         128
        .size:           2
        .value_kind:     hidden_grid_dims
      - .offset:         184
        .size:           4
        .value_kind:     hidden_dynamic_lds_size
    .group_segment_fixed_size: 0
    .kernarg_segment_align: 8
    .kernarg_segment_size: 320
    .language:       OpenCL C
    .language_version:
      - 2
      - 0
    .max_flat_workgroup_size: 256
    .name:           _ZN2at6native12_GLOBAL__N_135GammaBetaBackwardCUDAKernelTemplateIddLj32ELj8ELj64ELb0ELb1ELb0EEEvllPKT_S5_PKT0_S8_PS3_S9_
    .private_segment_fixed_size: 0
    .sgpr_count:     36
    .sgpr_spill_count: 0
    .symbol:         _ZN2at6native12_GLOBAL__N_135GammaBetaBackwardCUDAKernelTemplateIddLj32ELj8ELj64ELb0ELb1ELb0EEEvllPKT_S5_PKT0_S8_PS3_S9_.kd
    .uniform_work_group_size: 1
    .uses_dynamic_stack: false
    .vgpr_count:     45
    .vgpr_spill_count: 0
    .wavefront_size: 64
  - .args:
      - .offset:         0
        .size:           8
        .value_kind:     by_value
      - .offset:         8
        .size:           8
        .value_kind:     by_value
      - .actual_access:  read_only
        .address_space:  global
        .offset:         16
        .size:           8
        .value_kind:     global_buffer
      - .actual_access:  read_only
        .address_space:  global
        .offset:         24
        .size:           8
        .value_kind:     global_buffer
      - .actual_access:  read_only
        .address_space:  global
        .offset:         32
        .size:           8
        .value_kind:     global_buffer
      - .actual_access:  read_only
        .address_space:  global
        .offset:         40
        .size:           8
        .value_kind:     global_buffer
      - .actual_access:  write_only
        .address_space:  global
        .offset:         48
        .size:           8
        .value_kind:     global_buffer
      - .actual_access:  write_only
        .address_space:  global
        .offset:         56
        .size:           8
        .value_kind:     global_buffer
      - .offset:         64
        .size:           4
        .value_kind:     hidden_block_count_x
      - .offset:         68
        .size:           4
        .value_kind:     hidden_block_count_y
      - .offset:         72
        .size:           4
        .value_kind:     hidden_block_count_z
      - .offset:         76
        .size:           2
        .value_kind:     hidden_group_size_x
      - .offset:         78
        .size:           2
        .value_kind:     hidden_group_size_y
      - .offset:         80
        .size:           2
        .value_kind:     hidden_group_size_z
      - .offset:         82
        .size:           2
        .value_kind:     hidden_remainder_x
      - .offset:         84
        .size:           2
        .value_kind:     hidden_remainder_y
      - .offset:         86
        .size:           2
        .value_kind:     hidden_remainder_z
      - .offset:         104
        .size:           8
        .value_kind:     hidden_global_offset_x
      - .offset:         112
        .size:           8
        .value_kind:     hidden_global_offset_y
      - .offset:         120
        .size:           8
        .value_kind:     hidden_global_offset_z
      - .offset:         128
        .size:           2
        .value_kind:     hidden_grid_dims
      - .offset:         184
        .size:           4
        .value_kind:     hidden_dynamic_lds_size
    .group_segment_fixed_size: 0
    .kernarg_segment_align: 8
    .kernarg_segment_size: 320
    .language:       OpenCL C
    .language_version:
      - 2
      - 0
    .max_flat_workgroup_size: 256
    .name:           _ZN2at6native12_GLOBAL__N_135GammaBetaBackwardCUDAKernelTemplateIddLj32ELj8ELj64ELb0ELb0ELb0EEEvllPKT_S5_PKT0_S8_PS3_S9_
    .private_segment_fixed_size: 0
    .sgpr_count:     40
    .sgpr_spill_count: 0
    .symbol:         _ZN2at6native12_GLOBAL__N_135GammaBetaBackwardCUDAKernelTemplateIddLj32ELj8ELj64ELb0ELb0ELb0EEEvllPKT_S5_PKT0_S8_PS3_S9_.kd
    .uniform_work_group_size: 1
    .uses_dynamic_stack: false
    .vgpr_count:     115
    .vgpr_spill_count: 0
    .wavefront_size: 64
  - .args:
      - .offset:         0
        .size:           8
        .value_kind:     by_value
      - .offset:         8
        .size:           8
        .value_kind:     by_value
      - .actual_access:  read_only
        .address_space:  global
        .offset:         16
        .size:           8
        .value_kind:     global_buffer
      - .actual_access:  read_only
        .address_space:  global
        .offset:         24
        .size:           8
        .value_kind:     global_buffer
      - .actual_access:  read_only
        .address_space:  global
        .offset:         32
        .size:           8
        .value_kind:     global_buffer
      - .actual_access:  read_only
        .address_space:  global
        .offset:         40
        .size:           8
        .value_kind:     global_buffer
      - .actual_access:  write_only
        .address_space:  global
        .offset:         48
        .size:           8
        .value_kind:     global_buffer
      - .actual_access:  write_only
        .address_space:  global
        .offset:         56
        .size:           8
        .value_kind:     global_buffer
      - .offset:         64
        .size:           4
        .value_kind:     hidden_block_count_x
      - .offset:         68
        .size:           4
        .value_kind:     hidden_block_count_y
      - .offset:         72
        .size:           4
        .value_kind:     hidden_block_count_z
      - .offset:         76
        .size:           2
        .value_kind:     hidden_group_size_x
      - .offset:         78
        .size:           2
        .value_kind:     hidden_group_size_y
      - .offset:         80
        .size:           2
        .value_kind:     hidden_group_size_z
      - .offset:         82
        .size:           2
        .value_kind:     hidden_remainder_x
      - .offset:         84
        .size:           2
        .value_kind:     hidden_remainder_y
      - .offset:         86
        .size:           2
        .value_kind:     hidden_remainder_z
      - .offset:         104
        .size:           8
        .value_kind:     hidden_global_offset_x
      - .offset:         112
        .size:           8
        .value_kind:     hidden_global_offset_y
      - .offset:         120
        .size:           8
        .value_kind:     hidden_global_offset_z
      - .offset:         128
        .size:           2
        .value_kind:     hidden_grid_dims
      - .offset:         184
        .size:           4
        .value_kind:     hidden_dynamic_lds_size
    .group_segment_fixed_size: 0
    .kernarg_segment_align: 8
    .kernarg_segment_size: 320
    .language:       OpenCL C
    .language_version:
      - 2
      - 0
    .max_flat_workgroup_size: 512
    .name:           _ZN2at6native12_GLOBAL__N_135GammaBetaBackwardCUDAKernelTemplateIddLj32ELj16ELj128ELb0ELb1ELb0EEEvllPKT_S5_PKT0_S8_PS3_S9_
    .private_segment_fixed_size: 0
    .sgpr_count:     36
    .sgpr_spill_count: 0
    .symbol:         _ZN2at6native12_GLOBAL__N_135GammaBetaBackwardCUDAKernelTemplateIddLj32ELj16ELj128ELb0ELb1ELb0EEEvllPKT_S5_PKT0_S8_PS3_S9_.kd
    .uniform_work_group_size: 1
    .uses_dynamic_stack: false
    .vgpr_count:     46
    .vgpr_spill_count: 0
    .wavefront_size: 64
  - .args:
      - .offset:         0
        .size:           8
        .value_kind:     by_value
      - .offset:         8
        .size:           8
        .value_kind:     by_value
      - .actual_access:  read_only
        .address_space:  global
        .offset:         16
        .size:           8
        .value_kind:     global_buffer
      - .actual_access:  read_only
        .address_space:  global
        .offset:         24
        .size:           8
        .value_kind:     global_buffer
      - .actual_access:  read_only
        .address_space:  global
        .offset:         32
        .size:           8
        .value_kind:     global_buffer
      - .actual_access:  read_only
        .address_space:  global
        .offset:         40
        .size:           8
        .value_kind:     global_buffer
      - .actual_access:  write_only
        .address_space:  global
        .offset:         48
        .size:           8
        .value_kind:     global_buffer
      - .actual_access:  write_only
        .address_space:  global
        .offset:         56
        .size:           8
        .value_kind:     global_buffer
      - .offset:         64
        .size:           4
        .value_kind:     hidden_block_count_x
      - .offset:         68
        .size:           4
        .value_kind:     hidden_block_count_y
      - .offset:         72
        .size:           4
        .value_kind:     hidden_block_count_z
      - .offset:         76
        .size:           2
        .value_kind:     hidden_group_size_x
      - .offset:         78
        .size:           2
        .value_kind:     hidden_group_size_y
      - .offset:         80
        .size:           2
        .value_kind:     hidden_group_size_z
      - .offset:         82
        .size:           2
        .value_kind:     hidden_remainder_x
      - .offset:         84
        .size:           2
        .value_kind:     hidden_remainder_y
      - .offset:         86
        .size:           2
        .value_kind:     hidden_remainder_z
      - .offset:         104
        .size:           8
        .value_kind:     hidden_global_offset_x
      - .offset:         112
        .size:           8
        .value_kind:     hidden_global_offset_y
      - .offset:         120
        .size:           8
        .value_kind:     hidden_global_offset_z
      - .offset:         128
        .size:           2
        .value_kind:     hidden_grid_dims
      - .offset:         184
        .size:           4
        .value_kind:     hidden_dynamic_lds_size
    .group_segment_fixed_size: 0
    .kernarg_segment_align: 8
    .kernarg_segment_size: 320
    .language:       OpenCL C
    .language_version:
      - 2
      - 0
    .max_flat_workgroup_size: 512
    .name:           _ZN2at6native12_GLOBAL__N_135GammaBetaBackwardCUDAKernelTemplateIddLj32ELj16ELj128ELb0ELb0ELb0EEEvllPKT_S5_PKT0_S8_PS3_S9_
    .private_segment_fixed_size: 0
    .sgpr_count:     40
    .sgpr_spill_count: 0
    .symbol:         _ZN2at6native12_GLOBAL__N_135GammaBetaBackwardCUDAKernelTemplateIddLj32ELj16ELj128ELb0ELb0ELb0EEEvllPKT_S5_PKT0_S8_PS3_S9_.kd
    .uniform_work_group_size: 1
    .uses_dynamic_stack: false
    .vgpr_count:     115
    .vgpr_spill_count: 0
    .wavefront_size: 64
  - .args:
      - .offset:         0
        .size:           8
        .value_kind:     by_value
      - .offset:         8
        .size:           8
        .value_kind:     by_value
      - .actual_access:  read_only
        .address_space:  global
        .offset:         16
        .size:           8
        .value_kind:     global_buffer
      - .actual_access:  read_only
        .address_space:  global
        .offset:         24
        .size:           8
        .value_kind:     global_buffer
      - .actual_access:  read_only
        .address_space:  global
        .offset:         32
        .size:           8
        .value_kind:     global_buffer
      - .actual_access:  read_only
        .address_space:  global
        .offset:         40
        .size:           8
        .value_kind:     global_buffer
      - .actual_access:  write_only
        .address_space:  global
        .offset:         48
        .size:           8
        .value_kind:     global_buffer
      - .actual_access:  write_only
        .address_space:  global
        .offset:         56
        .size:           8
        .value_kind:     global_buffer
      - .offset:         64
        .size:           4
        .value_kind:     hidden_block_count_x
      - .offset:         68
        .size:           4
        .value_kind:     hidden_block_count_y
      - .offset:         72
        .size:           4
        .value_kind:     hidden_block_count_z
      - .offset:         76
        .size:           2
        .value_kind:     hidden_group_size_x
      - .offset:         78
        .size:           2
        .value_kind:     hidden_group_size_y
      - .offset:         80
        .size:           2
        .value_kind:     hidden_group_size_z
      - .offset:         82
        .size:           2
        .value_kind:     hidden_remainder_x
      - .offset:         84
        .size:           2
        .value_kind:     hidden_remainder_y
      - .offset:         86
        .size:           2
        .value_kind:     hidden_remainder_z
      - .offset:         104
        .size:           8
        .value_kind:     hidden_global_offset_x
      - .offset:         112
        .size:           8
        .value_kind:     hidden_global_offset_y
      - .offset:         120
        .size:           8
        .value_kind:     hidden_global_offset_z
      - .offset:         128
        .size:           2
        .value_kind:     hidden_grid_dims
      - .offset:         184
        .size:           4
        .value_kind:     hidden_dynamic_lds_size
    .group_segment_fixed_size: 0
    .kernarg_segment_align: 8
    .kernarg_segment_size: 320
    .language:       OpenCL C
    .language_version:
      - 2
      - 0
    .max_flat_workgroup_size: 1024
    .name:           _ZN2at6native12_GLOBAL__N_135GammaBetaBackwardCUDAKernelTemplateIddLj32ELj32ELj256ELb0ELb1ELb0EEEvllPKT_S5_PKT0_S8_PS3_S9_
    .private_segment_fixed_size: 0
    .sgpr_count:     36
    .sgpr_spill_count: 0
    .symbol:         _ZN2at6native12_GLOBAL__N_135GammaBetaBackwardCUDAKernelTemplateIddLj32ELj32ELj256ELb0ELb1ELb0EEEvllPKT_S5_PKT0_S8_PS3_S9_.kd
    .uniform_work_group_size: 1
    .uses_dynamic_stack: false
    .vgpr_count:     44
    .vgpr_spill_count: 0
    .wavefront_size: 64
  - .args:
      - .offset:         0
        .size:           8
        .value_kind:     by_value
      - .offset:         8
        .size:           8
        .value_kind:     by_value
      - .actual_access:  read_only
        .address_space:  global
        .offset:         16
        .size:           8
        .value_kind:     global_buffer
      - .actual_access:  read_only
        .address_space:  global
        .offset:         24
        .size:           8
        .value_kind:     global_buffer
      - .actual_access:  read_only
        .address_space:  global
        .offset:         32
        .size:           8
        .value_kind:     global_buffer
      - .actual_access:  read_only
        .address_space:  global
        .offset:         40
        .size:           8
        .value_kind:     global_buffer
      - .actual_access:  write_only
        .address_space:  global
        .offset:         48
        .size:           8
        .value_kind:     global_buffer
      - .actual_access:  write_only
        .address_space:  global
        .offset:         56
        .size:           8
        .value_kind:     global_buffer
      - .offset:         64
        .size:           4
        .value_kind:     hidden_block_count_x
      - .offset:         68
        .size:           4
        .value_kind:     hidden_block_count_y
      - .offset:         72
        .size:           4
        .value_kind:     hidden_block_count_z
      - .offset:         76
        .size:           2
        .value_kind:     hidden_group_size_x
      - .offset:         78
        .size:           2
        .value_kind:     hidden_group_size_y
      - .offset:         80
        .size:           2
        .value_kind:     hidden_group_size_z
      - .offset:         82
        .size:           2
        .value_kind:     hidden_remainder_x
      - .offset:         84
        .size:           2
        .value_kind:     hidden_remainder_y
      - .offset:         86
        .size:           2
        .value_kind:     hidden_remainder_z
      - .offset:         104
        .size:           8
        .value_kind:     hidden_global_offset_x
      - .offset:         112
        .size:           8
        .value_kind:     hidden_global_offset_y
      - .offset:         120
        .size:           8
        .value_kind:     hidden_global_offset_z
      - .offset:         128
        .size:           2
        .value_kind:     hidden_grid_dims
      - .offset:         184
        .size:           4
        .value_kind:     hidden_dynamic_lds_size
    .group_segment_fixed_size: 0
    .kernarg_segment_align: 8
    .kernarg_segment_size: 320
    .language:       OpenCL C
    .language_version:
      - 2
      - 0
    .max_flat_workgroup_size: 1024
    .name:           _ZN2at6native12_GLOBAL__N_135GammaBetaBackwardCUDAKernelTemplateIddLj32ELj32ELj256ELb0ELb0ELb0EEEvllPKT_S5_PKT0_S8_PS3_S9_
    .private_segment_fixed_size: 216
    .sgpr_count:     44
    .sgpr_spill_count: 0
    .symbol:         _ZN2at6native12_GLOBAL__N_135GammaBetaBackwardCUDAKernelTemplateIddLj32ELj32ELj256ELb0ELb0ELb0EEEvllPKT_S5_PKT0_S8_PS3_S9_.kd
    .uniform_work_group_size: 1
    .uses_dynamic_stack: false
    .vgpr_count:     64
    .vgpr_spill_count: 148
    .wavefront_size: 64
  - .args:
      - .actual_access:  read_only
        .address_space:  global
        .offset:         0
        .size:           8
        .value_kind:     global_buffer
      - .actual_access:  read_only
        .address_space:  global
        .offset:         8
        .size:           8
        .value_kind:     global_buffer
      - .offset:         16
        .size:           8
        .value_kind:     by_value
      - .offset:         24
        .size:           8
        .value_kind:     by_value
      - .actual_access:  read_only
        .address_space:  global
        .offset:         32
        .size:           8
        .value_kind:     global_buffer
      - .actual_access:  read_only
        .address_space:  global
        .offset:         40
        .size:           8
        .value_kind:     global_buffer
      - .address_space:  global
        .offset:         48
        .size:           8
        .value_kind:     global_buffer
      - .address_space:  global
        .offset:         56
        .size:           8
        .value_kind:     global_buffer
      - .offset:         64
        .size:           4
        .value_kind:     hidden_block_count_x
      - .offset:         68
        .size:           4
        .value_kind:     hidden_block_count_y
      - .offset:         72
        .size:           4
        .value_kind:     hidden_block_count_z
      - .offset:         76
        .size:           2
        .value_kind:     hidden_group_size_x
      - .offset:         78
        .size:           2
        .value_kind:     hidden_group_size_y
      - .offset:         80
        .size:           2
        .value_kind:     hidden_group_size_z
      - .offset:         82
        .size:           2
        .value_kind:     hidden_remainder_x
      - .offset:         84
        .size:           2
        .value_kind:     hidden_remainder_y
      - .offset:         86
        .size:           2
        .value_kind:     hidden_remainder_z
      - .offset:         104
        .size:           8
        .value_kind:     hidden_global_offset_x
      - .offset:         112
        .size:           8
        .value_kind:     hidden_global_offset_y
      - .offset:         120
        .size:           8
        .value_kind:     hidden_global_offset_z
      - .offset:         128
        .size:           2
        .value_kind:     hidden_grid_dims
      - .offset:         184
        .size:           4
        .value_kind:     hidden_dynamic_lds_size
    .group_segment_fixed_size: 0
    .kernarg_segment_align: 8
    .kernarg_segment_size: 320
    .language:       OpenCL C
    .language_version:
      - 2
      - 0
    .max_flat_workgroup_size: 1024
    .name:           _ZN2at6native12_GLOBAL__N_118cuComputeGradInputIffLb0EEEvPKT_S5_llPKT0_S8_S5_PS3_
    .private_segment_fixed_size: 0
    .sgpr_count:     55
    .sgpr_spill_count: 0
    .symbol:         _ZN2at6native12_GLOBAL__N_118cuComputeGradInputIffLb0EEEvPKT_S5_llPKT0_S8_S5_PS3_.kd
    .uniform_work_group_size: 1
    .uses_dynamic_stack: false
    .vgpr_count:     23
    .vgpr_spill_count: 0
    .wavefront_size: 64
  - .args:
      - .actual_access:  read_only
        .address_space:  global
        .offset:         0
        .size:           8
        .value_kind:     global_buffer
      - .actual_access:  read_only
        .address_space:  global
        .offset:         8
        .size:           8
        .value_kind:     global_buffer
      - .actual_access:  read_only
        .address_space:  global
        .offset:         16
        .size:           8
        .value_kind:     global_buffer
      - .actual_access:  read_only
        .address_space:  global
        .offset:         24
        .size:           8
        .value_kind:     global_buffer
      - .actual_access:  read_only
        .address_space:  global
        .offset:         32
        .size:           8
        .value_kind:     global_buffer
      - .address_space:  global
        .offset:         40
        .size:           8
        .value_kind:     global_buffer
      - .offset:         48
        .size:           4
        .value_kind:     by_value
      - .offset:         56
        .size:           4
        .value_kind:     hidden_block_count_x
      - .offset:         60
        .size:           4
        .value_kind:     hidden_block_count_y
      - .offset:         64
        .size:           4
        .value_kind:     hidden_block_count_z
      - .offset:         68
        .size:           2
        .value_kind:     hidden_group_size_x
      - .offset:         70
        .size:           2
        .value_kind:     hidden_group_size_y
      - .offset:         72
        .size:           2
        .value_kind:     hidden_group_size_z
      - .offset:         74
        .size:           2
        .value_kind:     hidden_remainder_x
      - .offset:         76
        .size:           2
        .value_kind:     hidden_remainder_y
      - .offset:         78
        .size:           2
        .value_kind:     hidden_remainder_z
      - .offset:         96
        .size:           8
        .value_kind:     hidden_global_offset_x
      - .offset:         104
        .size:           8
        .value_kind:     hidden_global_offset_y
      - .offset:         112
        .size:           8
        .value_kind:     hidden_global_offset_z
      - .offset:         120
        .size:           2
        .value_kind:     hidden_grid_dims
      - .offset:         176
        .size:           4
        .value_kind:     hidden_dynamic_lds_size
    .group_segment_fixed_size: 0
    .kernarg_segment_align: 8
    .kernarg_segment_size: 312
    .language:       OpenCL C
    .language_version:
      - 2
      - 0
    .max_flat_workgroup_size: 1024
    .name:           _ZN2at6native12_GLOBAL__N_128layer_norm_grad_input_kernelIffLb0EEEvPKT_S5_PKT0_S8_S5_PS3_i
    .private_segment_fixed_size: 0
    .sgpr_count:     30
    .sgpr_spill_count: 0
    .symbol:         _ZN2at6native12_GLOBAL__N_128layer_norm_grad_input_kernelIffLb0EEEvPKT_S5_PKT0_S8_S5_PS3_i.kd
    .uniform_work_group_size: 1
    .uses_dynamic_stack: false
    .vgpr_count:     23
    .vgpr_spill_count: 0
    .wavefront_size: 64
  - .args:
      - .offset:         0
        .size:           8
        .value_kind:     by_value
      - .offset:         8
        .size:           8
        .value_kind:     by_value
      - .address_space:  global
        .offset:         16
        .size:           8
        .value_kind:     global_buffer
      - .address_space:  global
        .offset:         24
        .size:           8
        .value_kind:     global_buffer
      - .address_space:  global
        .offset:         32
        .size:           8
        .value_kind:     global_buffer
      - .address_space:  global
        .offset:         40
        .size:           8
        .value_kind:     global_buffer
      - .address_space:  global
        .offset:         48
        .size:           8
        .value_kind:     global_buffer
      - .address_space:  global
        .offset:         56
        .size:           8
        .value_kind:     global_buffer
      - .offset:         64
        .size:           4
        .value_kind:     hidden_block_count_x
      - .offset:         68
        .size:           4
        .value_kind:     hidden_block_count_y
      - .offset:         72
        .size:           4
        .value_kind:     hidden_block_count_z
      - .offset:         76
        .size:           2
        .value_kind:     hidden_group_size_x
      - .offset:         78
        .size:           2
        .value_kind:     hidden_group_size_y
      - .offset:         80
        .size:           2
        .value_kind:     hidden_group_size_z
      - .offset:         82
        .size:           2
        .value_kind:     hidden_remainder_x
      - .offset:         84
        .size:           2
        .value_kind:     hidden_remainder_y
      - .offset:         86
        .size:           2
        .value_kind:     hidden_remainder_z
      - .offset:         104
        .size:           8
        .value_kind:     hidden_global_offset_x
      - .offset:         112
        .size:           8
        .value_kind:     hidden_global_offset_y
      - .offset:         120
        .size:           8
        .value_kind:     hidden_global_offset_z
      - .offset:         128
        .size:           2
        .value_kind:     hidden_grid_dims
    .group_segment_fixed_size: 0
    .kernarg_segment_align: 8
    .kernarg_segment_size: 320
    .language:       OpenCL C
    .language_version:
      - 2
      - 0
    .max_flat_workgroup_size: 1024
    .name:           _ZN2at6native12_GLOBAL__N_133GammaBetaBackwardSimpleCUDAKernelIffLb0EEEvllPKT_S5_PKT0_S8_PS3_S9_
    .private_segment_fixed_size: 0
    .sgpr_count:     28
    .sgpr_spill_count: 0
    .symbol:         _ZN2at6native12_GLOBAL__N_133GammaBetaBackwardSimpleCUDAKernelIffLb0EEEvllPKT_S5_PKT0_S8_PS3_S9_.kd
    .uniform_work_group_size: 1
    .uses_dynamic_stack: false
    .vgpr_count:     13
    .vgpr_spill_count: 0
    .wavefront_size: 64
  - .args:
      - .offset:         0
        .size:           8
        .value_kind:     by_value
      - .offset:         8
        .size:           8
        .value_kind:     by_value
      - .actual_access:  read_only
        .address_space:  global
        .offset:         16
        .size:           8
        .value_kind:     global_buffer
      - .actual_access:  read_only
        .address_space:  global
        .offset:         24
        .size:           8
        .value_kind:     global_buffer
      - .actual_access:  read_only
        .address_space:  global
        .offset:         32
        .size:           8
        .value_kind:     global_buffer
      - .actual_access:  read_only
        .address_space:  global
        .offset:         40
        .size:           8
        .value_kind:     global_buffer
      - .actual_access:  write_only
        .address_space:  global
        .offset:         48
        .size:           8
        .value_kind:     global_buffer
      - .actual_access:  write_only
        .address_space:  global
        .offset:         56
        .size:           8
        .value_kind:     global_buffer
      - .offset:         64
        .size:           4
        .value_kind:     hidden_block_count_x
      - .offset:         68
        .size:           4
        .value_kind:     hidden_block_count_y
      - .offset:         72
        .size:           4
        .value_kind:     hidden_block_count_z
      - .offset:         76
        .size:           2
        .value_kind:     hidden_group_size_x
      - .offset:         78
        .size:           2
        .value_kind:     hidden_group_size_y
      - .offset:         80
        .size:           2
        .value_kind:     hidden_group_size_z
      - .offset:         82
        .size:           2
        .value_kind:     hidden_remainder_x
      - .offset:         84
        .size:           2
        .value_kind:     hidden_remainder_y
      - .offset:         86
        .size:           2
        .value_kind:     hidden_remainder_z
      - .offset:         104
        .size:           8
        .value_kind:     hidden_global_offset_x
      - .offset:         112
        .size:           8
        .value_kind:     hidden_global_offset_y
      - .offset:         120
        .size:           8
        .value_kind:     hidden_global_offset_z
      - .offset:         128
        .size:           2
        .value_kind:     hidden_grid_dims
    .group_segment_fixed_size: 0
    .kernarg_segment_align: 8
    .kernarg_segment_size: 320
    .language:       OpenCL C
    .language_version:
      - 2
      - 0
    .max_flat_workgroup_size: 64
    .name:           _ZN2at6native12_GLOBAL__N_135GammaBetaBackwardCUDAKernelTemplateIffLj64ELj1ELj32ELb1ELb1ELb0EEEvllPKT_S5_PKT0_S8_PS3_S9_
    .private_segment_fixed_size: 0
    .sgpr_count:     44
    .sgpr_spill_count: 0
    .symbol:         _ZN2at6native12_GLOBAL__N_135GammaBetaBackwardCUDAKernelTemplateIffLj64ELj1ELj32ELb1ELb1ELb0EEEvllPKT_S5_PKT0_S8_PS3_S9_.kd
    .uniform_work_group_size: 1
    .uses_dynamic_stack: false
    .vgpr_count:     84
    .vgpr_spill_count: 0
    .wavefront_size: 64
  - .args:
      - .offset:         0
        .size:           8
        .value_kind:     by_value
      - .offset:         8
        .size:           8
        .value_kind:     by_value
      - .actual_access:  read_only
        .address_space:  global
        .offset:         16
        .size:           8
        .value_kind:     global_buffer
      - .actual_access:  read_only
        .address_space:  global
        .offset:         24
        .size:           8
        .value_kind:     global_buffer
      - .actual_access:  read_only
        .address_space:  global
        .offset:         32
        .size:           8
        .value_kind:     global_buffer
      - .actual_access:  read_only
        .address_space:  global
        .offset:         40
        .size:           8
        .value_kind:     global_buffer
      - .actual_access:  write_only
        .address_space:  global
        .offset:         48
        .size:           8
        .value_kind:     global_buffer
      - .actual_access:  write_only
        .address_space:  global
        .offset:         56
        .size:           8
        .value_kind:     global_buffer
      - .offset:         64
        .size:           4
        .value_kind:     hidden_block_count_x
      - .offset:         68
        .size:           4
        .value_kind:     hidden_block_count_y
      - .offset:         72
        .size:           4
        .value_kind:     hidden_block_count_z
      - .offset:         76
        .size:           2
        .value_kind:     hidden_group_size_x
      - .offset:         78
        .size:           2
        .value_kind:     hidden_group_size_y
      - .offset:         80
        .size:           2
        .value_kind:     hidden_group_size_z
      - .offset:         82
        .size:           2
        .value_kind:     hidden_remainder_x
      - .offset:         84
        .size:           2
        .value_kind:     hidden_remainder_y
      - .offset:         86
        .size:           2
        .value_kind:     hidden_remainder_z
      - .offset:         104
        .size:           8
        .value_kind:     hidden_global_offset_x
      - .offset:         112
        .size:           8
        .value_kind:     hidden_global_offset_y
      - .offset:         120
        .size:           8
        .value_kind:     hidden_global_offset_z
      - .offset:         128
        .size:           2
        .value_kind:     hidden_grid_dims
    .group_segment_fixed_size: 0
    .kernarg_segment_align: 8
    .kernarg_segment_size: 320
    .language:       OpenCL C
    .language_version:
      - 2
      - 0
    .max_flat_workgroup_size: 64
    .name:           _ZN2at6native12_GLOBAL__N_135GammaBetaBackwardCUDAKernelTemplateIffLj64ELj1ELj32ELb1ELb0ELb0EEEvllPKT_S5_PKT0_S8_PS3_S9_
    .private_segment_fixed_size: 316
    .sgpr_count:     48
    .sgpr_spill_count: 0
    .symbol:         _ZN2at6native12_GLOBAL__N_135GammaBetaBackwardCUDAKernelTemplateIffLj64ELj1ELj32ELb1ELb0ELb0EEEvllPKT_S5_PKT0_S8_PS3_S9_.kd
    .uniform_work_group_size: 1
    .uses_dynamic_stack: false
    .vgpr_count:     256
    .vgpr_spill_count: 150
    .wavefront_size: 64
  - .args:
      - .offset:         0
        .size:           8
        .value_kind:     by_value
      - .offset:         8
        .size:           8
        .value_kind:     by_value
      - .actual_access:  read_only
        .address_space:  global
        .offset:         16
        .size:           8
        .value_kind:     global_buffer
      - .actual_access:  read_only
        .address_space:  global
        .offset:         24
        .size:           8
        .value_kind:     global_buffer
      - .actual_access:  read_only
        .address_space:  global
        .offset:         32
        .size:           8
        .value_kind:     global_buffer
      - .actual_access:  read_only
        .address_space:  global
        .offset:         40
        .size:           8
        .value_kind:     global_buffer
      - .actual_access:  write_only
        .address_space:  global
        .offset:         48
        .size:           8
        .value_kind:     global_buffer
      - .actual_access:  write_only
        .address_space:  global
        .offset:         56
        .size:           8
        .value_kind:     global_buffer
      - .offset:         64
        .size:           4
        .value_kind:     hidden_block_count_x
      - .offset:         68
        .size:           4
        .value_kind:     hidden_block_count_y
      - .offset:         72
        .size:           4
        .value_kind:     hidden_block_count_z
      - .offset:         76
        .size:           2
        .value_kind:     hidden_group_size_x
      - .offset:         78
        .size:           2
        .value_kind:     hidden_group_size_y
      - .offset:         80
        .size:           2
        .value_kind:     hidden_group_size_z
      - .offset:         82
        .size:           2
        .value_kind:     hidden_remainder_x
      - .offset:         84
        .size:           2
        .value_kind:     hidden_remainder_y
      - .offset:         86
        .size:           2
        .value_kind:     hidden_remainder_z
      - .offset:         104
        .size:           8
        .value_kind:     hidden_global_offset_x
      - .offset:         112
        .size:           8
        .value_kind:     hidden_global_offset_y
      - .offset:         120
        .size:           8
        .value_kind:     hidden_global_offset_z
      - .offset:         128
        .size:           2
        .value_kind:     hidden_grid_dims
    .group_segment_fixed_size: 0
    .kernarg_segment_align: 8
    .kernarg_segment_size: 320
    .language:       OpenCL C
    .language_version:
      - 2
      - 0
    .max_flat_workgroup_size: 64
    .name:           _ZN2at6native12_GLOBAL__N_135GammaBetaBackwardCUDAKernelTemplateIffLj64ELj1ELj8ELb1ELb1ELb0EEEvllPKT_S5_PKT0_S8_PS3_S9_
    .private_segment_fixed_size: 0
    .sgpr_count:     44
    .sgpr_spill_count: 0
    .symbol:         _ZN2at6native12_GLOBAL__N_135GammaBetaBackwardCUDAKernelTemplateIffLj64ELj1ELj8ELb1ELb1ELb0EEEvllPKT_S5_PKT0_S8_PS3_S9_.kd
    .uniform_work_group_size: 1
    .uses_dynamic_stack: false
    .vgpr_count:     36
    .vgpr_spill_count: 0
    .wavefront_size: 64
  - .args:
      - .offset:         0
        .size:           8
        .value_kind:     by_value
      - .offset:         8
        .size:           8
        .value_kind:     by_value
      - .actual_access:  read_only
        .address_space:  global
        .offset:         16
        .size:           8
        .value_kind:     global_buffer
      - .actual_access:  read_only
        .address_space:  global
        .offset:         24
        .size:           8
        .value_kind:     global_buffer
      - .actual_access:  read_only
        .address_space:  global
        .offset:         32
        .size:           8
        .value_kind:     global_buffer
      - .actual_access:  read_only
        .address_space:  global
        .offset:         40
        .size:           8
        .value_kind:     global_buffer
      - .actual_access:  write_only
        .address_space:  global
        .offset:         48
        .size:           8
        .value_kind:     global_buffer
      - .actual_access:  write_only
        .address_space:  global
        .offset:         56
        .size:           8
        .value_kind:     global_buffer
      - .offset:         64
        .size:           4
        .value_kind:     hidden_block_count_x
      - .offset:         68
        .size:           4
        .value_kind:     hidden_block_count_y
      - .offset:         72
        .size:           4
        .value_kind:     hidden_block_count_z
      - .offset:         76
        .size:           2
        .value_kind:     hidden_group_size_x
      - .offset:         78
        .size:           2
        .value_kind:     hidden_group_size_y
      - .offset:         80
        .size:           2
        .value_kind:     hidden_group_size_z
      - .offset:         82
        .size:           2
        .value_kind:     hidden_remainder_x
      - .offset:         84
        .size:           2
        .value_kind:     hidden_remainder_y
      - .offset:         86
        .size:           2
        .value_kind:     hidden_remainder_z
      - .offset:         104
        .size:           8
        .value_kind:     hidden_global_offset_x
      - .offset:         112
        .size:           8
        .value_kind:     hidden_global_offset_y
      - .offset:         120
        .size:           8
        .value_kind:     hidden_global_offset_z
      - .offset:         128
        .size:           2
        .value_kind:     hidden_grid_dims
    .group_segment_fixed_size: 0
    .kernarg_segment_align: 8
    .kernarg_segment_size: 320
    .language:       OpenCL C
    .language_version:
      - 2
      - 0
    .max_flat_workgroup_size: 64
    .name:           _ZN2at6native12_GLOBAL__N_135GammaBetaBackwardCUDAKernelTemplateIffLj64ELj1ELj8ELb1ELb0ELb0EEEvllPKT_S5_PKT0_S8_PS3_S9_
    .private_segment_fixed_size: 0
    .sgpr_count:     42
    .sgpr_spill_count: 0
    .symbol:         _ZN2at6native12_GLOBAL__N_135GammaBetaBackwardCUDAKernelTemplateIffLj64ELj1ELj8ELb1ELb0ELb0EEEvllPKT_S5_PKT0_S8_PS3_S9_.kd
    .uniform_work_group_size: 1
    .uses_dynamic_stack: false
    .vgpr_count:     95
    .vgpr_spill_count: 0
    .wavefront_size: 64
  - .args:
      - .offset:         0
        .size:           8
        .value_kind:     by_value
      - .offset:         8
        .size:           8
        .value_kind:     by_value
      - .actual_access:  read_only
        .address_space:  global
        .offset:         16
        .size:           8
        .value_kind:     global_buffer
      - .actual_access:  read_only
        .address_space:  global
        .offset:         24
        .size:           8
        .value_kind:     global_buffer
      - .actual_access:  read_only
        .address_space:  global
        .offset:         32
        .size:           8
        .value_kind:     global_buffer
      - .actual_access:  read_only
        .address_space:  global
        .offset:         40
        .size:           8
        .value_kind:     global_buffer
      - .actual_access:  write_only
        .address_space:  global
        .offset:         48
        .size:           8
        .value_kind:     global_buffer
      - .actual_access:  write_only
        .address_space:  global
        .offset:         56
        .size:           8
        .value_kind:     global_buffer
      - .offset:         64
        .size:           4
        .value_kind:     hidden_block_count_x
      - .offset:         68
        .size:           4
        .value_kind:     hidden_block_count_y
      - .offset:         72
        .size:           4
        .value_kind:     hidden_block_count_z
      - .offset:         76
        .size:           2
        .value_kind:     hidden_group_size_x
      - .offset:         78
        .size:           2
        .value_kind:     hidden_group_size_y
      - .offset:         80
        .size:           2
        .value_kind:     hidden_group_size_z
      - .offset:         82
        .size:           2
        .value_kind:     hidden_remainder_x
      - .offset:         84
        .size:           2
        .value_kind:     hidden_remainder_y
      - .offset:         86
        .size:           2
        .value_kind:     hidden_remainder_z
      - .offset:         104
        .size:           8
        .value_kind:     hidden_global_offset_x
      - .offset:         112
        .size:           8
        .value_kind:     hidden_global_offset_y
      - .offset:         120
        .size:           8
        .value_kind:     hidden_global_offset_z
      - .offset:         128
        .size:           2
        .value_kind:     hidden_grid_dims
      - .offset:         184
        .size:           4
        .value_kind:     hidden_dynamic_lds_size
    .group_segment_fixed_size: 0
    .kernarg_segment_align: 8
    .kernarg_segment_size: 320
    .language:       OpenCL C
    .language_version:
      - 2
      - 0
    .max_flat_workgroup_size: 512
    .name:           _ZN2at6native12_GLOBAL__N_135GammaBetaBackwardCUDAKernelTemplateIffLj64ELj8ELj64ELb0ELb1ELb0EEEvllPKT_S5_PKT0_S8_PS3_S9_
    .private_segment_fixed_size: 0
    .sgpr_count:     36
    .sgpr_spill_count: 0
    .symbol:         _ZN2at6native12_GLOBAL__N_135GammaBetaBackwardCUDAKernelTemplateIffLj64ELj8ELj64ELb0ELb1ELb0EEEvllPKT_S5_PKT0_S8_PS3_S9_.kd
    .uniform_work_group_size: 1
    .uses_dynamic_stack: false
    .vgpr_count:     35
    .vgpr_spill_count: 0
    .wavefront_size: 64
  - .args:
      - .offset:         0
        .size:           8
        .value_kind:     by_value
      - .offset:         8
        .size:           8
        .value_kind:     by_value
      - .actual_access:  read_only
        .address_space:  global
        .offset:         16
        .size:           8
        .value_kind:     global_buffer
      - .actual_access:  read_only
        .address_space:  global
        .offset:         24
        .size:           8
        .value_kind:     global_buffer
      - .actual_access:  read_only
        .address_space:  global
        .offset:         32
        .size:           8
        .value_kind:     global_buffer
      - .actual_access:  read_only
        .address_space:  global
        .offset:         40
        .size:           8
        .value_kind:     global_buffer
      - .actual_access:  write_only
        .address_space:  global
        .offset:         48
        .size:           8
        .value_kind:     global_buffer
      - .actual_access:  write_only
        .address_space:  global
        .offset:         56
        .size:           8
        .value_kind:     global_buffer
      - .offset:         64
        .size:           4
        .value_kind:     hidden_block_count_x
      - .offset:         68
        .size:           4
        .value_kind:     hidden_block_count_y
      - .offset:         72
        .size:           4
        .value_kind:     hidden_block_count_z
      - .offset:         76
        .size:           2
        .value_kind:     hidden_group_size_x
      - .offset:         78
        .size:           2
        .value_kind:     hidden_group_size_y
      - .offset:         80
        .size:           2
        .value_kind:     hidden_group_size_z
      - .offset:         82
        .size:           2
        .value_kind:     hidden_remainder_x
      - .offset:         84
        .size:           2
        .value_kind:     hidden_remainder_y
      - .offset:         86
        .size:           2
        .value_kind:     hidden_remainder_z
      - .offset:         104
        .size:           8
        .value_kind:     hidden_global_offset_x
      - .offset:         112
        .size:           8
        .value_kind:     hidden_global_offset_y
      - .offset:         120
        .size:           8
        .value_kind:     hidden_global_offset_z
      - .offset:         128
        .size:           2
        .value_kind:     hidden_grid_dims
      - .offset:         184
        .size:           4
        .value_kind:     hidden_dynamic_lds_size
    .group_segment_fixed_size: 0
    .kernarg_segment_align: 8
    .kernarg_segment_size: 320
    .language:       OpenCL C
    .language_version:
      - 2
      - 0
    .max_flat_workgroup_size: 512
    .name:           _ZN2at6native12_GLOBAL__N_135GammaBetaBackwardCUDAKernelTemplateIffLj64ELj8ELj64ELb0ELb0ELb0EEEvllPKT_S5_PKT0_S8_PS3_S9_
    .private_segment_fixed_size: 0
    .sgpr_count:     40
    .sgpr_spill_count: 0
    .symbol:         _ZN2at6native12_GLOBAL__N_135GammaBetaBackwardCUDAKernelTemplateIffLj64ELj8ELj64ELb0ELb0ELb0EEEvllPKT_S5_PKT0_S8_PS3_S9_.kd
    .uniform_work_group_size: 1
    .uses_dynamic_stack: false
    .vgpr_count:     94
    .vgpr_spill_count: 0
    .wavefront_size: 64
  - .args:
      - .offset:         0
        .size:           8
        .value_kind:     by_value
      - .offset:         8
        .size:           8
        .value_kind:     by_value
      - .actual_access:  read_only
        .address_space:  global
        .offset:         16
        .size:           8
        .value_kind:     global_buffer
      - .actual_access:  read_only
        .address_space:  global
        .offset:         24
        .size:           8
        .value_kind:     global_buffer
      - .actual_access:  read_only
        .address_space:  global
        .offset:         32
        .size:           8
        .value_kind:     global_buffer
      - .actual_access:  read_only
        .address_space:  global
        .offset:         40
        .size:           8
        .value_kind:     global_buffer
      - .actual_access:  write_only
        .address_space:  global
        .offset:         48
        .size:           8
        .value_kind:     global_buffer
      - .actual_access:  write_only
        .address_space:  global
        .offset:         56
        .size:           8
        .value_kind:     global_buffer
      - .offset:         64
        .size:           4
        .value_kind:     hidden_block_count_x
      - .offset:         68
        .size:           4
        .value_kind:     hidden_block_count_y
      - .offset:         72
        .size:           4
        .value_kind:     hidden_block_count_z
      - .offset:         76
        .size:           2
        .value_kind:     hidden_group_size_x
      - .offset:         78
        .size:           2
        .value_kind:     hidden_group_size_y
      - .offset:         80
        .size:           2
        .value_kind:     hidden_group_size_z
      - .offset:         82
        .size:           2
        .value_kind:     hidden_remainder_x
      - .offset:         84
        .size:           2
        .value_kind:     hidden_remainder_y
      - .offset:         86
        .size:           2
        .value_kind:     hidden_remainder_z
      - .offset:         104
        .size:           8
        .value_kind:     hidden_global_offset_x
      - .offset:         112
        .size:           8
        .value_kind:     hidden_global_offset_y
      - .offset:         120
        .size:           8
        .value_kind:     hidden_global_offset_z
      - .offset:         128
        .size:           2
        .value_kind:     hidden_grid_dims
      - .offset:         184
        .size:           4
        .value_kind:     hidden_dynamic_lds_size
    .group_segment_fixed_size: 0
    .kernarg_segment_align: 8
    .kernarg_segment_size: 320
    .language:       OpenCL C
    .language_version:
      - 2
      - 0
    .max_flat_workgroup_size: 1024
    .name:           _ZN2at6native12_GLOBAL__N_135GammaBetaBackwardCUDAKernelTemplateIffLj64ELj16ELj128ELb0ELb1ELb0EEEvllPKT_S5_PKT0_S8_PS3_S9_
    .private_segment_fixed_size: 0
    .sgpr_count:     36
    .sgpr_spill_count: 0
    .symbol:         _ZN2at6native12_GLOBAL__N_135GammaBetaBackwardCUDAKernelTemplateIffLj64ELj16ELj128ELb0ELb1ELb0EEEvllPKT_S5_PKT0_S8_PS3_S9_.kd
    .uniform_work_group_size: 1
    .uses_dynamic_stack: false
    .vgpr_count:     35
    .vgpr_spill_count: 0
    .wavefront_size: 64
  - .args:
      - .offset:         0
        .size:           8
        .value_kind:     by_value
      - .offset:         8
        .size:           8
        .value_kind:     by_value
      - .actual_access:  read_only
        .address_space:  global
        .offset:         16
        .size:           8
        .value_kind:     global_buffer
      - .actual_access:  read_only
        .address_space:  global
        .offset:         24
        .size:           8
        .value_kind:     global_buffer
      - .actual_access:  read_only
        .address_space:  global
        .offset:         32
        .size:           8
        .value_kind:     global_buffer
      - .actual_access:  read_only
        .address_space:  global
        .offset:         40
        .size:           8
        .value_kind:     global_buffer
      - .actual_access:  write_only
        .address_space:  global
        .offset:         48
        .size:           8
        .value_kind:     global_buffer
      - .actual_access:  write_only
        .address_space:  global
        .offset:         56
        .size:           8
        .value_kind:     global_buffer
      - .offset:         64
        .size:           4
        .value_kind:     hidden_block_count_x
      - .offset:         68
        .size:           4
        .value_kind:     hidden_block_count_y
      - .offset:         72
        .size:           4
        .value_kind:     hidden_block_count_z
      - .offset:         76
        .size:           2
        .value_kind:     hidden_group_size_x
      - .offset:         78
        .size:           2
        .value_kind:     hidden_group_size_y
      - .offset:         80
        .size:           2
        .value_kind:     hidden_group_size_z
      - .offset:         82
        .size:           2
        .value_kind:     hidden_remainder_x
      - .offset:         84
        .size:           2
        .value_kind:     hidden_remainder_y
      - .offset:         86
        .size:           2
        .value_kind:     hidden_remainder_z
      - .offset:         104
        .size:           8
        .value_kind:     hidden_global_offset_x
      - .offset:         112
        .size:           8
        .value_kind:     hidden_global_offset_y
      - .offset:         120
        .size:           8
        .value_kind:     hidden_global_offset_z
      - .offset:         128
        .size:           2
        .value_kind:     hidden_grid_dims
      - .offset:         184
        .size:           4
        .value_kind:     hidden_dynamic_lds_size
    .group_segment_fixed_size: 0
    .kernarg_segment_align: 8
    .kernarg_segment_size: 320
    .language:       OpenCL C
    .language_version:
      - 2
      - 0
    .max_flat_workgroup_size: 1024
    .name:           _ZN2at6native12_GLOBAL__N_135GammaBetaBackwardCUDAKernelTemplateIffLj64ELj16ELj128ELb0ELb0ELb0EEEvllPKT_S5_PKT0_S8_PS3_S9_
    .private_segment_fixed_size: 116
    .sgpr_count:     44
    .sgpr_spill_count: 0
    .symbol:         _ZN2at6native12_GLOBAL__N_135GammaBetaBackwardCUDAKernelTemplateIffLj64ELj16ELj128ELb0ELb0ELb0EEEvllPKT_S5_PKT0_S8_PS3_S9_.kd
    .uniform_work_group_size: 1
    .uses_dynamic_stack: false
    .vgpr_count:     64
    .vgpr_spill_count: 63
    .wavefront_size: 64
  - .args:
      - .offset:         0
        .size:           8
        .value_kind:     by_value
      - .offset:         8
        .size:           8
        .value_kind:     by_value
      - .actual_access:  read_only
        .address_space:  global
        .offset:         16
        .size:           8
        .value_kind:     global_buffer
      - .actual_access:  read_only
        .address_space:  global
        .offset:         24
        .size:           8
        .value_kind:     global_buffer
      - .actual_access:  read_only
        .address_space:  global
        .offset:         32
        .size:           8
        .value_kind:     global_buffer
      - .actual_access:  read_only
        .address_space:  global
        .offset:         40
        .size:           8
        .value_kind:     global_buffer
      - .actual_access:  write_only
        .address_space:  global
        .offset:         48
        .size:           8
        .value_kind:     global_buffer
      - .actual_access:  write_only
        .address_space:  global
        .offset:         56
        .size:           8
        .value_kind:     global_buffer
      - .offset:         64
        .size:           4
        .value_kind:     hidden_block_count_x
      - .offset:         68
        .size:           4
        .value_kind:     hidden_block_count_y
      - .offset:         72
        .size:           4
        .value_kind:     hidden_block_count_z
      - .offset:         76
        .size:           2
        .value_kind:     hidden_group_size_x
      - .offset:         78
        .size:           2
        .value_kind:     hidden_group_size_y
      - .offset:         80
        .size:           2
        .value_kind:     hidden_group_size_z
      - .offset:         82
        .size:           2
        .value_kind:     hidden_remainder_x
      - .offset:         84
        .size:           2
        .value_kind:     hidden_remainder_y
      - .offset:         86
        .size:           2
        .value_kind:     hidden_remainder_z
      - .offset:         104
        .size:           8
        .value_kind:     hidden_global_offset_x
      - .offset:         112
        .size:           8
        .value_kind:     hidden_global_offset_y
      - .offset:         120
        .size:           8
        .value_kind:     hidden_global_offset_z
      - .offset:         128
        .size:           2
        .value_kind:     hidden_grid_dims
      - .offset:         184
        .size:           4
        .value_kind:     hidden_dynamic_lds_size
    .group_segment_fixed_size: 0
    .kernarg_segment_align: 8
    .kernarg_segment_size: 320
    .language:       OpenCL C
    .language_version:
      - 2
      - 0
    .max_flat_workgroup_size: 1024
    .name:           _ZN2at6native12_GLOBAL__N_135GammaBetaBackwardCUDAKernelTemplateIffLj64ELj16ELj256ELb0ELb1ELb0EEEvllPKT_S5_PKT0_S8_PS3_S9_
    .private_segment_fixed_size: 0
    .sgpr_count:     36
    .sgpr_spill_count: 0
    .symbol:         _ZN2at6native12_GLOBAL__N_135GammaBetaBackwardCUDAKernelTemplateIffLj64ELj16ELj256ELb0ELb1ELb0EEEvllPKT_S5_PKT0_S8_PS3_S9_.kd
    .uniform_work_group_size: 1
    .uses_dynamic_stack: false
    .vgpr_count:     63
    .vgpr_spill_count: 0
    .wavefront_size: 64
  - .args:
      - .offset:         0
        .size:           8
        .value_kind:     by_value
      - .offset:         8
        .size:           8
        .value_kind:     by_value
      - .actual_access:  read_only
        .address_space:  global
        .offset:         16
        .size:           8
        .value_kind:     global_buffer
      - .actual_access:  read_only
        .address_space:  global
        .offset:         24
        .size:           8
        .value_kind:     global_buffer
      - .actual_access:  read_only
        .address_space:  global
        .offset:         32
        .size:           8
        .value_kind:     global_buffer
      - .actual_access:  read_only
        .address_space:  global
        .offset:         40
        .size:           8
        .value_kind:     global_buffer
      - .actual_access:  write_only
        .address_space:  global
        .offset:         48
        .size:           8
        .value_kind:     global_buffer
      - .actual_access:  write_only
        .address_space:  global
        .offset:         56
        .size:           8
        .value_kind:     global_buffer
      - .offset:         64
        .size:           4
        .value_kind:     hidden_block_count_x
      - .offset:         68
        .size:           4
        .value_kind:     hidden_block_count_y
      - .offset:         72
        .size:           4
        .value_kind:     hidden_block_count_z
      - .offset:         76
        .size:           2
        .value_kind:     hidden_group_size_x
      - .offset:         78
        .size:           2
        .value_kind:     hidden_group_size_y
      - .offset:         80
        .size:           2
        .value_kind:     hidden_group_size_z
      - .offset:         82
        .size:           2
        .value_kind:     hidden_remainder_x
      - .offset:         84
        .size:           2
        .value_kind:     hidden_remainder_y
      - .offset:         86
        .size:           2
        .value_kind:     hidden_remainder_z
      - .offset:         104
        .size:           8
        .value_kind:     hidden_global_offset_x
      - .offset:         112
        .size:           8
        .value_kind:     hidden_global_offset_y
      - .offset:         120
        .size:           8
        .value_kind:     hidden_global_offset_z
      - .offset:         128
        .size:           2
        .value_kind:     hidden_grid_dims
      - .offset:         184
        .size:           4
        .value_kind:     hidden_dynamic_lds_size
    .group_segment_fixed_size: 0
    .kernarg_segment_align: 8
    .kernarg_segment_size: 320
    .language:       OpenCL C
    .language_version:
      - 2
      - 0
    .max_flat_workgroup_size: 1024
    .name:           _ZN2at6native12_GLOBAL__N_135GammaBetaBackwardCUDAKernelTemplateIffLj64ELj16ELj256ELb0ELb0ELb0EEEvllPKT_S5_PKT0_S8_PS3_S9_
    .private_segment_fixed_size: 444
    .sgpr_count:     44
    .sgpr_spill_count: 0
    .symbol:         _ZN2at6native12_GLOBAL__N_135GammaBetaBackwardCUDAKernelTemplateIffLj64ELj16ELj256ELb0ELb0ELb0EEEvllPKT_S5_PKT0_S8_PS3_S9_.kd
    .uniform_work_group_size: 1
    .uses_dynamic_stack: false
    .vgpr_count:     64
    .vgpr_spill_count: 313
    .wavefront_size: 64
  - .args:
      - .offset:         0
        .size:           8
        .value_kind:     by_value
      - .offset:         8
        .size:           8
        .value_kind:     by_value
      - .actual_access:  read_only
        .address_space:  global
        .offset:         16
        .size:           8
        .value_kind:     global_buffer
      - .actual_access:  read_only
        .address_space:  global
        .offset:         24
        .size:           8
        .value_kind:     global_buffer
      - .actual_access:  read_only
        .address_space:  global
        .offset:         32
        .size:           8
        .value_kind:     global_buffer
      - .actual_access:  read_only
        .address_space:  global
        .offset:         40
        .size:           8
        .value_kind:     global_buffer
      - .actual_access:  write_only
        .address_space:  global
        .offset:         48
        .size:           8
        .value_kind:     global_buffer
      - .actual_access:  write_only
        .address_space:  global
        .offset:         56
        .size:           8
        .value_kind:     global_buffer
      - .offset:         64
        .size:           4
        .value_kind:     hidden_block_count_x
      - .offset:         68
        .size:           4
        .value_kind:     hidden_block_count_y
      - .offset:         72
        .size:           4
        .value_kind:     hidden_block_count_z
      - .offset:         76
        .size:           2
        .value_kind:     hidden_group_size_x
      - .offset:         78
        .size:           2
        .value_kind:     hidden_group_size_y
      - .offset:         80
        .size:           2
        .value_kind:     hidden_group_size_z
      - .offset:         82
        .size:           2
        .value_kind:     hidden_remainder_x
      - .offset:         84
        .size:           2
        .value_kind:     hidden_remainder_y
      - .offset:         86
        .size:           2
        .value_kind:     hidden_remainder_z
      - .offset:         104
        .size:           8
        .value_kind:     hidden_global_offset_x
      - .offset:         112
        .size:           8
        .value_kind:     hidden_global_offset_y
      - .offset:         120
        .size:           8
        .value_kind:     hidden_global_offset_z
      - .offset:         128
        .size:           2
        .value_kind:     hidden_grid_dims
    .group_segment_fixed_size: 0
    .kernarg_segment_align: 8
    .kernarg_segment_size: 320
    .language:       OpenCL C
    .language_version:
      - 2
      - 0
    .max_flat_workgroup_size: 32
    .name:           _ZN2at6native12_GLOBAL__N_135GammaBetaBackwardCUDAKernelTemplateIffLj32ELj1ELj32ELb1ELb1ELb0EEEvllPKT_S5_PKT0_S8_PS3_S9_
    .private_segment_fixed_size: 0
    .sgpr_count:     44
    .sgpr_spill_count: 0
    .symbol:         _ZN2at6native12_GLOBAL__N_135GammaBetaBackwardCUDAKernelTemplateIffLj32ELj1ELj32ELb1ELb1ELb0EEEvllPKT_S5_PKT0_S8_PS3_S9_.kd
    .uniform_work_group_size: 1
    .uses_dynamic_stack: false
    .vgpr_count:     84
    .vgpr_spill_count: 0
    .wavefront_size: 64
  - .args:
      - .offset:         0
        .size:           8
        .value_kind:     by_value
      - .offset:         8
        .size:           8
        .value_kind:     by_value
      - .actual_access:  read_only
        .address_space:  global
        .offset:         16
        .size:           8
        .value_kind:     global_buffer
      - .actual_access:  read_only
        .address_space:  global
        .offset:         24
        .size:           8
        .value_kind:     global_buffer
      - .actual_access:  read_only
        .address_space:  global
        .offset:         32
        .size:           8
        .value_kind:     global_buffer
      - .actual_access:  read_only
        .address_space:  global
        .offset:         40
        .size:           8
        .value_kind:     global_buffer
      - .actual_access:  write_only
        .address_space:  global
        .offset:         48
        .size:           8
        .value_kind:     global_buffer
      - .actual_access:  write_only
        .address_space:  global
        .offset:         56
        .size:           8
        .value_kind:     global_buffer
      - .offset:         64
        .size:           4
        .value_kind:     hidden_block_count_x
      - .offset:         68
        .size:           4
        .value_kind:     hidden_block_count_y
      - .offset:         72
        .size:           4
        .value_kind:     hidden_block_count_z
      - .offset:         76
        .size:           2
        .value_kind:     hidden_group_size_x
      - .offset:         78
        .size:           2
        .value_kind:     hidden_group_size_y
      - .offset:         80
        .size:           2
        .value_kind:     hidden_group_size_z
      - .offset:         82
        .size:           2
        .value_kind:     hidden_remainder_x
      - .offset:         84
        .size:           2
        .value_kind:     hidden_remainder_y
      - .offset:         86
        .size:           2
        .value_kind:     hidden_remainder_z
      - .offset:         104
        .size:           8
        .value_kind:     hidden_global_offset_x
      - .offset:         112
        .size:           8
        .value_kind:     hidden_global_offset_y
      - .offset:         120
        .size:           8
        .value_kind:     hidden_global_offset_z
      - .offset:         128
        .size:           2
        .value_kind:     hidden_grid_dims
    .group_segment_fixed_size: 0
    .kernarg_segment_align: 8
    .kernarg_segment_size: 320
    .language:       OpenCL C
    .language_version:
      - 2
      - 0
    .max_flat_workgroup_size: 32
    .name:           _ZN2at6native12_GLOBAL__N_135GammaBetaBackwardCUDAKernelTemplateIffLj32ELj1ELj32ELb1ELb0ELb0EEEvllPKT_S5_PKT0_S8_PS3_S9_
    .private_segment_fixed_size: 316
    .sgpr_count:     48
    .sgpr_spill_count: 0
    .symbol:         _ZN2at6native12_GLOBAL__N_135GammaBetaBackwardCUDAKernelTemplateIffLj32ELj1ELj32ELb1ELb0ELb0EEEvllPKT_S5_PKT0_S8_PS3_S9_.kd
    .uniform_work_group_size: 1
    .uses_dynamic_stack: false
    .vgpr_count:     256
    .vgpr_spill_count: 150
    .wavefront_size: 64
  - .args:
      - .offset:         0
        .size:           8
        .value_kind:     by_value
      - .offset:         8
        .size:           8
        .value_kind:     by_value
      - .actual_access:  read_only
        .address_space:  global
        .offset:         16
        .size:           8
        .value_kind:     global_buffer
      - .actual_access:  read_only
        .address_space:  global
        .offset:         24
        .size:           8
        .value_kind:     global_buffer
      - .actual_access:  read_only
        .address_space:  global
        .offset:         32
        .size:           8
        .value_kind:     global_buffer
      - .actual_access:  read_only
        .address_space:  global
        .offset:         40
        .size:           8
        .value_kind:     global_buffer
      - .actual_access:  write_only
        .address_space:  global
        .offset:         48
        .size:           8
        .value_kind:     global_buffer
      - .actual_access:  write_only
        .address_space:  global
        .offset:         56
        .size:           8
        .value_kind:     global_buffer
      - .offset:         64
        .size:           4
        .value_kind:     hidden_block_count_x
      - .offset:         68
        .size:           4
        .value_kind:     hidden_block_count_y
      - .offset:         72
        .size:           4
        .value_kind:     hidden_block_count_z
      - .offset:         76
        .size:           2
        .value_kind:     hidden_group_size_x
      - .offset:         78
        .size:           2
        .value_kind:     hidden_group_size_y
      - .offset:         80
        .size:           2
        .value_kind:     hidden_group_size_z
      - .offset:         82
        .size:           2
        .value_kind:     hidden_remainder_x
      - .offset:         84
        .size:           2
        .value_kind:     hidden_remainder_y
      - .offset:         86
        .size:           2
        .value_kind:     hidden_remainder_z
      - .offset:         104
        .size:           8
        .value_kind:     hidden_global_offset_x
      - .offset:         112
        .size:           8
        .value_kind:     hidden_global_offset_y
      - .offset:         120
        .size:           8
        .value_kind:     hidden_global_offset_z
      - .offset:         128
        .size:           2
        .value_kind:     hidden_grid_dims
    .group_segment_fixed_size: 0
    .kernarg_segment_align: 8
    .kernarg_segment_size: 320
    .language:       OpenCL C
    .language_version:
      - 2
      - 0
    .max_flat_workgroup_size: 32
    .name:           _ZN2at6native12_GLOBAL__N_135GammaBetaBackwardCUDAKernelTemplateIffLj32ELj1ELj8ELb1ELb1ELb0EEEvllPKT_S5_PKT0_S8_PS3_S9_
    .private_segment_fixed_size: 0
    .sgpr_count:     44
    .sgpr_spill_count: 0
    .symbol:         _ZN2at6native12_GLOBAL__N_135GammaBetaBackwardCUDAKernelTemplateIffLj32ELj1ELj8ELb1ELb1ELb0EEEvllPKT_S5_PKT0_S8_PS3_S9_.kd
    .uniform_work_group_size: 1
    .uses_dynamic_stack: false
    .vgpr_count:     36
    .vgpr_spill_count: 0
    .wavefront_size: 64
  - .args:
      - .offset:         0
        .size:           8
        .value_kind:     by_value
      - .offset:         8
        .size:           8
        .value_kind:     by_value
      - .actual_access:  read_only
        .address_space:  global
        .offset:         16
        .size:           8
        .value_kind:     global_buffer
      - .actual_access:  read_only
        .address_space:  global
        .offset:         24
        .size:           8
        .value_kind:     global_buffer
      - .actual_access:  read_only
        .address_space:  global
        .offset:         32
        .size:           8
        .value_kind:     global_buffer
      - .actual_access:  read_only
        .address_space:  global
        .offset:         40
        .size:           8
        .value_kind:     global_buffer
      - .actual_access:  write_only
        .address_space:  global
        .offset:         48
        .size:           8
        .value_kind:     global_buffer
      - .actual_access:  write_only
        .address_space:  global
        .offset:         56
        .size:           8
        .value_kind:     global_buffer
      - .offset:         64
        .size:           4
        .value_kind:     hidden_block_count_x
      - .offset:         68
        .size:           4
        .value_kind:     hidden_block_count_y
      - .offset:         72
        .size:           4
        .value_kind:     hidden_block_count_z
      - .offset:         76
        .size:           2
        .value_kind:     hidden_group_size_x
      - .offset:         78
        .size:           2
        .value_kind:     hidden_group_size_y
      - .offset:         80
        .size:           2
        .value_kind:     hidden_group_size_z
      - .offset:         82
        .size:           2
        .value_kind:     hidden_remainder_x
      - .offset:         84
        .size:           2
        .value_kind:     hidden_remainder_y
      - .offset:         86
        .size:           2
        .value_kind:     hidden_remainder_z
      - .offset:         104
        .size:           8
        .value_kind:     hidden_global_offset_x
      - .offset:         112
        .size:           8
        .value_kind:     hidden_global_offset_y
      - .offset:         120
        .size:           8
        .value_kind:     hidden_global_offset_z
      - .offset:         128
        .size:           2
        .value_kind:     hidden_grid_dims
    .group_segment_fixed_size: 0
    .kernarg_segment_align: 8
    .kernarg_segment_size: 320
    .language:       OpenCL C
    .language_version:
      - 2
      - 0
    .max_flat_workgroup_size: 32
    .name:           _ZN2at6native12_GLOBAL__N_135GammaBetaBackwardCUDAKernelTemplateIffLj32ELj1ELj8ELb1ELb0ELb0EEEvllPKT_S5_PKT0_S8_PS3_S9_
    .private_segment_fixed_size: 0
    .sgpr_count:     42
    .sgpr_spill_count: 0
    .symbol:         _ZN2at6native12_GLOBAL__N_135GammaBetaBackwardCUDAKernelTemplateIffLj32ELj1ELj8ELb1ELb0ELb0EEEvllPKT_S5_PKT0_S8_PS3_S9_.kd
    .uniform_work_group_size: 1
    .uses_dynamic_stack: false
    .vgpr_count:     95
    .vgpr_spill_count: 0
    .wavefront_size: 64
  - .args:
      - .offset:         0
        .size:           8
        .value_kind:     by_value
      - .offset:         8
        .size:           8
        .value_kind:     by_value
      - .actual_access:  read_only
        .address_space:  global
        .offset:         16
        .size:           8
        .value_kind:     global_buffer
      - .actual_access:  read_only
        .address_space:  global
        .offset:         24
        .size:           8
        .value_kind:     global_buffer
      - .actual_access:  read_only
        .address_space:  global
        .offset:         32
        .size:           8
        .value_kind:     global_buffer
      - .actual_access:  read_only
        .address_space:  global
        .offset:         40
        .size:           8
        .value_kind:     global_buffer
      - .actual_access:  write_only
        .address_space:  global
        .offset:         48
        .size:           8
        .value_kind:     global_buffer
      - .actual_access:  write_only
        .address_space:  global
        .offset:         56
        .size:           8
        .value_kind:     global_buffer
      - .offset:         64
        .size:           4
        .value_kind:     hidden_block_count_x
      - .offset:         68
        .size:           4
        .value_kind:     hidden_block_count_y
      - .offset:         72
        .size:           4
        .value_kind:     hidden_block_count_z
      - .offset:         76
        .size:           2
        .value_kind:     hidden_group_size_x
      - .offset:         78
        .size:           2
        .value_kind:     hidden_group_size_y
      - .offset:         80
        .size:           2
        .value_kind:     hidden_group_size_z
      - .offset:         82
        .size:           2
        .value_kind:     hidden_remainder_x
      - .offset:         84
        .size:           2
        .value_kind:     hidden_remainder_y
      - .offset:         86
        .size:           2
        .value_kind:     hidden_remainder_z
      - .offset:         104
        .size:           8
        .value_kind:     hidden_global_offset_x
      - .offset:         112
        .size:           8
        .value_kind:     hidden_global_offset_y
      - .offset:         120
        .size:           8
        .value_kind:     hidden_global_offset_z
      - .offset:         128
        .size:           2
        .value_kind:     hidden_grid_dims
      - .offset:         184
        .size:           4
        .value_kind:     hidden_dynamic_lds_size
    .group_segment_fixed_size: 0
    .kernarg_segment_align: 8
    .kernarg_segment_size: 320
    .language:       OpenCL C
    .language_version:
      - 2
      - 0
    .max_flat_workgroup_size: 256
    .name:           _ZN2at6native12_GLOBAL__N_135GammaBetaBackwardCUDAKernelTemplateIffLj32ELj8ELj64ELb0ELb1ELb0EEEvllPKT_S5_PKT0_S8_PS3_S9_
    .private_segment_fixed_size: 0
    .sgpr_count:     36
    .sgpr_spill_count: 0
    .symbol:         _ZN2at6native12_GLOBAL__N_135GammaBetaBackwardCUDAKernelTemplateIffLj32ELj8ELj64ELb0ELb1ELb0EEEvllPKT_S5_PKT0_S8_PS3_S9_.kd
    .uniform_work_group_size: 1
    .uses_dynamic_stack: false
    .vgpr_count:     35
    .vgpr_spill_count: 0
    .wavefront_size: 64
  - .args:
      - .offset:         0
        .size:           8
        .value_kind:     by_value
      - .offset:         8
        .size:           8
        .value_kind:     by_value
      - .actual_access:  read_only
        .address_space:  global
        .offset:         16
        .size:           8
        .value_kind:     global_buffer
      - .actual_access:  read_only
        .address_space:  global
        .offset:         24
        .size:           8
        .value_kind:     global_buffer
      - .actual_access:  read_only
        .address_space:  global
        .offset:         32
        .size:           8
        .value_kind:     global_buffer
      - .actual_access:  read_only
        .address_space:  global
        .offset:         40
        .size:           8
        .value_kind:     global_buffer
      - .actual_access:  write_only
        .address_space:  global
        .offset:         48
        .size:           8
        .value_kind:     global_buffer
      - .actual_access:  write_only
        .address_space:  global
        .offset:         56
        .size:           8
        .value_kind:     global_buffer
      - .offset:         64
        .size:           4
        .value_kind:     hidden_block_count_x
      - .offset:         68
        .size:           4
        .value_kind:     hidden_block_count_y
      - .offset:         72
        .size:           4
        .value_kind:     hidden_block_count_z
      - .offset:         76
        .size:           2
        .value_kind:     hidden_group_size_x
      - .offset:         78
        .size:           2
        .value_kind:     hidden_group_size_y
      - .offset:         80
        .size:           2
        .value_kind:     hidden_group_size_z
      - .offset:         82
        .size:           2
        .value_kind:     hidden_remainder_x
      - .offset:         84
        .size:           2
        .value_kind:     hidden_remainder_y
      - .offset:         86
        .size:           2
        .value_kind:     hidden_remainder_z
      - .offset:         104
        .size:           8
        .value_kind:     hidden_global_offset_x
      - .offset:         112
        .size:           8
        .value_kind:     hidden_global_offset_y
      - .offset:         120
        .size:           8
        .value_kind:     hidden_global_offset_z
      - .offset:         128
        .size:           2
        .value_kind:     hidden_grid_dims
      - .offset:         184
        .size:           4
        .value_kind:     hidden_dynamic_lds_size
    .group_segment_fixed_size: 0
    .kernarg_segment_align: 8
    .kernarg_segment_size: 320
    .language:       OpenCL C
    .language_version:
      - 2
      - 0
    .max_flat_workgroup_size: 256
    .name:           _ZN2at6native12_GLOBAL__N_135GammaBetaBackwardCUDAKernelTemplateIffLj32ELj8ELj64ELb0ELb0ELb0EEEvllPKT_S5_PKT0_S8_PS3_S9_
    .private_segment_fixed_size: 0
    .sgpr_count:     40
    .sgpr_spill_count: 0
    .symbol:         _ZN2at6native12_GLOBAL__N_135GammaBetaBackwardCUDAKernelTemplateIffLj32ELj8ELj64ELb0ELb0ELb0EEEvllPKT_S5_PKT0_S8_PS3_S9_.kd
    .uniform_work_group_size: 1
    .uses_dynamic_stack: false
    .vgpr_count:     94
    .vgpr_spill_count: 0
    .wavefront_size: 64
  - .args:
      - .offset:         0
        .size:           8
        .value_kind:     by_value
      - .offset:         8
        .size:           8
        .value_kind:     by_value
      - .actual_access:  read_only
        .address_space:  global
        .offset:         16
        .size:           8
        .value_kind:     global_buffer
      - .actual_access:  read_only
        .address_space:  global
        .offset:         24
        .size:           8
        .value_kind:     global_buffer
      - .actual_access:  read_only
        .address_space:  global
        .offset:         32
        .size:           8
        .value_kind:     global_buffer
      - .actual_access:  read_only
        .address_space:  global
        .offset:         40
        .size:           8
        .value_kind:     global_buffer
      - .actual_access:  write_only
        .address_space:  global
        .offset:         48
        .size:           8
        .value_kind:     global_buffer
      - .actual_access:  write_only
        .address_space:  global
        .offset:         56
        .size:           8
        .value_kind:     global_buffer
      - .offset:         64
        .size:           4
        .value_kind:     hidden_block_count_x
      - .offset:         68
        .size:           4
        .value_kind:     hidden_block_count_y
      - .offset:         72
        .size:           4
        .value_kind:     hidden_block_count_z
      - .offset:         76
        .size:           2
        .value_kind:     hidden_group_size_x
      - .offset:         78
        .size:           2
        .value_kind:     hidden_group_size_y
      - .offset:         80
        .size:           2
        .value_kind:     hidden_group_size_z
      - .offset:         82
        .size:           2
        .value_kind:     hidden_remainder_x
      - .offset:         84
        .size:           2
        .value_kind:     hidden_remainder_y
      - .offset:         86
        .size:           2
        .value_kind:     hidden_remainder_z
      - .offset:         104
        .size:           8
        .value_kind:     hidden_global_offset_x
      - .offset:         112
        .size:           8
        .value_kind:     hidden_global_offset_y
      - .offset:         120
        .size:           8
        .value_kind:     hidden_global_offset_z
      - .offset:         128
        .size:           2
        .value_kind:     hidden_grid_dims
      - .offset:         184
        .size:           4
        .value_kind:     hidden_dynamic_lds_size
    .group_segment_fixed_size: 0
    .kernarg_segment_align: 8
    .kernarg_segment_size: 320
    .language:       OpenCL C
    .language_version:
      - 2
      - 0
    .max_flat_workgroup_size: 512
    .name:           _ZN2at6native12_GLOBAL__N_135GammaBetaBackwardCUDAKernelTemplateIffLj32ELj16ELj128ELb0ELb1ELb0EEEvllPKT_S5_PKT0_S8_PS3_S9_
    .private_segment_fixed_size: 0
    .sgpr_count:     36
    .sgpr_spill_count: 0
    .symbol:         _ZN2at6native12_GLOBAL__N_135GammaBetaBackwardCUDAKernelTemplateIffLj32ELj16ELj128ELb0ELb1ELb0EEEvllPKT_S5_PKT0_S8_PS3_S9_.kd
    .uniform_work_group_size: 1
    .uses_dynamic_stack: false
    .vgpr_count:     35
    .vgpr_spill_count: 0
    .wavefront_size: 64
  - .args:
      - .offset:         0
        .size:           8
        .value_kind:     by_value
      - .offset:         8
        .size:           8
        .value_kind:     by_value
      - .actual_access:  read_only
        .address_space:  global
        .offset:         16
        .size:           8
        .value_kind:     global_buffer
      - .actual_access:  read_only
        .address_space:  global
        .offset:         24
        .size:           8
        .value_kind:     global_buffer
      - .actual_access:  read_only
        .address_space:  global
        .offset:         32
        .size:           8
        .value_kind:     global_buffer
      - .actual_access:  read_only
        .address_space:  global
        .offset:         40
        .size:           8
        .value_kind:     global_buffer
      - .actual_access:  write_only
        .address_space:  global
        .offset:         48
        .size:           8
        .value_kind:     global_buffer
      - .actual_access:  write_only
        .address_space:  global
        .offset:         56
        .size:           8
        .value_kind:     global_buffer
      - .offset:         64
        .size:           4
        .value_kind:     hidden_block_count_x
      - .offset:         68
        .size:           4
        .value_kind:     hidden_block_count_y
      - .offset:         72
        .size:           4
        .value_kind:     hidden_block_count_z
      - .offset:         76
        .size:           2
        .value_kind:     hidden_group_size_x
      - .offset:         78
        .size:           2
        .value_kind:     hidden_group_size_y
      - .offset:         80
        .size:           2
        .value_kind:     hidden_group_size_z
      - .offset:         82
        .size:           2
        .value_kind:     hidden_remainder_x
      - .offset:         84
        .size:           2
        .value_kind:     hidden_remainder_y
      - .offset:         86
        .size:           2
        .value_kind:     hidden_remainder_z
      - .offset:         104
        .size:           8
        .value_kind:     hidden_global_offset_x
      - .offset:         112
        .size:           8
        .value_kind:     hidden_global_offset_y
      - .offset:         120
        .size:           8
        .value_kind:     hidden_global_offset_z
      - .offset:         128
        .size:           2
        .value_kind:     hidden_grid_dims
      - .offset:         184
        .size:           4
        .value_kind:     hidden_dynamic_lds_size
    .group_segment_fixed_size: 0
    .kernarg_segment_align: 8
    .kernarg_segment_size: 320
    .language:       OpenCL C
    .language_version:
      - 2
      - 0
    .max_flat_workgroup_size: 512
    .name:           _ZN2at6native12_GLOBAL__N_135GammaBetaBackwardCUDAKernelTemplateIffLj32ELj16ELj128ELb0ELb0ELb0EEEvllPKT_S5_PKT0_S8_PS3_S9_
    .private_segment_fixed_size: 0
    .sgpr_count:     40
    .sgpr_spill_count: 0
    .symbol:         _ZN2at6native12_GLOBAL__N_135GammaBetaBackwardCUDAKernelTemplateIffLj32ELj16ELj128ELb0ELb0ELb0EEEvllPKT_S5_PKT0_S8_PS3_S9_.kd
    .uniform_work_group_size: 1
    .uses_dynamic_stack: false
    .vgpr_count:     94
    .vgpr_spill_count: 0
    .wavefront_size: 64
  - .args:
      - .offset:         0
        .size:           8
        .value_kind:     by_value
      - .offset:         8
        .size:           8
        .value_kind:     by_value
      - .actual_access:  read_only
        .address_space:  global
        .offset:         16
        .size:           8
        .value_kind:     global_buffer
      - .actual_access:  read_only
        .address_space:  global
        .offset:         24
        .size:           8
        .value_kind:     global_buffer
      - .actual_access:  read_only
        .address_space:  global
        .offset:         32
        .size:           8
        .value_kind:     global_buffer
      - .actual_access:  read_only
        .address_space:  global
        .offset:         40
        .size:           8
        .value_kind:     global_buffer
      - .actual_access:  write_only
        .address_space:  global
        .offset:         48
        .size:           8
        .value_kind:     global_buffer
      - .actual_access:  write_only
        .address_space:  global
        .offset:         56
        .size:           8
        .value_kind:     global_buffer
      - .offset:         64
        .size:           4
        .value_kind:     hidden_block_count_x
      - .offset:         68
        .size:           4
        .value_kind:     hidden_block_count_y
      - .offset:         72
        .size:           4
        .value_kind:     hidden_block_count_z
      - .offset:         76
        .size:           2
        .value_kind:     hidden_group_size_x
      - .offset:         78
        .size:           2
        .value_kind:     hidden_group_size_y
      - .offset:         80
        .size:           2
        .value_kind:     hidden_group_size_z
      - .offset:         82
        .size:           2
        .value_kind:     hidden_remainder_x
      - .offset:         84
        .size:           2
        .value_kind:     hidden_remainder_y
      - .offset:         86
        .size:           2
        .value_kind:     hidden_remainder_z
      - .offset:         104
        .size:           8
        .value_kind:     hidden_global_offset_x
      - .offset:         112
        .size:           8
        .value_kind:     hidden_global_offset_y
      - .offset:         120
        .size:           8
        .value_kind:     hidden_global_offset_z
      - .offset:         128
        .size:           2
        .value_kind:     hidden_grid_dims
      - .offset:         184
        .size:           4
        .value_kind:     hidden_dynamic_lds_size
    .group_segment_fixed_size: 0
    .kernarg_segment_align: 8
    .kernarg_segment_size: 320
    .language:       OpenCL C
    .language_version:
      - 2
      - 0
    .max_flat_workgroup_size: 1024
    .name:           _ZN2at6native12_GLOBAL__N_135GammaBetaBackwardCUDAKernelTemplateIffLj32ELj32ELj256ELb0ELb1ELb0EEEvllPKT_S5_PKT0_S8_PS3_S9_
    .private_segment_fixed_size: 0
    .sgpr_count:     36
    .sgpr_spill_count: 0
    .symbol:         _ZN2at6native12_GLOBAL__N_135GammaBetaBackwardCUDAKernelTemplateIffLj32ELj32ELj256ELb0ELb1ELb0EEEvllPKT_S5_PKT0_S8_PS3_S9_.kd
    .uniform_work_group_size: 1
    .uses_dynamic_stack: false
    .vgpr_count:     35
    .vgpr_spill_count: 0
    .wavefront_size: 64
  - .args:
      - .offset:         0
        .size:           8
        .value_kind:     by_value
      - .offset:         8
        .size:           8
        .value_kind:     by_value
      - .actual_access:  read_only
        .address_space:  global
        .offset:         16
        .size:           8
        .value_kind:     global_buffer
      - .actual_access:  read_only
        .address_space:  global
        .offset:         24
        .size:           8
        .value_kind:     global_buffer
      - .actual_access:  read_only
        .address_space:  global
        .offset:         32
        .size:           8
        .value_kind:     global_buffer
      - .actual_access:  read_only
        .address_space:  global
        .offset:         40
        .size:           8
        .value_kind:     global_buffer
      - .actual_access:  write_only
        .address_space:  global
        .offset:         48
        .size:           8
        .value_kind:     global_buffer
      - .actual_access:  write_only
        .address_space:  global
        .offset:         56
        .size:           8
        .value_kind:     global_buffer
      - .offset:         64
        .size:           4
        .value_kind:     hidden_block_count_x
      - .offset:         68
        .size:           4
        .value_kind:     hidden_block_count_y
      - .offset:         72
        .size:           4
        .value_kind:     hidden_block_count_z
      - .offset:         76
        .size:           2
        .value_kind:     hidden_group_size_x
      - .offset:         78
        .size:           2
        .value_kind:     hidden_group_size_y
      - .offset:         80
        .size:           2
        .value_kind:     hidden_group_size_z
      - .offset:         82
        .size:           2
        .value_kind:     hidden_remainder_x
      - .offset:         84
        .size:           2
        .value_kind:     hidden_remainder_y
      - .offset:         86
        .size:           2
        .value_kind:     hidden_remainder_z
      - .offset:         104
        .size:           8
        .value_kind:     hidden_global_offset_x
      - .offset:         112
        .size:           8
        .value_kind:     hidden_global_offset_y
      - .offset:         120
        .size:           8
        .value_kind:     hidden_global_offset_z
      - .offset:         128
        .size:           2
        .value_kind:     hidden_grid_dims
      - .offset:         184
        .size:           4
        .value_kind:     hidden_dynamic_lds_size
    .group_segment_fixed_size: 0
    .kernarg_segment_align: 8
    .kernarg_segment_size: 320
    .language:       OpenCL C
    .language_version:
      - 2
      - 0
    .max_flat_workgroup_size: 1024
    .name:           _ZN2at6native12_GLOBAL__N_135GammaBetaBackwardCUDAKernelTemplateIffLj32ELj32ELj256ELb0ELb0ELb0EEEvllPKT_S5_PKT0_S8_PS3_S9_
    .private_segment_fixed_size: 116
    .sgpr_count:     44
    .sgpr_spill_count: 0
    .symbol:         _ZN2at6native12_GLOBAL__N_135GammaBetaBackwardCUDAKernelTemplateIffLj32ELj32ELj256ELb0ELb0ELb0EEEvllPKT_S5_PKT0_S8_PS3_S9_.kd
    .uniform_work_group_size: 1
    .uses_dynamic_stack: false
    .vgpr_count:     64
    .vgpr_spill_count: 63
    .wavefront_size: 64
  - .args:
      - .actual_access:  read_only
        .address_space:  global
        .offset:         0
        .size:           8
        .value_kind:     global_buffer
      - .actual_access:  read_only
        .address_space:  global
        .offset:         8
        .size:           8
        .value_kind:     global_buffer
      - .offset:         16
        .size:           8
        .value_kind:     by_value
      - .offset:         24
        .size:           8
        .value_kind:     by_value
      - .actual_access:  read_only
        .address_space:  global
        .offset:         32
        .size:           8
        .value_kind:     global_buffer
      - .actual_access:  read_only
        .address_space:  global
        .offset:         40
        .size:           8
        .value_kind:     global_buffer
      - .address_space:  global
        .offset:         48
        .size:           8
        .value_kind:     global_buffer
      - .address_space:  global
        .offset:         56
        .size:           8
        .value_kind:     global_buffer
      - .offset:         64
        .size:           4
        .value_kind:     hidden_block_count_x
      - .offset:         68
        .size:           4
        .value_kind:     hidden_block_count_y
      - .offset:         72
        .size:           4
        .value_kind:     hidden_block_count_z
      - .offset:         76
        .size:           2
        .value_kind:     hidden_group_size_x
      - .offset:         78
        .size:           2
        .value_kind:     hidden_group_size_y
      - .offset:         80
        .size:           2
        .value_kind:     hidden_group_size_z
      - .offset:         82
        .size:           2
        .value_kind:     hidden_remainder_x
      - .offset:         84
        .size:           2
        .value_kind:     hidden_remainder_y
      - .offset:         86
        .size:           2
        .value_kind:     hidden_remainder_z
      - .offset:         104
        .size:           8
        .value_kind:     hidden_global_offset_x
      - .offset:         112
        .size:           8
        .value_kind:     hidden_global_offset_y
      - .offset:         120
        .size:           8
        .value_kind:     hidden_global_offset_z
      - .offset:         128
        .size:           2
        .value_kind:     hidden_grid_dims
      - .offset:         184
        .size:           4
        .value_kind:     hidden_dynamic_lds_size
    .group_segment_fixed_size: 0
    .kernarg_segment_align: 8
    .kernarg_segment_size: 320
    .language:       OpenCL C
    .language_version:
      - 2
      - 0
    .max_flat_workgroup_size: 1024
    .name:           _ZN2at6native12_GLOBAL__N_118cuComputeGradInputIN3c104HalfEfLb0EEEvPKT_S7_llPKT0_SA_S7_PS5_
    .private_segment_fixed_size: 0
    .sgpr_count:     55
    .sgpr_spill_count: 0
    .symbol:         _ZN2at6native12_GLOBAL__N_118cuComputeGradInputIN3c104HalfEfLb0EEEvPKT_S7_llPKT0_SA_S7_PS5_.kd
    .uniform_work_group_size: 1
    .uses_dynamic_stack: false
    .vgpr_count:     23
    .vgpr_spill_count: 0
    .wavefront_size: 64
  - .args:
      - .actual_access:  read_only
        .address_space:  global
        .offset:         0
        .size:           8
        .value_kind:     global_buffer
      - .actual_access:  read_only
        .address_space:  global
        .offset:         8
        .size:           8
        .value_kind:     global_buffer
      - .actual_access:  read_only
        .address_space:  global
        .offset:         16
        .size:           8
        .value_kind:     global_buffer
      - .actual_access:  read_only
        .address_space:  global
        .offset:         24
        .size:           8
        .value_kind:     global_buffer
      - .actual_access:  read_only
        .address_space:  global
        .offset:         32
        .size:           8
        .value_kind:     global_buffer
      - .address_space:  global
        .offset:         40
        .size:           8
        .value_kind:     global_buffer
      - .offset:         48
        .size:           4
        .value_kind:     by_value
      - .offset:         56
        .size:           4
        .value_kind:     hidden_block_count_x
      - .offset:         60
        .size:           4
        .value_kind:     hidden_block_count_y
      - .offset:         64
        .size:           4
        .value_kind:     hidden_block_count_z
      - .offset:         68
        .size:           2
        .value_kind:     hidden_group_size_x
      - .offset:         70
        .size:           2
        .value_kind:     hidden_group_size_y
      - .offset:         72
        .size:           2
        .value_kind:     hidden_group_size_z
      - .offset:         74
        .size:           2
        .value_kind:     hidden_remainder_x
      - .offset:         76
        .size:           2
        .value_kind:     hidden_remainder_y
      - .offset:         78
        .size:           2
        .value_kind:     hidden_remainder_z
      - .offset:         96
        .size:           8
        .value_kind:     hidden_global_offset_x
      - .offset:         104
        .size:           8
        .value_kind:     hidden_global_offset_y
      - .offset:         112
        .size:           8
        .value_kind:     hidden_global_offset_z
      - .offset:         120
        .size:           2
        .value_kind:     hidden_grid_dims
      - .offset:         176
        .size:           4
        .value_kind:     hidden_dynamic_lds_size
    .group_segment_fixed_size: 0
    .kernarg_segment_align: 8
    .kernarg_segment_size: 312
    .language:       OpenCL C
    .language_version:
      - 2
      - 0
    .max_flat_workgroup_size: 1024
    .name:           _ZN2at6native12_GLOBAL__N_128layer_norm_grad_input_kernelIN3c104HalfEfLb0EEEvPKT_S7_PKT0_SA_S7_PS5_i
    .private_segment_fixed_size: 0
    .sgpr_count:     30
    .sgpr_spill_count: 0
    .symbol:         _ZN2at6native12_GLOBAL__N_128layer_norm_grad_input_kernelIN3c104HalfEfLb0EEEvPKT_S7_PKT0_SA_S7_PS5_i.kd
    .uniform_work_group_size: 1
    .uses_dynamic_stack: false
    .vgpr_count:     23
    .vgpr_spill_count: 0
    .wavefront_size: 64
  - .args:
      - .offset:         0
        .size:           8
        .value_kind:     by_value
      - .offset:         8
        .size:           8
        .value_kind:     by_value
      - .address_space:  global
        .offset:         16
        .size:           8
        .value_kind:     global_buffer
      - .address_space:  global
        .offset:         24
        .size:           8
        .value_kind:     global_buffer
      - .address_space:  global
        .offset:         32
        .size:           8
        .value_kind:     global_buffer
      - .address_space:  global
        .offset:         40
        .size:           8
        .value_kind:     global_buffer
      - .address_space:  global
        .offset:         48
        .size:           8
        .value_kind:     global_buffer
      - .address_space:  global
        .offset:         56
        .size:           8
        .value_kind:     global_buffer
      - .offset:         64
        .size:           4
        .value_kind:     hidden_block_count_x
      - .offset:         68
        .size:           4
        .value_kind:     hidden_block_count_y
      - .offset:         72
        .size:           4
        .value_kind:     hidden_block_count_z
      - .offset:         76
        .size:           2
        .value_kind:     hidden_group_size_x
      - .offset:         78
        .size:           2
        .value_kind:     hidden_group_size_y
      - .offset:         80
        .size:           2
        .value_kind:     hidden_group_size_z
      - .offset:         82
        .size:           2
        .value_kind:     hidden_remainder_x
      - .offset:         84
        .size:           2
        .value_kind:     hidden_remainder_y
      - .offset:         86
        .size:           2
        .value_kind:     hidden_remainder_z
      - .offset:         104
        .size:           8
        .value_kind:     hidden_global_offset_x
      - .offset:         112
        .size:           8
        .value_kind:     hidden_global_offset_y
      - .offset:         120
        .size:           8
        .value_kind:     hidden_global_offset_z
      - .offset:         128
        .size:           2
        .value_kind:     hidden_grid_dims
    .group_segment_fixed_size: 0
    .kernarg_segment_align: 8
    .kernarg_segment_size: 320
    .language:       OpenCL C
    .language_version:
      - 2
      - 0
    .max_flat_workgroup_size: 1024
    .name:           _ZN2at6native12_GLOBAL__N_133GammaBetaBackwardSimpleCUDAKernelIN3c104HalfEfLb0EEEvllPKT_S7_PKT0_SA_PS5_SB_
    .private_segment_fixed_size: 0
    .sgpr_count:     28
    .sgpr_spill_count: 0
    .symbol:         _ZN2at6native12_GLOBAL__N_133GammaBetaBackwardSimpleCUDAKernelIN3c104HalfEfLb0EEEvllPKT_S7_PKT0_SA_PS5_SB_.kd
    .uniform_work_group_size: 1
    .uses_dynamic_stack: false
    .vgpr_count:     10
    .vgpr_spill_count: 0
    .wavefront_size: 64
  - .args:
      - .offset:         0
        .size:           8
        .value_kind:     by_value
      - .offset:         8
        .size:           8
        .value_kind:     by_value
      - .actual_access:  read_only
        .address_space:  global
        .offset:         16
        .size:           8
        .value_kind:     global_buffer
      - .actual_access:  read_only
        .address_space:  global
        .offset:         24
        .size:           8
        .value_kind:     global_buffer
      - .actual_access:  read_only
        .address_space:  global
        .offset:         32
        .size:           8
        .value_kind:     global_buffer
      - .actual_access:  read_only
        .address_space:  global
        .offset:         40
        .size:           8
        .value_kind:     global_buffer
      - .actual_access:  write_only
        .address_space:  global
        .offset:         48
        .size:           8
        .value_kind:     global_buffer
      - .actual_access:  write_only
        .address_space:  global
        .offset:         56
        .size:           8
        .value_kind:     global_buffer
      - .offset:         64
        .size:           4
        .value_kind:     hidden_block_count_x
      - .offset:         68
        .size:           4
        .value_kind:     hidden_block_count_y
      - .offset:         72
        .size:           4
        .value_kind:     hidden_block_count_z
      - .offset:         76
        .size:           2
        .value_kind:     hidden_group_size_x
      - .offset:         78
        .size:           2
        .value_kind:     hidden_group_size_y
      - .offset:         80
        .size:           2
        .value_kind:     hidden_group_size_z
      - .offset:         82
        .size:           2
        .value_kind:     hidden_remainder_x
      - .offset:         84
        .size:           2
        .value_kind:     hidden_remainder_y
      - .offset:         86
        .size:           2
        .value_kind:     hidden_remainder_z
      - .offset:         104
        .size:           8
        .value_kind:     hidden_global_offset_x
      - .offset:         112
        .size:           8
        .value_kind:     hidden_global_offset_y
      - .offset:         120
        .size:           8
        .value_kind:     hidden_global_offset_z
      - .offset:         128
        .size:           2
        .value_kind:     hidden_grid_dims
    .group_segment_fixed_size: 0
    .kernarg_segment_align: 8
    .kernarg_segment_size: 320
    .language:       OpenCL C
    .language_version:
      - 2
      - 0
    .max_flat_workgroup_size: 64
    .name:           _ZN2at6native12_GLOBAL__N_135GammaBetaBackwardCUDAKernelTemplateIN3c104HalfEfLj64ELj1ELj32ELb1ELb1ELb0EEEvllPKT_S7_PKT0_SA_PS5_SB_
    .private_segment_fixed_size: 0
    .sgpr_count:     44
    .sgpr_spill_count: 0
    .symbol:         _ZN2at6native12_GLOBAL__N_135GammaBetaBackwardCUDAKernelTemplateIN3c104HalfEfLj64ELj1ELj32ELb1ELb1ELb0EEEvllPKT_S7_PKT0_SA_PS5_SB_.kd
    .uniform_work_group_size: 1
    .uses_dynamic_stack: false
    .vgpr_count:     81
    .vgpr_spill_count: 0
    .wavefront_size: 64
  - .args:
      - .offset:         0
        .size:           8
        .value_kind:     by_value
      - .offset:         8
        .size:           8
        .value_kind:     by_value
      - .actual_access:  read_only
        .address_space:  global
        .offset:         16
        .size:           8
        .value_kind:     global_buffer
      - .actual_access:  read_only
        .address_space:  global
        .offset:         24
        .size:           8
        .value_kind:     global_buffer
      - .actual_access:  read_only
        .address_space:  global
        .offset:         32
        .size:           8
        .value_kind:     global_buffer
      - .actual_access:  read_only
        .address_space:  global
        .offset:         40
        .size:           8
        .value_kind:     global_buffer
      - .actual_access:  write_only
        .address_space:  global
        .offset:         48
        .size:           8
        .value_kind:     global_buffer
      - .actual_access:  write_only
        .address_space:  global
        .offset:         56
        .size:           8
        .value_kind:     global_buffer
      - .offset:         64
        .size:           4
        .value_kind:     hidden_block_count_x
      - .offset:         68
        .size:           4
        .value_kind:     hidden_block_count_y
      - .offset:         72
        .size:           4
        .value_kind:     hidden_block_count_z
      - .offset:         76
        .size:           2
        .value_kind:     hidden_group_size_x
      - .offset:         78
        .size:           2
        .value_kind:     hidden_group_size_y
      - .offset:         80
        .size:           2
        .value_kind:     hidden_group_size_z
      - .offset:         82
        .size:           2
        .value_kind:     hidden_remainder_x
      - .offset:         84
        .size:           2
        .value_kind:     hidden_remainder_y
      - .offset:         86
        .size:           2
        .value_kind:     hidden_remainder_z
      - .offset:         104
        .size:           8
        .value_kind:     hidden_global_offset_x
      - .offset:         112
        .size:           8
        .value_kind:     hidden_global_offset_y
      - .offset:         120
        .size:           8
        .value_kind:     hidden_global_offset_z
      - .offset:         128
        .size:           2
        .value_kind:     hidden_grid_dims
    .group_segment_fixed_size: 0
    .kernarg_segment_align: 8
    .kernarg_segment_size: 320
    .language:       OpenCL C
    .language_version:
      - 2
      - 0
    .max_flat_workgroup_size: 64
    .name:           _ZN2at6native12_GLOBAL__N_135GammaBetaBackwardCUDAKernelTemplateIN3c104HalfEfLj64ELj1ELj32ELb1ELb0ELb0EEEvllPKT_S7_PKT0_SA_PS5_SB_
    .private_segment_fixed_size: 316
    .sgpr_count:     48
    .sgpr_spill_count: 0
    .symbol:         _ZN2at6native12_GLOBAL__N_135GammaBetaBackwardCUDAKernelTemplateIN3c104HalfEfLj64ELj1ELj32ELb1ELb0ELb0EEEvllPKT_S7_PKT0_SA_PS5_SB_.kd
    .uniform_work_group_size: 1
    .uses_dynamic_stack: false
    .vgpr_count:     256
    .vgpr_spill_count: 151
    .wavefront_size: 64
  - .args:
      - .offset:         0
        .size:           8
        .value_kind:     by_value
      - .offset:         8
        .size:           8
        .value_kind:     by_value
      - .actual_access:  read_only
        .address_space:  global
        .offset:         16
        .size:           8
        .value_kind:     global_buffer
      - .actual_access:  read_only
        .address_space:  global
        .offset:         24
        .size:           8
        .value_kind:     global_buffer
      - .actual_access:  read_only
        .address_space:  global
        .offset:         32
        .size:           8
        .value_kind:     global_buffer
      - .actual_access:  read_only
        .address_space:  global
        .offset:         40
        .size:           8
        .value_kind:     global_buffer
      - .actual_access:  write_only
        .address_space:  global
        .offset:         48
        .size:           8
        .value_kind:     global_buffer
      - .actual_access:  write_only
        .address_space:  global
        .offset:         56
        .size:           8
        .value_kind:     global_buffer
      - .offset:         64
        .size:           4
        .value_kind:     hidden_block_count_x
      - .offset:         68
        .size:           4
        .value_kind:     hidden_block_count_y
      - .offset:         72
        .size:           4
        .value_kind:     hidden_block_count_z
      - .offset:         76
        .size:           2
        .value_kind:     hidden_group_size_x
      - .offset:         78
        .size:           2
        .value_kind:     hidden_group_size_y
      - .offset:         80
        .size:           2
        .value_kind:     hidden_group_size_z
      - .offset:         82
        .size:           2
        .value_kind:     hidden_remainder_x
      - .offset:         84
        .size:           2
        .value_kind:     hidden_remainder_y
      - .offset:         86
        .size:           2
        .value_kind:     hidden_remainder_z
      - .offset:         104
        .size:           8
        .value_kind:     hidden_global_offset_x
      - .offset:         112
        .size:           8
        .value_kind:     hidden_global_offset_y
      - .offset:         120
        .size:           8
        .value_kind:     hidden_global_offset_z
      - .offset:         128
        .size:           2
        .value_kind:     hidden_grid_dims
    .group_segment_fixed_size: 0
    .kernarg_segment_align: 8
    .kernarg_segment_size: 320
    .language:       OpenCL C
    .language_version:
      - 2
      - 0
    .max_flat_workgroup_size: 64
    .name:           _ZN2at6native12_GLOBAL__N_135GammaBetaBackwardCUDAKernelTemplateIN3c104HalfEfLj64ELj1ELj8ELb1ELb1ELb0EEEvllPKT_S7_PKT0_SA_PS5_SB_
    .private_segment_fixed_size: 0
    .sgpr_count:     44
    .sgpr_spill_count: 0
    .symbol:         _ZN2at6native12_GLOBAL__N_135GammaBetaBackwardCUDAKernelTemplateIN3c104HalfEfLj64ELj1ELj8ELb1ELb1ELb0EEEvllPKT_S7_PKT0_SA_PS5_SB_.kd
    .uniform_work_group_size: 1
    .uses_dynamic_stack: false
    .vgpr_count:     33
    .vgpr_spill_count: 0
    .wavefront_size: 64
  - .args:
      - .offset:         0
        .size:           8
        .value_kind:     by_value
      - .offset:         8
        .size:           8
        .value_kind:     by_value
      - .actual_access:  read_only
        .address_space:  global
        .offset:         16
        .size:           8
        .value_kind:     global_buffer
      - .actual_access:  read_only
        .address_space:  global
        .offset:         24
        .size:           8
        .value_kind:     global_buffer
      - .actual_access:  read_only
        .address_space:  global
        .offset:         32
        .size:           8
        .value_kind:     global_buffer
      - .actual_access:  read_only
        .address_space:  global
        .offset:         40
        .size:           8
        .value_kind:     global_buffer
      - .actual_access:  write_only
        .address_space:  global
        .offset:         48
        .size:           8
        .value_kind:     global_buffer
      - .actual_access:  write_only
        .address_space:  global
        .offset:         56
        .size:           8
        .value_kind:     global_buffer
      - .offset:         64
        .size:           4
        .value_kind:     hidden_block_count_x
      - .offset:         68
        .size:           4
        .value_kind:     hidden_block_count_y
      - .offset:         72
        .size:           4
        .value_kind:     hidden_block_count_z
      - .offset:         76
        .size:           2
        .value_kind:     hidden_group_size_x
      - .offset:         78
        .size:           2
        .value_kind:     hidden_group_size_y
      - .offset:         80
        .size:           2
        .value_kind:     hidden_group_size_z
      - .offset:         82
        .size:           2
        .value_kind:     hidden_remainder_x
      - .offset:         84
        .size:           2
        .value_kind:     hidden_remainder_y
      - .offset:         86
        .size:           2
        .value_kind:     hidden_remainder_z
      - .offset:         104
        .size:           8
        .value_kind:     hidden_global_offset_x
      - .offset:         112
        .size:           8
        .value_kind:     hidden_global_offset_y
      - .offset:         120
        .size:           8
        .value_kind:     hidden_global_offset_z
      - .offset:         128
        .size:           2
        .value_kind:     hidden_grid_dims
    .group_segment_fixed_size: 0
    .kernarg_segment_align: 8
    .kernarg_segment_size: 320
    .language:       OpenCL C
    .language_version:
      - 2
      - 0
    .max_flat_workgroup_size: 64
    .name:           _ZN2at6native12_GLOBAL__N_135GammaBetaBackwardCUDAKernelTemplateIN3c104HalfEfLj64ELj1ELj8ELb1ELb0ELb0EEEvllPKT_S7_PKT0_SA_PS5_SB_
    .private_segment_fixed_size: 0
    .sgpr_count:     42
    .sgpr_spill_count: 0
    .symbol:         _ZN2at6native12_GLOBAL__N_135GammaBetaBackwardCUDAKernelTemplateIN3c104HalfEfLj64ELj1ELj8ELb1ELb0ELb0EEEvllPKT_S7_PKT0_SA_PS5_SB_.kd
    .uniform_work_group_size: 1
    .uses_dynamic_stack: false
    .vgpr_count:     95
    .vgpr_spill_count: 0
    .wavefront_size: 64
  - .args:
      - .offset:         0
        .size:           8
        .value_kind:     by_value
      - .offset:         8
        .size:           8
        .value_kind:     by_value
      - .actual_access:  read_only
        .address_space:  global
        .offset:         16
        .size:           8
        .value_kind:     global_buffer
      - .actual_access:  read_only
        .address_space:  global
        .offset:         24
        .size:           8
        .value_kind:     global_buffer
      - .actual_access:  read_only
        .address_space:  global
        .offset:         32
        .size:           8
        .value_kind:     global_buffer
      - .actual_access:  read_only
        .address_space:  global
        .offset:         40
        .size:           8
        .value_kind:     global_buffer
      - .actual_access:  write_only
        .address_space:  global
        .offset:         48
        .size:           8
        .value_kind:     global_buffer
      - .actual_access:  write_only
        .address_space:  global
        .offset:         56
        .size:           8
        .value_kind:     global_buffer
      - .offset:         64
        .size:           4
        .value_kind:     hidden_block_count_x
      - .offset:         68
        .size:           4
        .value_kind:     hidden_block_count_y
      - .offset:         72
        .size:           4
        .value_kind:     hidden_block_count_z
      - .offset:         76
        .size:           2
        .value_kind:     hidden_group_size_x
      - .offset:         78
        .size:           2
        .value_kind:     hidden_group_size_y
      - .offset:         80
        .size:           2
        .value_kind:     hidden_group_size_z
      - .offset:         82
        .size:           2
        .value_kind:     hidden_remainder_x
      - .offset:         84
        .size:           2
        .value_kind:     hidden_remainder_y
      - .offset:         86
        .size:           2
        .value_kind:     hidden_remainder_z
      - .offset:         104
        .size:           8
        .value_kind:     hidden_global_offset_x
      - .offset:         112
        .size:           8
        .value_kind:     hidden_global_offset_y
      - .offset:         120
        .size:           8
        .value_kind:     hidden_global_offset_z
      - .offset:         128
        .size:           2
        .value_kind:     hidden_grid_dims
      - .offset:         184
        .size:           4
        .value_kind:     hidden_dynamic_lds_size
    .group_segment_fixed_size: 0
    .kernarg_segment_align: 8
    .kernarg_segment_size: 320
    .language:       OpenCL C
    .language_version:
      - 2
      - 0
    .max_flat_workgroup_size: 512
    .name:           _ZN2at6native12_GLOBAL__N_135GammaBetaBackwardCUDAKernelTemplateIN3c104HalfEfLj64ELj8ELj64ELb0ELb1ELb0EEEvllPKT_S7_PKT0_SA_PS5_SB_
    .private_segment_fixed_size: 0
    .sgpr_count:     36
    .sgpr_spill_count: 0
    .symbol:         _ZN2at6native12_GLOBAL__N_135GammaBetaBackwardCUDAKernelTemplateIN3c104HalfEfLj64ELj8ELj64ELb0ELb1ELb0EEEvllPKT_S7_PKT0_SA_PS5_SB_.kd
    .uniform_work_group_size: 1
    .uses_dynamic_stack: false
    .vgpr_count:     34
    .vgpr_spill_count: 0
    .wavefront_size: 64
  - .args:
      - .offset:         0
        .size:           8
        .value_kind:     by_value
      - .offset:         8
        .size:           8
        .value_kind:     by_value
      - .actual_access:  read_only
        .address_space:  global
        .offset:         16
        .size:           8
        .value_kind:     global_buffer
      - .actual_access:  read_only
        .address_space:  global
        .offset:         24
        .size:           8
        .value_kind:     global_buffer
      - .actual_access:  read_only
        .address_space:  global
        .offset:         32
        .size:           8
        .value_kind:     global_buffer
      - .actual_access:  read_only
        .address_space:  global
        .offset:         40
        .size:           8
        .value_kind:     global_buffer
      - .actual_access:  write_only
        .address_space:  global
        .offset:         48
        .size:           8
        .value_kind:     global_buffer
      - .actual_access:  write_only
        .address_space:  global
        .offset:         56
        .size:           8
        .value_kind:     global_buffer
      - .offset:         64
        .size:           4
        .value_kind:     hidden_block_count_x
      - .offset:         68
        .size:           4
        .value_kind:     hidden_block_count_y
      - .offset:         72
        .size:           4
        .value_kind:     hidden_block_count_z
      - .offset:         76
        .size:           2
        .value_kind:     hidden_group_size_x
      - .offset:         78
        .size:           2
        .value_kind:     hidden_group_size_y
      - .offset:         80
        .size:           2
        .value_kind:     hidden_group_size_z
      - .offset:         82
        .size:           2
        .value_kind:     hidden_remainder_x
      - .offset:         84
        .size:           2
        .value_kind:     hidden_remainder_y
      - .offset:         86
        .size:           2
        .value_kind:     hidden_remainder_z
      - .offset:         104
        .size:           8
        .value_kind:     hidden_global_offset_x
      - .offset:         112
        .size:           8
        .value_kind:     hidden_global_offset_y
      - .offset:         120
        .size:           8
        .value_kind:     hidden_global_offset_z
      - .offset:         128
        .size:           2
        .value_kind:     hidden_grid_dims
      - .offset:         184
        .size:           4
        .value_kind:     hidden_dynamic_lds_size
    .group_segment_fixed_size: 0
    .kernarg_segment_align: 8
    .kernarg_segment_size: 320
    .language:       OpenCL C
    .language_version:
      - 2
      - 0
    .max_flat_workgroup_size: 512
    .name:           _ZN2at6native12_GLOBAL__N_135GammaBetaBackwardCUDAKernelTemplateIN3c104HalfEfLj64ELj8ELj64ELb0ELb0ELb0EEEvllPKT_S7_PKT0_SA_PS5_SB_
    .private_segment_fixed_size: 0
    .sgpr_count:     40
    .sgpr_spill_count: 0
    .symbol:         _ZN2at6native12_GLOBAL__N_135GammaBetaBackwardCUDAKernelTemplateIN3c104HalfEfLj64ELj8ELj64ELb0ELb0ELb0EEEvllPKT_S7_PKT0_SA_PS5_SB_.kd
    .uniform_work_group_size: 1
    .uses_dynamic_stack: false
    .vgpr_count:     94
    .vgpr_spill_count: 0
    .wavefront_size: 64
  - .args:
      - .offset:         0
        .size:           8
        .value_kind:     by_value
      - .offset:         8
        .size:           8
        .value_kind:     by_value
      - .actual_access:  read_only
        .address_space:  global
        .offset:         16
        .size:           8
        .value_kind:     global_buffer
      - .actual_access:  read_only
        .address_space:  global
        .offset:         24
        .size:           8
        .value_kind:     global_buffer
      - .actual_access:  read_only
        .address_space:  global
        .offset:         32
        .size:           8
        .value_kind:     global_buffer
      - .actual_access:  read_only
        .address_space:  global
        .offset:         40
        .size:           8
        .value_kind:     global_buffer
      - .actual_access:  write_only
        .address_space:  global
        .offset:         48
        .size:           8
        .value_kind:     global_buffer
      - .actual_access:  write_only
        .address_space:  global
        .offset:         56
        .size:           8
        .value_kind:     global_buffer
      - .offset:         64
        .size:           4
        .value_kind:     hidden_block_count_x
      - .offset:         68
        .size:           4
        .value_kind:     hidden_block_count_y
      - .offset:         72
        .size:           4
        .value_kind:     hidden_block_count_z
      - .offset:         76
        .size:           2
        .value_kind:     hidden_group_size_x
      - .offset:         78
        .size:           2
        .value_kind:     hidden_group_size_y
      - .offset:         80
        .size:           2
        .value_kind:     hidden_group_size_z
      - .offset:         82
        .size:           2
        .value_kind:     hidden_remainder_x
      - .offset:         84
        .size:           2
        .value_kind:     hidden_remainder_y
      - .offset:         86
        .size:           2
        .value_kind:     hidden_remainder_z
      - .offset:         104
        .size:           8
        .value_kind:     hidden_global_offset_x
      - .offset:         112
        .size:           8
        .value_kind:     hidden_global_offset_y
      - .offset:         120
        .size:           8
        .value_kind:     hidden_global_offset_z
      - .offset:         128
        .size:           2
        .value_kind:     hidden_grid_dims
      - .offset:         184
        .size:           4
        .value_kind:     hidden_dynamic_lds_size
    .group_segment_fixed_size: 0
    .kernarg_segment_align: 8
    .kernarg_segment_size: 320
    .language:       OpenCL C
    .language_version:
      - 2
      - 0
    .max_flat_workgroup_size: 1024
    .name:           _ZN2at6native12_GLOBAL__N_135GammaBetaBackwardCUDAKernelTemplateIN3c104HalfEfLj64ELj16ELj128ELb0ELb1ELb0EEEvllPKT_S7_PKT0_SA_PS5_SB_
    .private_segment_fixed_size: 0
    .sgpr_count:     36
    .sgpr_spill_count: 0
    .symbol:         _ZN2at6native12_GLOBAL__N_135GammaBetaBackwardCUDAKernelTemplateIN3c104HalfEfLj64ELj16ELj128ELb0ELb1ELb0EEEvllPKT_S7_PKT0_SA_PS5_SB_.kd
    .uniform_work_group_size: 1
    .uses_dynamic_stack: false
    .vgpr_count:     34
    .vgpr_spill_count: 0
    .wavefront_size: 64
  - .args:
      - .offset:         0
        .size:           8
        .value_kind:     by_value
      - .offset:         8
        .size:           8
        .value_kind:     by_value
      - .actual_access:  read_only
        .address_space:  global
        .offset:         16
        .size:           8
        .value_kind:     global_buffer
      - .actual_access:  read_only
        .address_space:  global
        .offset:         24
        .size:           8
        .value_kind:     global_buffer
      - .actual_access:  read_only
        .address_space:  global
        .offset:         32
        .size:           8
        .value_kind:     global_buffer
      - .actual_access:  read_only
        .address_space:  global
        .offset:         40
        .size:           8
        .value_kind:     global_buffer
      - .actual_access:  write_only
        .address_space:  global
        .offset:         48
        .size:           8
        .value_kind:     global_buffer
      - .actual_access:  write_only
        .address_space:  global
        .offset:         56
        .size:           8
        .value_kind:     global_buffer
      - .offset:         64
        .size:           4
        .value_kind:     hidden_block_count_x
      - .offset:         68
        .size:           4
        .value_kind:     hidden_block_count_y
      - .offset:         72
        .size:           4
        .value_kind:     hidden_block_count_z
      - .offset:         76
        .size:           2
        .value_kind:     hidden_group_size_x
      - .offset:         78
        .size:           2
        .value_kind:     hidden_group_size_y
      - .offset:         80
        .size:           2
        .value_kind:     hidden_group_size_z
      - .offset:         82
        .size:           2
        .value_kind:     hidden_remainder_x
      - .offset:         84
        .size:           2
        .value_kind:     hidden_remainder_y
      - .offset:         86
        .size:           2
        .value_kind:     hidden_remainder_z
      - .offset:         104
        .size:           8
        .value_kind:     hidden_global_offset_x
      - .offset:         112
        .size:           8
        .value_kind:     hidden_global_offset_y
      - .offset:         120
        .size:           8
        .value_kind:     hidden_global_offset_z
      - .offset:         128
        .size:           2
        .value_kind:     hidden_grid_dims
      - .offset:         184
        .size:           4
        .value_kind:     hidden_dynamic_lds_size
    .group_segment_fixed_size: 0
    .kernarg_segment_align: 8
    .kernarg_segment_size: 320
    .language:       OpenCL C
    .language_version:
      - 2
      - 0
    .max_flat_workgroup_size: 1024
    .name:           _ZN2at6native12_GLOBAL__N_135GammaBetaBackwardCUDAKernelTemplateIN3c104HalfEfLj64ELj16ELj128ELb0ELb0ELb0EEEvllPKT_S7_PKT0_SA_PS5_SB_
    .private_segment_fixed_size: 116
    .sgpr_count:     44
    .sgpr_spill_count: 0
    .symbol:         _ZN2at6native12_GLOBAL__N_135GammaBetaBackwardCUDAKernelTemplateIN3c104HalfEfLj64ELj16ELj128ELb0ELb0ELb0EEEvllPKT_S7_PKT0_SA_PS5_SB_.kd
    .uniform_work_group_size: 1
    .uses_dynamic_stack: false
    .vgpr_count:     64
    .vgpr_spill_count: 52
    .wavefront_size: 64
  - .args:
      - .offset:         0
        .size:           8
        .value_kind:     by_value
      - .offset:         8
        .size:           8
        .value_kind:     by_value
      - .actual_access:  read_only
        .address_space:  global
        .offset:         16
        .size:           8
        .value_kind:     global_buffer
      - .actual_access:  read_only
        .address_space:  global
        .offset:         24
        .size:           8
        .value_kind:     global_buffer
      - .actual_access:  read_only
        .address_space:  global
        .offset:         32
        .size:           8
        .value_kind:     global_buffer
      - .actual_access:  read_only
        .address_space:  global
        .offset:         40
        .size:           8
        .value_kind:     global_buffer
      - .actual_access:  write_only
        .address_space:  global
        .offset:         48
        .size:           8
        .value_kind:     global_buffer
      - .actual_access:  write_only
        .address_space:  global
        .offset:         56
        .size:           8
        .value_kind:     global_buffer
      - .offset:         64
        .size:           4
        .value_kind:     hidden_block_count_x
      - .offset:         68
        .size:           4
        .value_kind:     hidden_block_count_y
      - .offset:         72
        .size:           4
        .value_kind:     hidden_block_count_z
      - .offset:         76
        .size:           2
        .value_kind:     hidden_group_size_x
      - .offset:         78
        .size:           2
        .value_kind:     hidden_group_size_y
      - .offset:         80
        .size:           2
        .value_kind:     hidden_group_size_z
      - .offset:         82
        .size:           2
        .value_kind:     hidden_remainder_x
      - .offset:         84
        .size:           2
        .value_kind:     hidden_remainder_y
      - .offset:         86
        .size:           2
        .value_kind:     hidden_remainder_z
      - .offset:         104
        .size:           8
        .value_kind:     hidden_global_offset_x
      - .offset:         112
        .size:           8
        .value_kind:     hidden_global_offset_y
      - .offset:         120
        .size:           8
        .value_kind:     hidden_global_offset_z
      - .offset:         128
        .size:           2
        .value_kind:     hidden_grid_dims
      - .offset:         184
        .size:           4
        .value_kind:     hidden_dynamic_lds_size
    .group_segment_fixed_size: 0
    .kernarg_segment_align: 8
    .kernarg_segment_size: 320
    .language:       OpenCL C
    .language_version:
      - 2
      - 0
    .max_flat_workgroup_size: 1024
    .name:           _ZN2at6native12_GLOBAL__N_135GammaBetaBackwardCUDAKernelTemplateIN3c104HalfEfLj64ELj16ELj256ELb0ELb1ELb0EEEvllPKT_S7_PKT0_SA_PS5_SB_
    .private_segment_fixed_size: 0
    .sgpr_count:     36
    .sgpr_spill_count: 0
    .symbol:         _ZN2at6native12_GLOBAL__N_135GammaBetaBackwardCUDAKernelTemplateIN3c104HalfEfLj64ELj16ELj256ELb0ELb1ELb0EEEvllPKT_S7_PKT0_SA_PS5_SB_.kd
    .uniform_work_group_size: 1
    .uses_dynamic_stack: false
    .vgpr_count:     62
    .vgpr_spill_count: 0
    .wavefront_size: 64
  - .args:
      - .offset:         0
        .size:           8
        .value_kind:     by_value
      - .offset:         8
        .size:           8
        .value_kind:     by_value
      - .actual_access:  read_only
        .address_space:  global
        .offset:         16
        .size:           8
        .value_kind:     global_buffer
      - .actual_access:  read_only
        .address_space:  global
        .offset:         24
        .size:           8
        .value_kind:     global_buffer
      - .actual_access:  read_only
        .address_space:  global
        .offset:         32
        .size:           8
        .value_kind:     global_buffer
      - .actual_access:  read_only
        .address_space:  global
        .offset:         40
        .size:           8
        .value_kind:     global_buffer
      - .actual_access:  write_only
        .address_space:  global
        .offset:         48
        .size:           8
        .value_kind:     global_buffer
      - .actual_access:  write_only
        .address_space:  global
        .offset:         56
        .size:           8
        .value_kind:     global_buffer
      - .offset:         64
        .size:           4
        .value_kind:     hidden_block_count_x
      - .offset:         68
        .size:           4
        .value_kind:     hidden_block_count_y
      - .offset:         72
        .size:           4
        .value_kind:     hidden_block_count_z
      - .offset:         76
        .size:           2
        .value_kind:     hidden_group_size_x
      - .offset:         78
        .size:           2
        .value_kind:     hidden_group_size_y
      - .offset:         80
        .size:           2
        .value_kind:     hidden_group_size_z
      - .offset:         82
        .size:           2
        .value_kind:     hidden_remainder_x
      - .offset:         84
        .size:           2
        .value_kind:     hidden_remainder_y
      - .offset:         86
        .size:           2
        .value_kind:     hidden_remainder_z
      - .offset:         104
        .size:           8
        .value_kind:     hidden_global_offset_x
      - .offset:         112
        .size:           8
        .value_kind:     hidden_global_offset_y
      - .offset:         120
        .size:           8
        .value_kind:     hidden_global_offset_z
      - .offset:         128
        .size:           2
        .value_kind:     hidden_grid_dims
      - .offset:         184
        .size:           4
        .value_kind:     hidden_dynamic_lds_size
    .group_segment_fixed_size: 0
    .kernarg_segment_align: 8
    .kernarg_segment_size: 320
    .language:       OpenCL C
    .language_version:
      - 2
      - 0
    .max_flat_workgroup_size: 1024
    .name:           _ZN2at6native12_GLOBAL__N_135GammaBetaBackwardCUDAKernelTemplateIN3c104HalfEfLj64ELj16ELj256ELb0ELb0ELb0EEEvllPKT_S7_PKT0_SA_PS5_SB_
    .private_segment_fixed_size: 436
    .sgpr_count:     44
    .sgpr_spill_count: 0
    .symbol:         _ZN2at6native12_GLOBAL__N_135GammaBetaBackwardCUDAKernelTemplateIN3c104HalfEfLj64ELj16ELj256ELb0ELb0ELb0EEEvllPKT_S7_PKT0_SA_PS5_SB_.kd
    .uniform_work_group_size: 1
    .uses_dynamic_stack: false
    .vgpr_count:     64
    .vgpr_spill_count: 303
    .wavefront_size: 64
  - .args:
      - .offset:         0
        .size:           8
        .value_kind:     by_value
      - .offset:         8
        .size:           8
        .value_kind:     by_value
      - .actual_access:  read_only
        .address_space:  global
        .offset:         16
        .size:           8
        .value_kind:     global_buffer
      - .actual_access:  read_only
        .address_space:  global
        .offset:         24
        .size:           8
        .value_kind:     global_buffer
      - .actual_access:  read_only
        .address_space:  global
        .offset:         32
        .size:           8
        .value_kind:     global_buffer
      - .actual_access:  read_only
        .address_space:  global
        .offset:         40
        .size:           8
        .value_kind:     global_buffer
      - .actual_access:  write_only
        .address_space:  global
        .offset:         48
        .size:           8
        .value_kind:     global_buffer
      - .actual_access:  write_only
        .address_space:  global
        .offset:         56
        .size:           8
        .value_kind:     global_buffer
      - .offset:         64
        .size:           4
        .value_kind:     hidden_block_count_x
      - .offset:         68
        .size:           4
        .value_kind:     hidden_block_count_y
      - .offset:         72
        .size:           4
        .value_kind:     hidden_block_count_z
      - .offset:         76
        .size:           2
        .value_kind:     hidden_group_size_x
      - .offset:         78
        .size:           2
        .value_kind:     hidden_group_size_y
      - .offset:         80
        .size:           2
        .value_kind:     hidden_group_size_z
      - .offset:         82
        .size:           2
        .value_kind:     hidden_remainder_x
      - .offset:         84
        .size:           2
        .value_kind:     hidden_remainder_y
      - .offset:         86
        .size:           2
        .value_kind:     hidden_remainder_z
      - .offset:         104
        .size:           8
        .value_kind:     hidden_global_offset_x
      - .offset:         112
        .size:           8
        .value_kind:     hidden_global_offset_y
      - .offset:         120
        .size:           8
        .value_kind:     hidden_global_offset_z
      - .offset:         128
        .size:           2
        .value_kind:     hidden_grid_dims
    .group_segment_fixed_size: 0
    .kernarg_segment_align: 8
    .kernarg_segment_size: 320
    .language:       OpenCL C
    .language_version:
      - 2
      - 0
    .max_flat_workgroup_size: 32
    .name:           _ZN2at6native12_GLOBAL__N_135GammaBetaBackwardCUDAKernelTemplateIN3c104HalfEfLj32ELj1ELj32ELb1ELb1ELb0EEEvllPKT_S7_PKT0_SA_PS5_SB_
    .private_segment_fixed_size: 0
    .sgpr_count:     44
    .sgpr_spill_count: 0
    .symbol:         _ZN2at6native12_GLOBAL__N_135GammaBetaBackwardCUDAKernelTemplateIN3c104HalfEfLj32ELj1ELj32ELb1ELb1ELb0EEEvllPKT_S7_PKT0_SA_PS5_SB_.kd
    .uniform_work_group_size: 1
    .uses_dynamic_stack: false
    .vgpr_count:     81
    .vgpr_spill_count: 0
    .wavefront_size: 64
  - .args:
      - .offset:         0
        .size:           8
        .value_kind:     by_value
      - .offset:         8
        .size:           8
        .value_kind:     by_value
      - .actual_access:  read_only
        .address_space:  global
        .offset:         16
        .size:           8
        .value_kind:     global_buffer
      - .actual_access:  read_only
        .address_space:  global
        .offset:         24
        .size:           8
        .value_kind:     global_buffer
      - .actual_access:  read_only
        .address_space:  global
        .offset:         32
        .size:           8
        .value_kind:     global_buffer
      - .actual_access:  read_only
        .address_space:  global
        .offset:         40
        .size:           8
        .value_kind:     global_buffer
      - .actual_access:  write_only
        .address_space:  global
        .offset:         48
        .size:           8
        .value_kind:     global_buffer
      - .actual_access:  write_only
        .address_space:  global
        .offset:         56
        .size:           8
        .value_kind:     global_buffer
      - .offset:         64
        .size:           4
        .value_kind:     hidden_block_count_x
      - .offset:         68
        .size:           4
        .value_kind:     hidden_block_count_y
      - .offset:         72
        .size:           4
        .value_kind:     hidden_block_count_z
      - .offset:         76
        .size:           2
        .value_kind:     hidden_group_size_x
      - .offset:         78
        .size:           2
        .value_kind:     hidden_group_size_y
      - .offset:         80
        .size:           2
        .value_kind:     hidden_group_size_z
      - .offset:         82
        .size:           2
        .value_kind:     hidden_remainder_x
      - .offset:         84
        .size:           2
        .value_kind:     hidden_remainder_y
      - .offset:         86
        .size:           2
        .value_kind:     hidden_remainder_z
      - .offset:         104
        .size:           8
        .value_kind:     hidden_global_offset_x
      - .offset:         112
        .size:           8
        .value_kind:     hidden_global_offset_y
      - .offset:         120
        .size:           8
        .value_kind:     hidden_global_offset_z
      - .offset:         128
        .size:           2
        .value_kind:     hidden_grid_dims
    .group_segment_fixed_size: 0
    .kernarg_segment_align: 8
    .kernarg_segment_size: 320
    .language:       OpenCL C
    .language_version:
      - 2
      - 0
    .max_flat_workgroup_size: 32
    .name:           _ZN2at6native12_GLOBAL__N_135GammaBetaBackwardCUDAKernelTemplateIN3c104HalfEfLj32ELj1ELj32ELb1ELb0ELb0EEEvllPKT_S7_PKT0_SA_PS5_SB_
    .private_segment_fixed_size: 316
    .sgpr_count:     48
    .sgpr_spill_count: 0
    .symbol:         _ZN2at6native12_GLOBAL__N_135GammaBetaBackwardCUDAKernelTemplateIN3c104HalfEfLj32ELj1ELj32ELb1ELb0ELb0EEEvllPKT_S7_PKT0_SA_PS5_SB_.kd
    .uniform_work_group_size: 1
    .uses_dynamic_stack: false
    .vgpr_count:     256
    .vgpr_spill_count: 151
    .wavefront_size: 64
  - .args:
      - .offset:         0
        .size:           8
        .value_kind:     by_value
      - .offset:         8
        .size:           8
        .value_kind:     by_value
      - .actual_access:  read_only
        .address_space:  global
        .offset:         16
        .size:           8
        .value_kind:     global_buffer
      - .actual_access:  read_only
        .address_space:  global
        .offset:         24
        .size:           8
        .value_kind:     global_buffer
      - .actual_access:  read_only
        .address_space:  global
        .offset:         32
        .size:           8
        .value_kind:     global_buffer
      - .actual_access:  read_only
        .address_space:  global
        .offset:         40
        .size:           8
        .value_kind:     global_buffer
      - .actual_access:  write_only
        .address_space:  global
        .offset:         48
        .size:           8
        .value_kind:     global_buffer
      - .actual_access:  write_only
        .address_space:  global
        .offset:         56
        .size:           8
        .value_kind:     global_buffer
      - .offset:         64
        .size:           4
        .value_kind:     hidden_block_count_x
      - .offset:         68
        .size:           4
        .value_kind:     hidden_block_count_y
      - .offset:         72
        .size:           4
        .value_kind:     hidden_block_count_z
      - .offset:         76
        .size:           2
        .value_kind:     hidden_group_size_x
      - .offset:         78
        .size:           2
        .value_kind:     hidden_group_size_y
      - .offset:         80
        .size:           2
        .value_kind:     hidden_group_size_z
      - .offset:         82
        .size:           2
        .value_kind:     hidden_remainder_x
      - .offset:         84
        .size:           2
        .value_kind:     hidden_remainder_y
      - .offset:         86
        .size:           2
        .value_kind:     hidden_remainder_z
      - .offset:         104
        .size:           8
        .value_kind:     hidden_global_offset_x
      - .offset:         112
        .size:           8
        .value_kind:     hidden_global_offset_y
      - .offset:         120
        .size:           8
        .value_kind:     hidden_global_offset_z
      - .offset:         128
        .size:           2
        .value_kind:     hidden_grid_dims
    .group_segment_fixed_size: 0
    .kernarg_segment_align: 8
    .kernarg_segment_size: 320
    .language:       OpenCL C
    .language_version:
      - 2
      - 0
    .max_flat_workgroup_size: 32
    .name:           _ZN2at6native12_GLOBAL__N_135GammaBetaBackwardCUDAKernelTemplateIN3c104HalfEfLj32ELj1ELj8ELb1ELb1ELb0EEEvllPKT_S7_PKT0_SA_PS5_SB_
    .private_segment_fixed_size: 0
    .sgpr_count:     44
    .sgpr_spill_count: 0
    .symbol:         _ZN2at6native12_GLOBAL__N_135GammaBetaBackwardCUDAKernelTemplateIN3c104HalfEfLj32ELj1ELj8ELb1ELb1ELb0EEEvllPKT_S7_PKT0_SA_PS5_SB_.kd
    .uniform_work_group_size: 1
    .uses_dynamic_stack: false
    .vgpr_count:     33
    .vgpr_spill_count: 0
    .wavefront_size: 64
  - .args:
      - .offset:         0
        .size:           8
        .value_kind:     by_value
      - .offset:         8
        .size:           8
        .value_kind:     by_value
      - .actual_access:  read_only
        .address_space:  global
        .offset:         16
        .size:           8
        .value_kind:     global_buffer
      - .actual_access:  read_only
        .address_space:  global
        .offset:         24
        .size:           8
        .value_kind:     global_buffer
      - .actual_access:  read_only
        .address_space:  global
        .offset:         32
        .size:           8
        .value_kind:     global_buffer
      - .actual_access:  read_only
        .address_space:  global
        .offset:         40
        .size:           8
        .value_kind:     global_buffer
      - .actual_access:  write_only
        .address_space:  global
        .offset:         48
        .size:           8
        .value_kind:     global_buffer
      - .actual_access:  write_only
        .address_space:  global
        .offset:         56
        .size:           8
        .value_kind:     global_buffer
      - .offset:         64
        .size:           4
        .value_kind:     hidden_block_count_x
      - .offset:         68
        .size:           4
        .value_kind:     hidden_block_count_y
      - .offset:         72
        .size:           4
        .value_kind:     hidden_block_count_z
      - .offset:         76
        .size:           2
        .value_kind:     hidden_group_size_x
      - .offset:         78
        .size:           2
        .value_kind:     hidden_group_size_y
      - .offset:         80
        .size:           2
        .value_kind:     hidden_group_size_z
      - .offset:         82
        .size:           2
        .value_kind:     hidden_remainder_x
      - .offset:         84
        .size:           2
        .value_kind:     hidden_remainder_y
      - .offset:         86
        .size:           2
        .value_kind:     hidden_remainder_z
      - .offset:         104
        .size:           8
        .value_kind:     hidden_global_offset_x
      - .offset:         112
        .size:           8
        .value_kind:     hidden_global_offset_y
      - .offset:         120
        .size:           8
        .value_kind:     hidden_global_offset_z
      - .offset:         128
        .size:           2
        .value_kind:     hidden_grid_dims
    .group_segment_fixed_size: 0
    .kernarg_segment_align: 8
    .kernarg_segment_size: 320
    .language:       OpenCL C
    .language_version:
      - 2
      - 0
    .max_flat_workgroup_size: 32
    .name:           _ZN2at6native12_GLOBAL__N_135GammaBetaBackwardCUDAKernelTemplateIN3c104HalfEfLj32ELj1ELj8ELb1ELb0ELb0EEEvllPKT_S7_PKT0_SA_PS5_SB_
    .private_segment_fixed_size: 0
    .sgpr_count:     42
    .sgpr_spill_count: 0
    .symbol:         _ZN2at6native12_GLOBAL__N_135GammaBetaBackwardCUDAKernelTemplateIN3c104HalfEfLj32ELj1ELj8ELb1ELb0ELb0EEEvllPKT_S7_PKT0_SA_PS5_SB_.kd
    .uniform_work_group_size: 1
    .uses_dynamic_stack: false
    .vgpr_count:     95
    .vgpr_spill_count: 0
    .wavefront_size: 64
  - .args:
      - .offset:         0
        .size:           8
        .value_kind:     by_value
      - .offset:         8
        .size:           8
        .value_kind:     by_value
      - .actual_access:  read_only
        .address_space:  global
        .offset:         16
        .size:           8
        .value_kind:     global_buffer
      - .actual_access:  read_only
        .address_space:  global
        .offset:         24
        .size:           8
        .value_kind:     global_buffer
      - .actual_access:  read_only
        .address_space:  global
        .offset:         32
        .size:           8
        .value_kind:     global_buffer
      - .actual_access:  read_only
        .address_space:  global
        .offset:         40
        .size:           8
        .value_kind:     global_buffer
      - .actual_access:  write_only
        .address_space:  global
        .offset:         48
        .size:           8
        .value_kind:     global_buffer
      - .actual_access:  write_only
        .address_space:  global
        .offset:         56
        .size:           8
        .value_kind:     global_buffer
      - .offset:         64
        .size:           4
        .value_kind:     hidden_block_count_x
      - .offset:         68
        .size:           4
        .value_kind:     hidden_block_count_y
      - .offset:         72
        .size:           4
        .value_kind:     hidden_block_count_z
      - .offset:         76
        .size:           2
        .value_kind:     hidden_group_size_x
      - .offset:         78
        .size:           2
        .value_kind:     hidden_group_size_y
      - .offset:         80
        .size:           2
        .value_kind:     hidden_group_size_z
      - .offset:         82
        .size:           2
        .value_kind:     hidden_remainder_x
      - .offset:         84
        .size:           2
        .value_kind:     hidden_remainder_y
      - .offset:         86
        .size:           2
        .value_kind:     hidden_remainder_z
      - .offset:         104
        .size:           8
        .value_kind:     hidden_global_offset_x
      - .offset:         112
        .size:           8
        .value_kind:     hidden_global_offset_y
      - .offset:         120
        .size:           8
        .value_kind:     hidden_global_offset_z
      - .offset:         128
        .size:           2
        .value_kind:     hidden_grid_dims
      - .offset:         184
        .size:           4
        .value_kind:     hidden_dynamic_lds_size
    .group_segment_fixed_size: 0
    .kernarg_segment_align: 8
    .kernarg_segment_size: 320
    .language:       OpenCL C
    .language_version:
      - 2
      - 0
    .max_flat_workgroup_size: 256
    .name:           _ZN2at6native12_GLOBAL__N_135GammaBetaBackwardCUDAKernelTemplateIN3c104HalfEfLj32ELj8ELj64ELb0ELb1ELb0EEEvllPKT_S7_PKT0_SA_PS5_SB_
    .private_segment_fixed_size: 0
    .sgpr_count:     36
    .sgpr_spill_count: 0
    .symbol:         _ZN2at6native12_GLOBAL__N_135GammaBetaBackwardCUDAKernelTemplateIN3c104HalfEfLj32ELj8ELj64ELb0ELb1ELb0EEEvllPKT_S7_PKT0_SA_PS5_SB_.kd
    .uniform_work_group_size: 1
    .uses_dynamic_stack: false
    .vgpr_count:     34
    .vgpr_spill_count: 0
    .wavefront_size: 64
  - .args:
      - .offset:         0
        .size:           8
        .value_kind:     by_value
      - .offset:         8
        .size:           8
        .value_kind:     by_value
      - .actual_access:  read_only
        .address_space:  global
        .offset:         16
        .size:           8
        .value_kind:     global_buffer
      - .actual_access:  read_only
        .address_space:  global
        .offset:         24
        .size:           8
        .value_kind:     global_buffer
      - .actual_access:  read_only
        .address_space:  global
        .offset:         32
        .size:           8
        .value_kind:     global_buffer
      - .actual_access:  read_only
        .address_space:  global
        .offset:         40
        .size:           8
        .value_kind:     global_buffer
      - .actual_access:  write_only
        .address_space:  global
        .offset:         48
        .size:           8
        .value_kind:     global_buffer
      - .actual_access:  write_only
        .address_space:  global
        .offset:         56
        .size:           8
        .value_kind:     global_buffer
      - .offset:         64
        .size:           4
        .value_kind:     hidden_block_count_x
      - .offset:         68
        .size:           4
        .value_kind:     hidden_block_count_y
      - .offset:         72
        .size:           4
        .value_kind:     hidden_block_count_z
      - .offset:         76
        .size:           2
        .value_kind:     hidden_group_size_x
      - .offset:         78
        .size:           2
        .value_kind:     hidden_group_size_y
      - .offset:         80
        .size:           2
        .value_kind:     hidden_group_size_z
      - .offset:         82
        .size:           2
        .value_kind:     hidden_remainder_x
      - .offset:         84
        .size:           2
        .value_kind:     hidden_remainder_y
      - .offset:         86
        .size:           2
        .value_kind:     hidden_remainder_z
      - .offset:         104
        .size:           8
        .value_kind:     hidden_global_offset_x
      - .offset:         112
        .size:           8
        .value_kind:     hidden_global_offset_y
      - .offset:         120
        .size:           8
        .value_kind:     hidden_global_offset_z
      - .offset:         128
        .size:           2
        .value_kind:     hidden_grid_dims
      - .offset:         184
        .size:           4
        .value_kind:     hidden_dynamic_lds_size
    .group_segment_fixed_size: 0
    .kernarg_segment_align: 8
    .kernarg_segment_size: 320
    .language:       OpenCL C
    .language_version:
      - 2
      - 0
    .max_flat_workgroup_size: 256
    .name:           _ZN2at6native12_GLOBAL__N_135GammaBetaBackwardCUDAKernelTemplateIN3c104HalfEfLj32ELj8ELj64ELb0ELb0ELb0EEEvllPKT_S7_PKT0_SA_PS5_SB_
    .private_segment_fixed_size: 0
    .sgpr_count:     40
    .sgpr_spill_count: 0
    .symbol:         _ZN2at6native12_GLOBAL__N_135GammaBetaBackwardCUDAKernelTemplateIN3c104HalfEfLj32ELj8ELj64ELb0ELb0ELb0EEEvllPKT_S7_PKT0_SA_PS5_SB_.kd
    .uniform_work_group_size: 1
    .uses_dynamic_stack: false
    .vgpr_count:     94
    .vgpr_spill_count: 0
    .wavefront_size: 64
  - .args:
      - .offset:         0
        .size:           8
        .value_kind:     by_value
      - .offset:         8
        .size:           8
        .value_kind:     by_value
      - .actual_access:  read_only
        .address_space:  global
        .offset:         16
        .size:           8
        .value_kind:     global_buffer
      - .actual_access:  read_only
        .address_space:  global
        .offset:         24
        .size:           8
        .value_kind:     global_buffer
      - .actual_access:  read_only
        .address_space:  global
        .offset:         32
        .size:           8
        .value_kind:     global_buffer
      - .actual_access:  read_only
        .address_space:  global
        .offset:         40
        .size:           8
        .value_kind:     global_buffer
      - .actual_access:  write_only
        .address_space:  global
        .offset:         48
        .size:           8
        .value_kind:     global_buffer
      - .actual_access:  write_only
        .address_space:  global
        .offset:         56
        .size:           8
        .value_kind:     global_buffer
      - .offset:         64
        .size:           4
        .value_kind:     hidden_block_count_x
      - .offset:         68
        .size:           4
        .value_kind:     hidden_block_count_y
      - .offset:         72
        .size:           4
        .value_kind:     hidden_block_count_z
      - .offset:         76
        .size:           2
        .value_kind:     hidden_group_size_x
      - .offset:         78
        .size:           2
        .value_kind:     hidden_group_size_y
      - .offset:         80
        .size:           2
        .value_kind:     hidden_group_size_z
      - .offset:         82
        .size:           2
        .value_kind:     hidden_remainder_x
      - .offset:         84
        .size:           2
        .value_kind:     hidden_remainder_y
      - .offset:         86
        .size:           2
        .value_kind:     hidden_remainder_z
      - .offset:         104
        .size:           8
        .value_kind:     hidden_global_offset_x
      - .offset:         112
        .size:           8
        .value_kind:     hidden_global_offset_y
      - .offset:         120
        .size:           8
        .value_kind:     hidden_global_offset_z
      - .offset:         128
        .size:           2
        .value_kind:     hidden_grid_dims
      - .offset:         184
        .size:           4
        .value_kind:     hidden_dynamic_lds_size
    .group_segment_fixed_size: 0
    .kernarg_segment_align: 8
    .kernarg_segment_size: 320
    .language:       OpenCL C
    .language_version:
      - 2
      - 0
    .max_flat_workgroup_size: 512
    .name:           _ZN2at6native12_GLOBAL__N_135GammaBetaBackwardCUDAKernelTemplateIN3c104HalfEfLj32ELj16ELj128ELb0ELb1ELb0EEEvllPKT_S7_PKT0_SA_PS5_SB_
    .private_segment_fixed_size: 0
    .sgpr_count:     36
    .sgpr_spill_count: 0
    .symbol:         _ZN2at6native12_GLOBAL__N_135GammaBetaBackwardCUDAKernelTemplateIN3c104HalfEfLj32ELj16ELj128ELb0ELb1ELb0EEEvllPKT_S7_PKT0_SA_PS5_SB_.kd
    .uniform_work_group_size: 1
    .uses_dynamic_stack: false
    .vgpr_count:     34
    .vgpr_spill_count: 0
    .wavefront_size: 64
  - .args:
      - .offset:         0
        .size:           8
        .value_kind:     by_value
      - .offset:         8
        .size:           8
        .value_kind:     by_value
      - .actual_access:  read_only
        .address_space:  global
        .offset:         16
        .size:           8
        .value_kind:     global_buffer
      - .actual_access:  read_only
        .address_space:  global
        .offset:         24
        .size:           8
        .value_kind:     global_buffer
      - .actual_access:  read_only
        .address_space:  global
        .offset:         32
        .size:           8
        .value_kind:     global_buffer
      - .actual_access:  read_only
        .address_space:  global
        .offset:         40
        .size:           8
        .value_kind:     global_buffer
      - .actual_access:  write_only
        .address_space:  global
        .offset:         48
        .size:           8
        .value_kind:     global_buffer
      - .actual_access:  write_only
        .address_space:  global
        .offset:         56
        .size:           8
        .value_kind:     global_buffer
      - .offset:         64
        .size:           4
        .value_kind:     hidden_block_count_x
      - .offset:         68
        .size:           4
        .value_kind:     hidden_block_count_y
      - .offset:         72
        .size:           4
        .value_kind:     hidden_block_count_z
      - .offset:         76
        .size:           2
        .value_kind:     hidden_group_size_x
      - .offset:         78
        .size:           2
        .value_kind:     hidden_group_size_y
      - .offset:         80
        .size:           2
        .value_kind:     hidden_group_size_z
      - .offset:         82
        .size:           2
        .value_kind:     hidden_remainder_x
      - .offset:         84
        .size:           2
        .value_kind:     hidden_remainder_y
      - .offset:         86
        .size:           2
        .value_kind:     hidden_remainder_z
      - .offset:         104
        .size:           8
        .value_kind:     hidden_global_offset_x
      - .offset:         112
        .size:           8
        .value_kind:     hidden_global_offset_y
      - .offset:         120
        .size:           8
        .value_kind:     hidden_global_offset_z
      - .offset:         128
        .size:           2
        .value_kind:     hidden_grid_dims
      - .offset:         184
        .size:           4
        .value_kind:     hidden_dynamic_lds_size
    .group_segment_fixed_size: 0
    .kernarg_segment_align: 8
    .kernarg_segment_size: 320
    .language:       OpenCL C
    .language_version:
      - 2
      - 0
    .max_flat_workgroup_size: 512
    .name:           _ZN2at6native12_GLOBAL__N_135GammaBetaBackwardCUDAKernelTemplateIN3c104HalfEfLj32ELj16ELj128ELb0ELb0ELb0EEEvllPKT_S7_PKT0_SA_PS5_SB_
    .private_segment_fixed_size: 0
    .sgpr_count:     40
    .sgpr_spill_count: 0
    .symbol:         _ZN2at6native12_GLOBAL__N_135GammaBetaBackwardCUDAKernelTemplateIN3c104HalfEfLj32ELj16ELj128ELb0ELb0ELb0EEEvllPKT_S7_PKT0_SA_PS5_SB_.kd
    .uniform_work_group_size: 1
    .uses_dynamic_stack: false
    .vgpr_count:     94
    .vgpr_spill_count: 0
    .wavefront_size: 64
  - .args:
      - .offset:         0
        .size:           8
        .value_kind:     by_value
      - .offset:         8
        .size:           8
        .value_kind:     by_value
      - .actual_access:  read_only
        .address_space:  global
        .offset:         16
        .size:           8
        .value_kind:     global_buffer
      - .actual_access:  read_only
        .address_space:  global
        .offset:         24
        .size:           8
        .value_kind:     global_buffer
      - .actual_access:  read_only
        .address_space:  global
        .offset:         32
        .size:           8
        .value_kind:     global_buffer
      - .actual_access:  read_only
        .address_space:  global
        .offset:         40
        .size:           8
        .value_kind:     global_buffer
      - .actual_access:  write_only
        .address_space:  global
        .offset:         48
        .size:           8
        .value_kind:     global_buffer
      - .actual_access:  write_only
        .address_space:  global
        .offset:         56
        .size:           8
        .value_kind:     global_buffer
      - .offset:         64
        .size:           4
        .value_kind:     hidden_block_count_x
      - .offset:         68
        .size:           4
        .value_kind:     hidden_block_count_y
      - .offset:         72
        .size:           4
        .value_kind:     hidden_block_count_z
      - .offset:         76
        .size:           2
        .value_kind:     hidden_group_size_x
      - .offset:         78
        .size:           2
        .value_kind:     hidden_group_size_y
      - .offset:         80
        .size:           2
        .value_kind:     hidden_group_size_z
      - .offset:         82
        .size:           2
        .value_kind:     hidden_remainder_x
      - .offset:         84
        .size:           2
        .value_kind:     hidden_remainder_y
      - .offset:         86
        .size:           2
        .value_kind:     hidden_remainder_z
      - .offset:         104
        .size:           8
        .value_kind:     hidden_global_offset_x
      - .offset:         112
        .size:           8
        .value_kind:     hidden_global_offset_y
      - .offset:         120
        .size:           8
        .value_kind:     hidden_global_offset_z
      - .offset:         128
        .size:           2
        .value_kind:     hidden_grid_dims
      - .offset:         184
        .size:           4
        .value_kind:     hidden_dynamic_lds_size
    .group_segment_fixed_size: 0
    .kernarg_segment_align: 8
    .kernarg_segment_size: 320
    .language:       OpenCL C
    .language_version:
      - 2
      - 0
    .max_flat_workgroup_size: 1024
    .name:           _ZN2at6native12_GLOBAL__N_135GammaBetaBackwardCUDAKernelTemplateIN3c104HalfEfLj32ELj32ELj256ELb0ELb1ELb0EEEvllPKT_S7_PKT0_SA_PS5_SB_
    .private_segment_fixed_size: 0
    .sgpr_count:     36
    .sgpr_spill_count: 0
    .symbol:         _ZN2at6native12_GLOBAL__N_135GammaBetaBackwardCUDAKernelTemplateIN3c104HalfEfLj32ELj32ELj256ELb0ELb1ELb0EEEvllPKT_S7_PKT0_SA_PS5_SB_.kd
    .uniform_work_group_size: 1
    .uses_dynamic_stack: false
    .vgpr_count:     34
    .vgpr_spill_count: 0
    .wavefront_size: 64
  - .args:
      - .offset:         0
        .size:           8
        .value_kind:     by_value
      - .offset:         8
        .size:           8
        .value_kind:     by_value
      - .actual_access:  read_only
        .address_space:  global
        .offset:         16
        .size:           8
        .value_kind:     global_buffer
      - .actual_access:  read_only
        .address_space:  global
        .offset:         24
        .size:           8
        .value_kind:     global_buffer
      - .actual_access:  read_only
        .address_space:  global
        .offset:         32
        .size:           8
        .value_kind:     global_buffer
      - .actual_access:  read_only
        .address_space:  global
        .offset:         40
        .size:           8
        .value_kind:     global_buffer
      - .actual_access:  write_only
        .address_space:  global
        .offset:         48
        .size:           8
        .value_kind:     global_buffer
      - .actual_access:  write_only
        .address_space:  global
        .offset:         56
        .size:           8
        .value_kind:     global_buffer
      - .offset:         64
        .size:           4
        .value_kind:     hidden_block_count_x
      - .offset:         68
        .size:           4
        .value_kind:     hidden_block_count_y
      - .offset:         72
        .size:           4
        .value_kind:     hidden_block_count_z
      - .offset:         76
        .size:           2
        .value_kind:     hidden_group_size_x
      - .offset:         78
        .size:           2
        .value_kind:     hidden_group_size_y
      - .offset:         80
        .size:           2
        .value_kind:     hidden_group_size_z
      - .offset:         82
        .size:           2
        .value_kind:     hidden_remainder_x
      - .offset:         84
        .size:           2
        .value_kind:     hidden_remainder_y
      - .offset:         86
        .size:           2
        .value_kind:     hidden_remainder_z
      - .offset:         104
        .size:           8
        .value_kind:     hidden_global_offset_x
      - .offset:         112
        .size:           8
        .value_kind:     hidden_global_offset_y
      - .offset:         120
        .size:           8
        .value_kind:     hidden_global_offset_z
      - .offset:         128
        .size:           2
        .value_kind:     hidden_grid_dims
      - .offset:         184
        .size:           4
        .value_kind:     hidden_dynamic_lds_size
    .group_segment_fixed_size: 0
    .kernarg_segment_align: 8
    .kernarg_segment_size: 320
    .language:       OpenCL C
    .language_version:
      - 2
      - 0
    .max_flat_workgroup_size: 1024
    .name:           _ZN2at6native12_GLOBAL__N_135GammaBetaBackwardCUDAKernelTemplateIN3c104HalfEfLj32ELj32ELj256ELb0ELb0ELb0EEEvllPKT_S7_PKT0_SA_PS5_SB_
    .private_segment_fixed_size: 116
    .sgpr_count:     44
    .sgpr_spill_count: 0
    .symbol:         _ZN2at6native12_GLOBAL__N_135GammaBetaBackwardCUDAKernelTemplateIN3c104HalfEfLj32ELj32ELj256ELb0ELb0ELb0EEEvllPKT_S7_PKT0_SA_PS5_SB_.kd
    .uniform_work_group_size: 1
    .uses_dynamic_stack: false
    .vgpr_count:     64
    .vgpr_spill_count: 52
    .wavefront_size: 64
  - .args:
      - .actual_access:  read_only
        .address_space:  global
        .offset:         0
        .size:           8
        .value_kind:     global_buffer
      - .actual_access:  read_only
        .address_space:  global
        .offset:         8
        .size:           8
        .value_kind:     global_buffer
      - .offset:         16
        .size:           8
        .value_kind:     by_value
      - .offset:         24
        .size:           8
        .value_kind:     by_value
      - .actual_access:  read_only
        .address_space:  global
        .offset:         32
        .size:           8
        .value_kind:     global_buffer
      - .actual_access:  read_only
        .address_space:  global
        .offset:         40
        .size:           8
        .value_kind:     global_buffer
      - .address_space:  global
        .offset:         48
        .size:           8
        .value_kind:     global_buffer
      - .address_space:  global
        .offset:         56
        .size:           8
        .value_kind:     global_buffer
      - .offset:         64
        .size:           4
        .value_kind:     hidden_block_count_x
      - .offset:         68
        .size:           4
        .value_kind:     hidden_block_count_y
      - .offset:         72
        .size:           4
        .value_kind:     hidden_block_count_z
      - .offset:         76
        .size:           2
        .value_kind:     hidden_group_size_x
      - .offset:         78
        .size:           2
        .value_kind:     hidden_group_size_y
      - .offset:         80
        .size:           2
        .value_kind:     hidden_group_size_z
      - .offset:         82
        .size:           2
        .value_kind:     hidden_remainder_x
      - .offset:         84
        .size:           2
        .value_kind:     hidden_remainder_y
      - .offset:         86
        .size:           2
        .value_kind:     hidden_remainder_z
      - .offset:         104
        .size:           8
        .value_kind:     hidden_global_offset_x
      - .offset:         112
        .size:           8
        .value_kind:     hidden_global_offset_y
      - .offset:         120
        .size:           8
        .value_kind:     hidden_global_offset_z
      - .offset:         128
        .size:           2
        .value_kind:     hidden_grid_dims
      - .offset:         184
        .size:           4
        .value_kind:     hidden_dynamic_lds_size
    .group_segment_fixed_size: 0
    .kernarg_segment_align: 8
    .kernarg_segment_size: 320
    .language:       OpenCL C
    .language_version:
      - 2
      - 0
    .max_flat_workgroup_size: 1024
    .name:           _ZN2at6native12_GLOBAL__N_118cuComputeGradInputIN3c108BFloat16EfLb0EEEvPKT_S7_llPKT0_SA_S7_PS5_
    .private_segment_fixed_size: 0
    .sgpr_count:     55
    .sgpr_spill_count: 0
    .symbol:         _ZN2at6native12_GLOBAL__N_118cuComputeGradInputIN3c108BFloat16EfLb0EEEvPKT_S7_llPKT0_SA_S7_PS5_.kd
    .uniform_work_group_size: 1
    .uses_dynamic_stack: false
    .vgpr_count:     22
    .vgpr_spill_count: 0
    .wavefront_size: 64
  - .args:
      - .actual_access:  read_only
        .address_space:  global
        .offset:         0
        .size:           8
        .value_kind:     global_buffer
      - .actual_access:  read_only
        .address_space:  global
        .offset:         8
        .size:           8
        .value_kind:     global_buffer
      - .actual_access:  read_only
        .address_space:  global
        .offset:         16
        .size:           8
        .value_kind:     global_buffer
      - .actual_access:  read_only
        .address_space:  global
        .offset:         24
        .size:           8
        .value_kind:     global_buffer
      - .actual_access:  read_only
        .address_space:  global
        .offset:         32
        .size:           8
        .value_kind:     global_buffer
      - .address_space:  global
        .offset:         40
        .size:           8
        .value_kind:     global_buffer
      - .offset:         48
        .size:           4
        .value_kind:     by_value
      - .offset:         56
        .size:           4
        .value_kind:     hidden_block_count_x
      - .offset:         60
        .size:           4
        .value_kind:     hidden_block_count_y
      - .offset:         64
        .size:           4
        .value_kind:     hidden_block_count_z
      - .offset:         68
        .size:           2
        .value_kind:     hidden_group_size_x
      - .offset:         70
        .size:           2
        .value_kind:     hidden_group_size_y
      - .offset:         72
        .size:           2
        .value_kind:     hidden_group_size_z
      - .offset:         74
        .size:           2
        .value_kind:     hidden_remainder_x
      - .offset:         76
        .size:           2
        .value_kind:     hidden_remainder_y
      - .offset:         78
        .size:           2
        .value_kind:     hidden_remainder_z
      - .offset:         96
        .size:           8
        .value_kind:     hidden_global_offset_x
      - .offset:         104
        .size:           8
        .value_kind:     hidden_global_offset_y
      - .offset:         112
        .size:           8
        .value_kind:     hidden_global_offset_z
      - .offset:         120
        .size:           2
        .value_kind:     hidden_grid_dims
      - .offset:         176
        .size:           4
        .value_kind:     hidden_dynamic_lds_size
    .group_segment_fixed_size: 0
    .kernarg_segment_align: 8
    .kernarg_segment_size: 312
    .language:       OpenCL C
    .language_version:
      - 2
      - 0
    .max_flat_workgroup_size: 1024
    .name:           _ZN2at6native12_GLOBAL__N_128layer_norm_grad_input_kernelIN3c108BFloat16EfLb0EEEvPKT_S7_PKT0_SA_S7_PS5_i
    .private_segment_fixed_size: 0
    .sgpr_count:     30
    .sgpr_spill_count: 0
    .symbol:         _ZN2at6native12_GLOBAL__N_128layer_norm_grad_input_kernelIN3c108BFloat16EfLb0EEEvPKT_S7_PKT0_SA_S7_PS5_i.kd
    .uniform_work_group_size: 1
    .uses_dynamic_stack: false
    .vgpr_count:     23
    .vgpr_spill_count: 0
    .wavefront_size: 64
  - .args:
      - .offset:         0
        .size:           8
        .value_kind:     by_value
      - .offset:         8
        .size:           8
        .value_kind:     by_value
      - .address_space:  global
        .offset:         16
        .size:           8
        .value_kind:     global_buffer
      - .address_space:  global
        .offset:         24
        .size:           8
        .value_kind:     global_buffer
      - .address_space:  global
        .offset:         32
        .size:           8
        .value_kind:     global_buffer
      - .address_space:  global
        .offset:         40
        .size:           8
        .value_kind:     global_buffer
      - .address_space:  global
        .offset:         48
        .size:           8
        .value_kind:     global_buffer
      - .address_space:  global
        .offset:         56
        .size:           8
        .value_kind:     global_buffer
      - .offset:         64
        .size:           4
        .value_kind:     hidden_block_count_x
      - .offset:         68
        .size:           4
        .value_kind:     hidden_block_count_y
      - .offset:         72
        .size:           4
        .value_kind:     hidden_block_count_z
      - .offset:         76
        .size:           2
        .value_kind:     hidden_group_size_x
      - .offset:         78
        .size:           2
        .value_kind:     hidden_group_size_y
      - .offset:         80
        .size:           2
        .value_kind:     hidden_group_size_z
      - .offset:         82
        .size:           2
        .value_kind:     hidden_remainder_x
      - .offset:         84
        .size:           2
        .value_kind:     hidden_remainder_y
      - .offset:         86
        .size:           2
        .value_kind:     hidden_remainder_z
      - .offset:         104
        .size:           8
        .value_kind:     hidden_global_offset_x
      - .offset:         112
        .size:           8
        .value_kind:     hidden_global_offset_y
      - .offset:         120
        .size:           8
        .value_kind:     hidden_global_offset_z
      - .offset:         128
        .size:           2
        .value_kind:     hidden_grid_dims
    .group_segment_fixed_size: 0
    .kernarg_segment_align: 8
    .kernarg_segment_size: 320
    .language:       OpenCL C
    .language_version:
      - 2
      - 0
    .max_flat_workgroup_size: 1024
    .name:           _ZN2at6native12_GLOBAL__N_133GammaBetaBackwardSimpleCUDAKernelIN3c108BFloat16EfLb0EEEvllPKT_S7_PKT0_SA_PS5_SB_
    .private_segment_fixed_size: 0
    .sgpr_count:     28
    .sgpr_spill_count: 0
    .symbol:         _ZN2at6native12_GLOBAL__N_133GammaBetaBackwardSimpleCUDAKernelIN3c108BFloat16EfLb0EEEvllPKT_S7_PKT0_SA_PS5_SB_.kd
    .uniform_work_group_size: 1
    .uses_dynamic_stack: false
    .vgpr_count:     10
    .vgpr_spill_count: 0
    .wavefront_size: 64
  - .args:
      - .offset:         0
        .size:           8
        .value_kind:     by_value
      - .offset:         8
        .size:           8
        .value_kind:     by_value
      - .actual_access:  read_only
        .address_space:  global
        .offset:         16
        .size:           8
        .value_kind:     global_buffer
      - .actual_access:  read_only
        .address_space:  global
        .offset:         24
        .size:           8
        .value_kind:     global_buffer
      - .actual_access:  read_only
        .address_space:  global
        .offset:         32
        .size:           8
        .value_kind:     global_buffer
      - .actual_access:  read_only
        .address_space:  global
        .offset:         40
        .size:           8
        .value_kind:     global_buffer
      - .actual_access:  write_only
        .address_space:  global
        .offset:         48
        .size:           8
        .value_kind:     global_buffer
      - .actual_access:  write_only
        .address_space:  global
        .offset:         56
        .size:           8
        .value_kind:     global_buffer
      - .offset:         64
        .size:           4
        .value_kind:     hidden_block_count_x
      - .offset:         68
        .size:           4
        .value_kind:     hidden_block_count_y
      - .offset:         72
        .size:           4
        .value_kind:     hidden_block_count_z
      - .offset:         76
        .size:           2
        .value_kind:     hidden_group_size_x
      - .offset:         78
        .size:           2
        .value_kind:     hidden_group_size_y
      - .offset:         80
        .size:           2
        .value_kind:     hidden_group_size_z
      - .offset:         82
        .size:           2
        .value_kind:     hidden_remainder_x
      - .offset:         84
        .size:           2
        .value_kind:     hidden_remainder_y
      - .offset:         86
        .size:           2
        .value_kind:     hidden_remainder_z
      - .offset:         104
        .size:           8
        .value_kind:     hidden_global_offset_x
      - .offset:         112
        .size:           8
        .value_kind:     hidden_global_offset_y
      - .offset:         120
        .size:           8
        .value_kind:     hidden_global_offset_z
      - .offset:         128
        .size:           2
        .value_kind:     hidden_grid_dims
    .group_segment_fixed_size: 0
    .kernarg_segment_align: 8
    .kernarg_segment_size: 320
    .language:       OpenCL C
    .language_version:
      - 2
      - 0
    .max_flat_workgroup_size: 64
    .name:           _ZN2at6native12_GLOBAL__N_135GammaBetaBackwardCUDAKernelTemplateIN3c108BFloat16EfLj64ELj1ELj32ELb1ELb1ELb0EEEvllPKT_S7_PKT0_SA_PS5_SB_
    .private_segment_fixed_size: 0
    .sgpr_count:     44
    .sgpr_spill_count: 0
    .symbol:         _ZN2at6native12_GLOBAL__N_135GammaBetaBackwardCUDAKernelTemplateIN3c108BFloat16EfLj64ELj1ELj32ELb1ELb1ELb0EEEvllPKT_S7_PKT0_SA_PS5_SB_.kd
    .uniform_work_group_size: 1
    .uses_dynamic_stack: false
    .vgpr_count:     81
    .vgpr_spill_count: 0
    .wavefront_size: 64
  - .args:
      - .offset:         0
        .size:           8
        .value_kind:     by_value
      - .offset:         8
        .size:           8
        .value_kind:     by_value
      - .actual_access:  read_only
        .address_space:  global
        .offset:         16
        .size:           8
        .value_kind:     global_buffer
      - .actual_access:  read_only
        .address_space:  global
        .offset:         24
        .size:           8
        .value_kind:     global_buffer
      - .actual_access:  read_only
        .address_space:  global
        .offset:         32
        .size:           8
        .value_kind:     global_buffer
      - .actual_access:  read_only
        .address_space:  global
        .offset:         40
        .size:           8
        .value_kind:     global_buffer
      - .actual_access:  write_only
        .address_space:  global
        .offset:         48
        .size:           8
        .value_kind:     global_buffer
      - .actual_access:  write_only
        .address_space:  global
        .offset:         56
        .size:           8
        .value_kind:     global_buffer
      - .offset:         64
        .size:           4
        .value_kind:     hidden_block_count_x
      - .offset:         68
        .size:           4
        .value_kind:     hidden_block_count_y
      - .offset:         72
        .size:           4
        .value_kind:     hidden_block_count_z
      - .offset:         76
        .size:           2
        .value_kind:     hidden_group_size_x
      - .offset:         78
        .size:           2
        .value_kind:     hidden_group_size_y
      - .offset:         80
        .size:           2
        .value_kind:     hidden_group_size_z
      - .offset:         82
        .size:           2
        .value_kind:     hidden_remainder_x
      - .offset:         84
        .size:           2
        .value_kind:     hidden_remainder_y
      - .offset:         86
        .size:           2
        .value_kind:     hidden_remainder_z
      - .offset:         104
        .size:           8
        .value_kind:     hidden_global_offset_x
      - .offset:         112
        .size:           8
        .value_kind:     hidden_global_offset_y
      - .offset:         120
        .size:           8
        .value_kind:     hidden_global_offset_z
      - .offset:         128
        .size:           2
        .value_kind:     hidden_grid_dims
    .group_segment_fixed_size: 0
    .kernarg_segment_align: 8
    .kernarg_segment_size: 320
    .language:       OpenCL C
    .language_version:
      - 2
      - 0
    .max_flat_workgroup_size: 64
    .name:           _ZN2at6native12_GLOBAL__N_135GammaBetaBackwardCUDAKernelTemplateIN3c108BFloat16EfLj64ELj1ELj32ELb1ELb0ELb0EEEvllPKT_S7_PKT0_SA_PS5_SB_
    .private_segment_fixed_size: 316
    .sgpr_count:     48
    .sgpr_spill_count: 0
    .symbol:         _ZN2at6native12_GLOBAL__N_135GammaBetaBackwardCUDAKernelTemplateIN3c108BFloat16EfLj64ELj1ELj32ELb1ELb0ELb0EEEvllPKT_S7_PKT0_SA_PS5_SB_.kd
    .uniform_work_group_size: 1
    .uses_dynamic_stack: false
    .vgpr_count:     256
    .vgpr_spill_count: 151
    .wavefront_size: 64
  - .args:
      - .offset:         0
        .size:           8
        .value_kind:     by_value
      - .offset:         8
        .size:           8
        .value_kind:     by_value
      - .actual_access:  read_only
        .address_space:  global
        .offset:         16
        .size:           8
        .value_kind:     global_buffer
      - .actual_access:  read_only
        .address_space:  global
        .offset:         24
        .size:           8
        .value_kind:     global_buffer
      - .actual_access:  read_only
        .address_space:  global
        .offset:         32
        .size:           8
        .value_kind:     global_buffer
      - .actual_access:  read_only
        .address_space:  global
        .offset:         40
        .size:           8
        .value_kind:     global_buffer
      - .actual_access:  write_only
        .address_space:  global
        .offset:         48
        .size:           8
        .value_kind:     global_buffer
      - .actual_access:  write_only
        .address_space:  global
        .offset:         56
        .size:           8
        .value_kind:     global_buffer
      - .offset:         64
        .size:           4
        .value_kind:     hidden_block_count_x
      - .offset:         68
        .size:           4
        .value_kind:     hidden_block_count_y
      - .offset:         72
        .size:           4
        .value_kind:     hidden_block_count_z
      - .offset:         76
        .size:           2
        .value_kind:     hidden_group_size_x
      - .offset:         78
        .size:           2
        .value_kind:     hidden_group_size_y
      - .offset:         80
        .size:           2
        .value_kind:     hidden_group_size_z
      - .offset:         82
        .size:           2
        .value_kind:     hidden_remainder_x
      - .offset:         84
        .size:           2
        .value_kind:     hidden_remainder_y
      - .offset:         86
        .size:           2
        .value_kind:     hidden_remainder_z
      - .offset:         104
        .size:           8
        .value_kind:     hidden_global_offset_x
      - .offset:         112
        .size:           8
        .value_kind:     hidden_global_offset_y
      - .offset:         120
        .size:           8
        .value_kind:     hidden_global_offset_z
      - .offset:         128
        .size:           2
        .value_kind:     hidden_grid_dims
    .group_segment_fixed_size: 0
    .kernarg_segment_align: 8
    .kernarg_segment_size: 320
    .language:       OpenCL C
    .language_version:
      - 2
      - 0
    .max_flat_workgroup_size: 64
    .name:           _ZN2at6native12_GLOBAL__N_135GammaBetaBackwardCUDAKernelTemplateIN3c108BFloat16EfLj64ELj1ELj8ELb1ELb1ELb0EEEvllPKT_S7_PKT0_SA_PS5_SB_
    .private_segment_fixed_size: 0
    .sgpr_count:     44
    .sgpr_spill_count: 0
    .symbol:         _ZN2at6native12_GLOBAL__N_135GammaBetaBackwardCUDAKernelTemplateIN3c108BFloat16EfLj64ELj1ELj8ELb1ELb1ELb0EEEvllPKT_S7_PKT0_SA_PS5_SB_.kd
    .uniform_work_group_size: 1
    .uses_dynamic_stack: false
    .vgpr_count:     33
    .vgpr_spill_count: 0
    .wavefront_size: 64
  - .args:
      - .offset:         0
        .size:           8
        .value_kind:     by_value
      - .offset:         8
        .size:           8
        .value_kind:     by_value
      - .actual_access:  read_only
        .address_space:  global
        .offset:         16
        .size:           8
        .value_kind:     global_buffer
      - .actual_access:  read_only
        .address_space:  global
        .offset:         24
        .size:           8
        .value_kind:     global_buffer
      - .actual_access:  read_only
        .address_space:  global
        .offset:         32
        .size:           8
        .value_kind:     global_buffer
      - .actual_access:  read_only
        .address_space:  global
        .offset:         40
        .size:           8
        .value_kind:     global_buffer
      - .actual_access:  write_only
        .address_space:  global
        .offset:         48
        .size:           8
        .value_kind:     global_buffer
      - .actual_access:  write_only
        .address_space:  global
        .offset:         56
        .size:           8
        .value_kind:     global_buffer
      - .offset:         64
        .size:           4
        .value_kind:     hidden_block_count_x
      - .offset:         68
        .size:           4
        .value_kind:     hidden_block_count_y
      - .offset:         72
        .size:           4
        .value_kind:     hidden_block_count_z
      - .offset:         76
        .size:           2
        .value_kind:     hidden_group_size_x
      - .offset:         78
        .size:           2
        .value_kind:     hidden_group_size_y
      - .offset:         80
        .size:           2
        .value_kind:     hidden_group_size_z
      - .offset:         82
        .size:           2
        .value_kind:     hidden_remainder_x
      - .offset:         84
        .size:           2
        .value_kind:     hidden_remainder_y
      - .offset:         86
        .size:           2
        .value_kind:     hidden_remainder_z
      - .offset:         104
        .size:           8
        .value_kind:     hidden_global_offset_x
      - .offset:         112
        .size:           8
        .value_kind:     hidden_global_offset_y
      - .offset:         120
        .size:           8
        .value_kind:     hidden_global_offset_z
      - .offset:         128
        .size:           2
        .value_kind:     hidden_grid_dims
    .group_segment_fixed_size: 0
    .kernarg_segment_align: 8
    .kernarg_segment_size: 320
    .language:       OpenCL C
    .language_version:
      - 2
      - 0
    .max_flat_workgroup_size: 64
    .name:           _ZN2at6native12_GLOBAL__N_135GammaBetaBackwardCUDAKernelTemplateIN3c108BFloat16EfLj64ELj1ELj8ELb1ELb0ELb0EEEvllPKT_S7_PKT0_SA_PS5_SB_
    .private_segment_fixed_size: 0
    .sgpr_count:     42
    .sgpr_spill_count: 0
    .symbol:         _ZN2at6native12_GLOBAL__N_135GammaBetaBackwardCUDAKernelTemplateIN3c108BFloat16EfLj64ELj1ELj8ELb1ELb0ELb0EEEvllPKT_S7_PKT0_SA_PS5_SB_.kd
    .uniform_work_group_size: 1
    .uses_dynamic_stack: false
    .vgpr_count:     95
    .vgpr_spill_count: 0
    .wavefront_size: 64
  - .args:
      - .offset:         0
        .size:           8
        .value_kind:     by_value
      - .offset:         8
        .size:           8
        .value_kind:     by_value
      - .actual_access:  read_only
        .address_space:  global
        .offset:         16
        .size:           8
        .value_kind:     global_buffer
      - .actual_access:  read_only
        .address_space:  global
        .offset:         24
        .size:           8
        .value_kind:     global_buffer
      - .actual_access:  read_only
        .address_space:  global
        .offset:         32
        .size:           8
        .value_kind:     global_buffer
      - .actual_access:  read_only
        .address_space:  global
        .offset:         40
        .size:           8
        .value_kind:     global_buffer
      - .actual_access:  write_only
        .address_space:  global
        .offset:         48
        .size:           8
        .value_kind:     global_buffer
      - .actual_access:  write_only
        .address_space:  global
        .offset:         56
        .size:           8
        .value_kind:     global_buffer
      - .offset:         64
        .size:           4
        .value_kind:     hidden_block_count_x
      - .offset:         68
        .size:           4
        .value_kind:     hidden_block_count_y
      - .offset:         72
        .size:           4
        .value_kind:     hidden_block_count_z
      - .offset:         76
        .size:           2
        .value_kind:     hidden_group_size_x
      - .offset:         78
        .size:           2
        .value_kind:     hidden_group_size_y
      - .offset:         80
        .size:           2
        .value_kind:     hidden_group_size_z
      - .offset:         82
        .size:           2
        .value_kind:     hidden_remainder_x
      - .offset:         84
        .size:           2
        .value_kind:     hidden_remainder_y
      - .offset:         86
        .size:           2
        .value_kind:     hidden_remainder_z
      - .offset:         104
        .size:           8
        .value_kind:     hidden_global_offset_x
      - .offset:         112
        .size:           8
        .value_kind:     hidden_global_offset_y
      - .offset:         120
        .size:           8
        .value_kind:     hidden_global_offset_z
      - .offset:         128
        .size:           2
        .value_kind:     hidden_grid_dims
      - .offset:         184
        .size:           4
        .value_kind:     hidden_dynamic_lds_size
    .group_segment_fixed_size: 0
    .kernarg_segment_align: 8
    .kernarg_segment_size: 320
    .language:       OpenCL C
    .language_version:
      - 2
      - 0
    .max_flat_workgroup_size: 512
    .name:           _ZN2at6native12_GLOBAL__N_135GammaBetaBackwardCUDAKernelTemplateIN3c108BFloat16EfLj64ELj8ELj64ELb0ELb1ELb0EEEvllPKT_S7_PKT0_SA_PS5_SB_
    .private_segment_fixed_size: 0
    .sgpr_count:     36
    .sgpr_spill_count: 0
    .symbol:         _ZN2at6native12_GLOBAL__N_135GammaBetaBackwardCUDAKernelTemplateIN3c108BFloat16EfLj64ELj8ELj64ELb0ELb1ELb0EEEvllPKT_S7_PKT0_SA_PS5_SB_.kd
    .uniform_work_group_size: 1
    .uses_dynamic_stack: false
    .vgpr_count:     34
    .vgpr_spill_count: 0
    .wavefront_size: 64
  - .args:
      - .offset:         0
        .size:           8
        .value_kind:     by_value
      - .offset:         8
        .size:           8
        .value_kind:     by_value
      - .actual_access:  read_only
        .address_space:  global
        .offset:         16
        .size:           8
        .value_kind:     global_buffer
      - .actual_access:  read_only
        .address_space:  global
        .offset:         24
        .size:           8
        .value_kind:     global_buffer
      - .actual_access:  read_only
        .address_space:  global
        .offset:         32
        .size:           8
        .value_kind:     global_buffer
      - .actual_access:  read_only
        .address_space:  global
        .offset:         40
        .size:           8
        .value_kind:     global_buffer
      - .actual_access:  write_only
        .address_space:  global
        .offset:         48
        .size:           8
        .value_kind:     global_buffer
      - .actual_access:  write_only
        .address_space:  global
        .offset:         56
        .size:           8
        .value_kind:     global_buffer
      - .offset:         64
        .size:           4
        .value_kind:     hidden_block_count_x
      - .offset:         68
        .size:           4
        .value_kind:     hidden_block_count_y
      - .offset:         72
        .size:           4
        .value_kind:     hidden_block_count_z
      - .offset:         76
        .size:           2
        .value_kind:     hidden_group_size_x
      - .offset:         78
        .size:           2
        .value_kind:     hidden_group_size_y
      - .offset:         80
        .size:           2
        .value_kind:     hidden_group_size_z
      - .offset:         82
        .size:           2
        .value_kind:     hidden_remainder_x
      - .offset:         84
        .size:           2
        .value_kind:     hidden_remainder_y
      - .offset:         86
        .size:           2
        .value_kind:     hidden_remainder_z
      - .offset:         104
        .size:           8
        .value_kind:     hidden_global_offset_x
      - .offset:         112
        .size:           8
        .value_kind:     hidden_global_offset_y
      - .offset:         120
        .size:           8
        .value_kind:     hidden_global_offset_z
      - .offset:         128
        .size:           2
        .value_kind:     hidden_grid_dims
      - .offset:         184
        .size:           4
        .value_kind:     hidden_dynamic_lds_size
    .group_segment_fixed_size: 0
    .kernarg_segment_align: 8
    .kernarg_segment_size: 320
    .language:       OpenCL C
    .language_version:
      - 2
      - 0
    .max_flat_workgroup_size: 512
    .name:           _ZN2at6native12_GLOBAL__N_135GammaBetaBackwardCUDAKernelTemplateIN3c108BFloat16EfLj64ELj8ELj64ELb0ELb0ELb0EEEvllPKT_S7_PKT0_SA_PS5_SB_
    .private_segment_fixed_size: 0
    .sgpr_count:     40
    .sgpr_spill_count: 0
    .symbol:         _ZN2at6native12_GLOBAL__N_135GammaBetaBackwardCUDAKernelTemplateIN3c108BFloat16EfLj64ELj8ELj64ELb0ELb0ELb0EEEvllPKT_S7_PKT0_SA_PS5_SB_.kd
    .uniform_work_group_size: 1
    .uses_dynamic_stack: false
    .vgpr_count:     94
    .vgpr_spill_count: 0
    .wavefront_size: 64
  - .args:
      - .offset:         0
        .size:           8
        .value_kind:     by_value
      - .offset:         8
        .size:           8
        .value_kind:     by_value
      - .actual_access:  read_only
        .address_space:  global
        .offset:         16
        .size:           8
        .value_kind:     global_buffer
      - .actual_access:  read_only
        .address_space:  global
        .offset:         24
        .size:           8
        .value_kind:     global_buffer
      - .actual_access:  read_only
        .address_space:  global
        .offset:         32
        .size:           8
        .value_kind:     global_buffer
      - .actual_access:  read_only
        .address_space:  global
        .offset:         40
        .size:           8
        .value_kind:     global_buffer
      - .actual_access:  write_only
        .address_space:  global
        .offset:         48
        .size:           8
        .value_kind:     global_buffer
      - .actual_access:  write_only
        .address_space:  global
        .offset:         56
        .size:           8
        .value_kind:     global_buffer
      - .offset:         64
        .size:           4
        .value_kind:     hidden_block_count_x
      - .offset:         68
        .size:           4
        .value_kind:     hidden_block_count_y
      - .offset:         72
        .size:           4
        .value_kind:     hidden_block_count_z
      - .offset:         76
        .size:           2
        .value_kind:     hidden_group_size_x
      - .offset:         78
        .size:           2
        .value_kind:     hidden_group_size_y
      - .offset:         80
        .size:           2
        .value_kind:     hidden_group_size_z
      - .offset:         82
        .size:           2
        .value_kind:     hidden_remainder_x
      - .offset:         84
        .size:           2
        .value_kind:     hidden_remainder_y
      - .offset:         86
        .size:           2
        .value_kind:     hidden_remainder_z
      - .offset:         104
        .size:           8
        .value_kind:     hidden_global_offset_x
      - .offset:         112
        .size:           8
        .value_kind:     hidden_global_offset_y
      - .offset:         120
        .size:           8
        .value_kind:     hidden_global_offset_z
      - .offset:         128
        .size:           2
        .value_kind:     hidden_grid_dims
      - .offset:         184
        .size:           4
        .value_kind:     hidden_dynamic_lds_size
    .group_segment_fixed_size: 0
    .kernarg_segment_align: 8
    .kernarg_segment_size: 320
    .language:       OpenCL C
    .language_version:
      - 2
      - 0
    .max_flat_workgroup_size: 1024
    .name:           _ZN2at6native12_GLOBAL__N_135GammaBetaBackwardCUDAKernelTemplateIN3c108BFloat16EfLj64ELj16ELj128ELb0ELb1ELb0EEEvllPKT_S7_PKT0_SA_PS5_SB_
    .private_segment_fixed_size: 0
    .sgpr_count:     36
    .sgpr_spill_count: 0
    .symbol:         _ZN2at6native12_GLOBAL__N_135GammaBetaBackwardCUDAKernelTemplateIN3c108BFloat16EfLj64ELj16ELj128ELb0ELb1ELb0EEEvllPKT_S7_PKT0_SA_PS5_SB_.kd
    .uniform_work_group_size: 1
    .uses_dynamic_stack: false
    .vgpr_count:     34
    .vgpr_spill_count: 0
    .wavefront_size: 64
  - .args:
      - .offset:         0
        .size:           8
        .value_kind:     by_value
      - .offset:         8
        .size:           8
        .value_kind:     by_value
      - .actual_access:  read_only
        .address_space:  global
        .offset:         16
        .size:           8
        .value_kind:     global_buffer
      - .actual_access:  read_only
        .address_space:  global
        .offset:         24
        .size:           8
        .value_kind:     global_buffer
      - .actual_access:  read_only
        .address_space:  global
        .offset:         32
        .size:           8
        .value_kind:     global_buffer
      - .actual_access:  read_only
        .address_space:  global
        .offset:         40
        .size:           8
        .value_kind:     global_buffer
      - .actual_access:  write_only
        .address_space:  global
        .offset:         48
        .size:           8
        .value_kind:     global_buffer
      - .actual_access:  write_only
        .address_space:  global
        .offset:         56
        .size:           8
        .value_kind:     global_buffer
      - .offset:         64
        .size:           4
        .value_kind:     hidden_block_count_x
      - .offset:         68
        .size:           4
        .value_kind:     hidden_block_count_y
      - .offset:         72
        .size:           4
        .value_kind:     hidden_block_count_z
      - .offset:         76
        .size:           2
        .value_kind:     hidden_group_size_x
      - .offset:         78
        .size:           2
        .value_kind:     hidden_group_size_y
      - .offset:         80
        .size:           2
        .value_kind:     hidden_group_size_z
      - .offset:         82
        .size:           2
        .value_kind:     hidden_remainder_x
      - .offset:         84
        .size:           2
        .value_kind:     hidden_remainder_y
      - .offset:         86
        .size:           2
        .value_kind:     hidden_remainder_z
      - .offset:         104
        .size:           8
        .value_kind:     hidden_global_offset_x
      - .offset:         112
        .size:           8
        .value_kind:     hidden_global_offset_y
      - .offset:         120
        .size:           8
        .value_kind:     hidden_global_offset_z
      - .offset:         128
        .size:           2
        .value_kind:     hidden_grid_dims
      - .offset:         184
        .size:           4
        .value_kind:     hidden_dynamic_lds_size
    .group_segment_fixed_size: 0
    .kernarg_segment_align: 8
    .kernarg_segment_size: 320
    .language:       OpenCL C
    .language_version:
      - 2
      - 0
    .max_flat_workgroup_size: 1024
    .name:           _ZN2at6native12_GLOBAL__N_135GammaBetaBackwardCUDAKernelTemplateIN3c108BFloat16EfLj64ELj16ELj128ELb0ELb0ELb0EEEvllPKT_S7_PKT0_SA_PS5_SB_
    .private_segment_fixed_size: 116
    .sgpr_count:     44
    .sgpr_spill_count: 0
    .symbol:         _ZN2at6native12_GLOBAL__N_135GammaBetaBackwardCUDAKernelTemplateIN3c108BFloat16EfLj64ELj16ELj128ELb0ELb0ELb0EEEvllPKT_S7_PKT0_SA_PS5_SB_.kd
    .uniform_work_group_size: 1
    .uses_dynamic_stack: false
    .vgpr_count:     64
    .vgpr_spill_count: 52
    .wavefront_size: 64
  - .args:
      - .offset:         0
        .size:           8
        .value_kind:     by_value
      - .offset:         8
        .size:           8
        .value_kind:     by_value
      - .actual_access:  read_only
        .address_space:  global
        .offset:         16
        .size:           8
        .value_kind:     global_buffer
      - .actual_access:  read_only
        .address_space:  global
        .offset:         24
        .size:           8
        .value_kind:     global_buffer
      - .actual_access:  read_only
        .address_space:  global
        .offset:         32
        .size:           8
        .value_kind:     global_buffer
      - .actual_access:  read_only
        .address_space:  global
        .offset:         40
        .size:           8
        .value_kind:     global_buffer
      - .actual_access:  write_only
        .address_space:  global
        .offset:         48
        .size:           8
        .value_kind:     global_buffer
      - .actual_access:  write_only
        .address_space:  global
        .offset:         56
        .size:           8
        .value_kind:     global_buffer
      - .offset:         64
        .size:           4
        .value_kind:     hidden_block_count_x
      - .offset:         68
        .size:           4
        .value_kind:     hidden_block_count_y
      - .offset:         72
        .size:           4
        .value_kind:     hidden_block_count_z
      - .offset:         76
        .size:           2
        .value_kind:     hidden_group_size_x
      - .offset:         78
        .size:           2
        .value_kind:     hidden_group_size_y
      - .offset:         80
        .size:           2
        .value_kind:     hidden_group_size_z
      - .offset:         82
        .size:           2
        .value_kind:     hidden_remainder_x
      - .offset:         84
        .size:           2
        .value_kind:     hidden_remainder_y
      - .offset:         86
        .size:           2
        .value_kind:     hidden_remainder_z
      - .offset:         104
        .size:           8
        .value_kind:     hidden_global_offset_x
      - .offset:         112
        .size:           8
        .value_kind:     hidden_global_offset_y
      - .offset:         120
        .size:           8
        .value_kind:     hidden_global_offset_z
      - .offset:         128
        .size:           2
        .value_kind:     hidden_grid_dims
      - .offset:         184
        .size:           4
        .value_kind:     hidden_dynamic_lds_size
    .group_segment_fixed_size: 0
    .kernarg_segment_align: 8
    .kernarg_segment_size: 320
    .language:       OpenCL C
    .language_version:
      - 2
      - 0
    .max_flat_workgroup_size: 1024
    .name:           _ZN2at6native12_GLOBAL__N_135GammaBetaBackwardCUDAKernelTemplateIN3c108BFloat16EfLj64ELj16ELj256ELb0ELb1ELb0EEEvllPKT_S7_PKT0_SA_PS5_SB_
    .private_segment_fixed_size: 0
    .sgpr_count:     36
    .sgpr_spill_count: 0
    .symbol:         _ZN2at6native12_GLOBAL__N_135GammaBetaBackwardCUDAKernelTemplateIN3c108BFloat16EfLj64ELj16ELj256ELb0ELb1ELb0EEEvllPKT_S7_PKT0_SA_PS5_SB_.kd
    .uniform_work_group_size: 1
    .uses_dynamic_stack: false
    .vgpr_count:     61
    .vgpr_spill_count: 0
    .wavefront_size: 64
  - .args:
      - .offset:         0
        .size:           8
        .value_kind:     by_value
      - .offset:         8
        .size:           8
        .value_kind:     by_value
      - .actual_access:  read_only
        .address_space:  global
        .offset:         16
        .size:           8
        .value_kind:     global_buffer
      - .actual_access:  read_only
        .address_space:  global
        .offset:         24
        .size:           8
        .value_kind:     global_buffer
      - .actual_access:  read_only
        .address_space:  global
        .offset:         32
        .size:           8
        .value_kind:     global_buffer
      - .actual_access:  read_only
        .address_space:  global
        .offset:         40
        .size:           8
        .value_kind:     global_buffer
      - .actual_access:  write_only
        .address_space:  global
        .offset:         48
        .size:           8
        .value_kind:     global_buffer
      - .actual_access:  write_only
        .address_space:  global
        .offset:         56
        .size:           8
        .value_kind:     global_buffer
      - .offset:         64
        .size:           4
        .value_kind:     hidden_block_count_x
      - .offset:         68
        .size:           4
        .value_kind:     hidden_block_count_y
      - .offset:         72
        .size:           4
        .value_kind:     hidden_block_count_z
      - .offset:         76
        .size:           2
        .value_kind:     hidden_group_size_x
      - .offset:         78
        .size:           2
        .value_kind:     hidden_group_size_y
      - .offset:         80
        .size:           2
        .value_kind:     hidden_group_size_z
      - .offset:         82
        .size:           2
        .value_kind:     hidden_remainder_x
      - .offset:         84
        .size:           2
        .value_kind:     hidden_remainder_y
      - .offset:         86
        .size:           2
        .value_kind:     hidden_remainder_z
      - .offset:         104
        .size:           8
        .value_kind:     hidden_global_offset_x
      - .offset:         112
        .size:           8
        .value_kind:     hidden_global_offset_y
      - .offset:         120
        .size:           8
        .value_kind:     hidden_global_offset_z
      - .offset:         128
        .size:           2
        .value_kind:     hidden_grid_dims
      - .offset:         184
        .size:           4
        .value_kind:     hidden_dynamic_lds_size
    .group_segment_fixed_size: 0
    .kernarg_segment_align: 8
    .kernarg_segment_size: 320
    .language:       OpenCL C
    .language_version:
      - 2
      - 0
    .max_flat_workgroup_size: 1024
    .name:           _ZN2at6native12_GLOBAL__N_135GammaBetaBackwardCUDAKernelTemplateIN3c108BFloat16EfLj64ELj16ELj256ELb0ELb0ELb0EEEvllPKT_S7_PKT0_SA_PS5_SB_
    .private_segment_fixed_size: 436
    .sgpr_count:     44
    .sgpr_spill_count: 0
    .symbol:         _ZN2at6native12_GLOBAL__N_135GammaBetaBackwardCUDAKernelTemplateIN3c108BFloat16EfLj64ELj16ELj256ELb0ELb0ELb0EEEvllPKT_S7_PKT0_SA_PS5_SB_.kd
    .uniform_work_group_size: 1
    .uses_dynamic_stack: false
    .vgpr_count:     64
    .vgpr_spill_count: 303
    .wavefront_size: 64
  - .args:
      - .offset:         0
        .size:           8
        .value_kind:     by_value
      - .offset:         8
        .size:           8
        .value_kind:     by_value
      - .actual_access:  read_only
        .address_space:  global
        .offset:         16
        .size:           8
        .value_kind:     global_buffer
      - .actual_access:  read_only
        .address_space:  global
        .offset:         24
        .size:           8
        .value_kind:     global_buffer
      - .actual_access:  read_only
        .address_space:  global
        .offset:         32
        .size:           8
        .value_kind:     global_buffer
      - .actual_access:  read_only
        .address_space:  global
        .offset:         40
        .size:           8
        .value_kind:     global_buffer
      - .actual_access:  write_only
        .address_space:  global
        .offset:         48
        .size:           8
        .value_kind:     global_buffer
      - .actual_access:  write_only
        .address_space:  global
        .offset:         56
        .size:           8
        .value_kind:     global_buffer
      - .offset:         64
        .size:           4
        .value_kind:     hidden_block_count_x
      - .offset:         68
        .size:           4
        .value_kind:     hidden_block_count_y
      - .offset:         72
        .size:           4
        .value_kind:     hidden_block_count_z
      - .offset:         76
        .size:           2
        .value_kind:     hidden_group_size_x
      - .offset:         78
        .size:           2
        .value_kind:     hidden_group_size_y
      - .offset:         80
        .size:           2
        .value_kind:     hidden_group_size_z
      - .offset:         82
        .size:           2
        .value_kind:     hidden_remainder_x
      - .offset:         84
        .size:           2
        .value_kind:     hidden_remainder_y
      - .offset:         86
        .size:           2
        .value_kind:     hidden_remainder_z
      - .offset:         104
        .size:           8
        .value_kind:     hidden_global_offset_x
      - .offset:         112
        .size:           8
        .value_kind:     hidden_global_offset_y
      - .offset:         120
        .size:           8
        .value_kind:     hidden_global_offset_z
      - .offset:         128
        .size:           2
        .value_kind:     hidden_grid_dims
    .group_segment_fixed_size: 0
    .kernarg_segment_align: 8
    .kernarg_segment_size: 320
    .language:       OpenCL C
    .language_version:
      - 2
      - 0
    .max_flat_workgroup_size: 32
    .name:           _ZN2at6native12_GLOBAL__N_135GammaBetaBackwardCUDAKernelTemplateIN3c108BFloat16EfLj32ELj1ELj32ELb1ELb1ELb0EEEvllPKT_S7_PKT0_SA_PS5_SB_
    .private_segment_fixed_size: 0
    .sgpr_count:     44
    .sgpr_spill_count: 0
    .symbol:         _ZN2at6native12_GLOBAL__N_135GammaBetaBackwardCUDAKernelTemplateIN3c108BFloat16EfLj32ELj1ELj32ELb1ELb1ELb0EEEvllPKT_S7_PKT0_SA_PS5_SB_.kd
    .uniform_work_group_size: 1
    .uses_dynamic_stack: false
    .vgpr_count:     81
    .vgpr_spill_count: 0
    .wavefront_size: 64
  - .args:
      - .offset:         0
        .size:           8
        .value_kind:     by_value
      - .offset:         8
        .size:           8
        .value_kind:     by_value
      - .actual_access:  read_only
        .address_space:  global
        .offset:         16
        .size:           8
        .value_kind:     global_buffer
      - .actual_access:  read_only
        .address_space:  global
        .offset:         24
        .size:           8
        .value_kind:     global_buffer
      - .actual_access:  read_only
        .address_space:  global
        .offset:         32
        .size:           8
        .value_kind:     global_buffer
      - .actual_access:  read_only
        .address_space:  global
        .offset:         40
        .size:           8
        .value_kind:     global_buffer
      - .actual_access:  write_only
        .address_space:  global
        .offset:         48
        .size:           8
        .value_kind:     global_buffer
      - .actual_access:  write_only
        .address_space:  global
        .offset:         56
        .size:           8
        .value_kind:     global_buffer
      - .offset:         64
        .size:           4
        .value_kind:     hidden_block_count_x
      - .offset:         68
        .size:           4
        .value_kind:     hidden_block_count_y
      - .offset:         72
        .size:           4
        .value_kind:     hidden_block_count_z
      - .offset:         76
        .size:           2
        .value_kind:     hidden_group_size_x
      - .offset:         78
        .size:           2
        .value_kind:     hidden_group_size_y
      - .offset:         80
        .size:           2
        .value_kind:     hidden_group_size_z
      - .offset:         82
        .size:           2
        .value_kind:     hidden_remainder_x
      - .offset:         84
        .size:           2
        .value_kind:     hidden_remainder_y
      - .offset:         86
        .size:           2
        .value_kind:     hidden_remainder_z
      - .offset:         104
        .size:           8
        .value_kind:     hidden_global_offset_x
      - .offset:         112
        .size:           8
        .value_kind:     hidden_global_offset_y
      - .offset:         120
        .size:           8
        .value_kind:     hidden_global_offset_z
      - .offset:         128
        .size:           2
        .value_kind:     hidden_grid_dims
    .group_segment_fixed_size: 0
    .kernarg_segment_align: 8
    .kernarg_segment_size: 320
    .language:       OpenCL C
    .language_version:
      - 2
      - 0
    .max_flat_workgroup_size: 32
    .name:           _ZN2at6native12_GLOBAL__N_135GammaBetaBackwardCUDAKernelTemplateIN3c108BFloat16EfLj32ELj1ELj32ELb1ELb0ELb0EEEvllPKT_S7_PKT0_SA_PS5_SB_
    .private_segment_fixed_size: 316
    .sgpr_count:     48
    .sgpr_spill_count: 0
    .symbol:         _ZN2at6native12_GLOBAL__N_135GammaBetaBackwardCUDAKernelTemplateIN3c108BFloat16EfLj32ELj1ELj32ELb1ELb0ELb0EEEvllPKT_S7_PKT0_SA_PS5_SB_.kd
    .uniform_work_group_size: 1
    .uses_dynamic_stack: false
    .vgpr_count:     256
    .vgpr_spill_count: 151
    .wavefront_size: 64
  - .args:
      - .offset:         0
        .size:           8
        .value_kind:     by_value
      - .offset:         8
        .size:           8
        .value_kind:     by_value
      - .actual_access:  read_only
        .address_space:  global
        .offset:         16
        .size:           8
        .value_kind:     global_buffer
      - .actual_access:  read_only
        .address_space:  global
        .offset:         24
        .size:           8
        .value_kind:     global_buffer
      - .actual_access:  read_only
        .address_space:  global
        .offset:         32
        .size:           8
        .value_kind:     global_buffer
      - .actual_access:  read_only
        .address_space:  global
        .offset:         40
        .size:           8
        .value_kind:     global_buffer
      - .actual_access:  write_only
        .address_space:  global
        .offset:         48
        .size:           8
        .value_kind:     global_buffer
      - .actual_access:  write_only
        .address_space:  global
        .offset:         56
        .size:           8
        .value_kind:     global_buffer
      - .offset:         64
        .size:           4
        .value_kind:     hidden_block_count_x
      - .offset:         68
        .size:           4
        .value_kind:     hidden_block_count_y
      - .offset:         72
        .size:           4
        .value_kind:     hidden_block_count_z
      - .offset:         76
        .size:           2
        .value_kind:     hidden_group_size_x
      - .offset:         78
        .size:           2
        .value_kind:     hidden_group_size_y
      - .offset:         80
        .size:           2
        .value_kind:     hidden_group_size_z
      - .offset:         82
        .size:           2
        .value_kind:     hidden_remainder_x
      - .offset:         84
        .size:           2
        .value_kind:     hidden_remainder_y
      - .offset:         86
        .size:           2
        .value_kind:     hidden_remainder_z
      - .offset:         104
        .size:           8
        .value_kind:     hidden_global_offset_x
      - .offset:         112
        .size:           8
        .value_kind:     hidden_global_offset_y
      - .offset:         120
        .size:           8
        .value_kind:     hidden_global_offset_z
      - .offset:         128
        .size:           2
        .value_kind:     hidden_grid_dims
    .group_segment_fixed_size: 0
    .kernarg_segment_align: 8
    .kernarg_segment_size: 320
    .language:       OpenCL C
    .language_version:
      - 2
      - 0
    .max_flat_workgroup_size: 32
    .name:           _ZN2at6native12_GLOBAL__N_135GammaBetaBackwardCUDAKernelTemplateIN3c108BFloat16EfLj32ELj1ELj8ELb1ELb1ELb0EEEvllPKT_S7_PKT0_SA_PS5_SB_
    .private_segment_fixed_size: 0
    .sgpr_count:     44
    .sgpr_spill_count: 0
    .symbol:         _ZN2at6native12_GLOBAL__N_135GammaBetaBackwardCUDAKernelTemplateIN3c108BFloat16EfLj32ELj1ELj8ELb1ELb1ELb0EEEvllPKT_S7_PKT0_SA_PS5_SB_.kd
    .uniform_work_group_size: 1
    .uses_dynamic_stack: false
    .vgpr_count:     33
    .vgpr_spill_count: 0
    .wavefront_size: 64
  - .args:
      - .offset:         0
        .size:           8
        .value_kind:     by_value
      - .offset:         8
        .size:           8
        .value_kind:     by_value
      - .actual_access:  read_only
        .address_space:  global
        .offset:         16
        .size:           8
        .value_kind:     global_buffer
      - .actual_access:  read_only
        .address_space:  global
        .offset:         24
        .size:           8
        .value_kind:     global_buffer
      - .actual_access:  read_only
        .address_space:  global
        .offset:         32
        .size:           8
        .value_kind:     global_buffer
      - .actual_access:  read_only
        .address_space:  global
        .offset:         40
        .size:           8
        .value_kind:     global_buffer
      - .actual_access:  write_only
        .address_space:  global
        .offset:         48
        .size:           8
        .value_kind:     global_buffer
      - .actual_access:  write_only
        .address_space:  global
        .offset:         56
        .size:           8
        .value_kind:     global_buffer
      - .offset:         64
        .size:           4
        .value_kind:     hidden_block_count_x
      - .offset:         68
        .size:           4
        .value_kind:     hidden_block_count_y
      - .offset:         72
        .size:           4
        .value_kind:     hidden_block_count_z
      - .offset:         76
        .size:           2
        .value_kind:     hidden_group_size_x
      - .offset:         78
        .size:           2
        .value_kind:     hidden_group_size_y
      - .offset:         80
        .size:           2
        .value_kind:     hidden_group_size_z
      - .offset:         82
        .size:           2
        .value_kind:     hidden_remainder_x
      - .offset:         84
        .size:           2
        .value_kind:     hidden_remainder_y
      - .offset:         86
        .size:           2
        .value_kind:     hidden_remainder_z
      - .offset:         104
        .size:           8
        .value_kind:     hidden_global_offset_x
      - .offset:         112
        .size:           8
        .value_kind:     hidden_global_offset_y
      - .offset:         120
        .size:           8
        .value_kind:     hidden_global_offset_z
      - .offset:         128
        .size:           2
        .value_kind:     hidden_grid_dims
    .group_segment_fixed_size: 0
    .kernarg_segment_align: 8
    .kernarg_segment_size: 320
    .language:       OpenCL C
    .language_version:
      - 2
      - 0
    .max_flat_workgroup_size: 32
    .name:           _ZN2at6native12_GLOBAL__N_135GammaBetaBackwardCUDAKernelTemplateIN3c108BFloat16EfLj32ELj1ELj8ELb1ELb0ELb0EEEvllPKT_S7_PKT0_SA_PS5_SB_
    .private_segment_fixed_size: 0
    .sgpr_count:     42
    .sgpr_spill_count: 0
    .symbol:         _ZN2at6native12_GLOBAL__N_135GammaBetaBackwardCUDAKernelTemplateIN3c108BFloat16EfLj32ELj1ELj8ELb1ELb0ELb0EEEvllPKT_S7_PKT0_SA_PS5_SB_.kd
    .uniform_work_group_size: 1
    .uses_dynamic_stack: false
    .vgpr_count:     95
    .vgpr_spill_count: 0
    .wavefront_size: 64
  - .args:
      - .offset:         0
        .size:           8
        .value_kind:     by_value
      - .offset:         8
        .size:           8
        .value_kind:     by_value
      - .actual_access:  read_only
        .address_space:  global
        .offset:         16
        .size:           8
        .value_kind:     global_buffer
      - .actual_access:  read_only
        .address_space:  global
        .offset:         24
        .size:           8
        .value_kind:     global_buffer
      - .actual_access:  read_only
        .address_space:  global
        .offset:         32
        .size:           8
        .value_kind:     global_buffer
      - .actual_access:  read_only
        .address_space:  global
        .offset:         40
        .size:           8
        .value_kind:     global_buffer
      - .actual_access:  write_only
        .address_space:  global
        .offset:         48
        .size:           8
        .value_kind:     global_buffer
      - .actual_access:  write_only
        .address_space:  global
        .offset:         56
        .size:           8
        .value_kind:     global_buffer
      - .offset:         64
        .size:           4
        .value_kind:     hidden_block_count_x
      - .offset:         68
        .size:           4
        .value_kind:     hidden_block_count_y
      - .offset:         72
        .size:           4
        .value_kind:     hidden_block_count_z
      - .offset:         76
        .size:           2
        .value_kind:     hidden_group_size_x
      - .offset:         78
        .size:           2
        .value_kind:     hidden_group_size_y
      - .offset:         80
        .size:           2
        .value_kind:     hidden_group_size_z
      - .offset:         82
        .size:           2
        .value_kind:     hidden_remainder_x
      - .offset:         84
        .size:           2
        .value_kind:     hidden_remainder_y
      - .offset:         86
        .size:           2
        .value_kind:     hidden_remainder_z
      - .offset:         104
        .size:           8
        .value_kind:     hidden_global_offset_x
      - .offset:         112
        .size:           8
        .value_kind:     hidden_global_offset_y
      - .offset:         120
        .size:           8
        .value_kind:     hidden_global_offset_z
      - .offset:         128
        .size:           2
        .value_kind:     hidden_grid_dims
      - .offset:         184
        .size:           4
        .value_kind:     hidden_dynamic_lds_size
    .group_segment_fixed_size: 0
    .kernarg_segment_align: 8
    .kernarg_segment_size: 320
    .language:       OpenCL C
    .language_version:
      - 2
      - 0
    .max_flat_workgroup_size: 256
    .name:           _ZN2at6native12_GLOBAL__N_135GammaBetaBackwardCUDAKernelTemplateIN3c108BFloat16EfLj32ELj8ELj64ELb0ELb1ELb0EEEvllPKT_S7_PKT0_SA_PS5_SB_
    .private_segment_fixed_size: 0
    .sgpr_count:     36
    .sgpr_spill_count: 0
    .symbol:         _ZN2at6native12_GLOBAL__N_135GammaBetaBackwardCUDAKernelTemplateIN3c108BFloat16EfLj32ELj8ELj64ELb0ELb1ELb0EEEvllPKT_S7_PKT0_SA_PS5_SB_.kd
    .uniform_work_group_size: 1
    .uses_dynamic_stack: false
    .vgpr_count:     34
    .vgpr_spill_count: 0
    .wavefront_size: 64
  - .args:
      - .offset:         0
        .size:           8
        .value_kind:     by_value
      - .offset:         8
        .size:           8
        .value_kind:     by_value
      - .actual_access:  read_only
        .address_space:  global
        .offset:         16
        .size:           8
        .value_kind:     global_buffer
      - .actual_access:  read_only
        .address_space:  global
        .offset:         24
        .size:           8
        .value_kind:     global_buffer
      - .actual_access:  read_only
        .address_space:  global
        .offset:         32
        .size:           8
        .value_kind:     global_buffer
      - .actual_access:  read_only
        .address_space:  global
        .offset:         40
        .size:           8
        .value_kind:     global_buffer
      - .actual_access:  write_only
        .address_space:  global
        .offset:         48
        .size:           8
        .value_kind:     global_buffer
      - .actual_access:  write_only
        .address_space:  global
        .offset:         56
        .size:           8
        .value_kind:     global_buffer
      - .offset:         64
        .size:           4
        .value_kind:     hidden_block_count_x
      - .offset:         68
        .size:           4
        .value_kind:     hidden_block_count_y
      - .offset:         72
        .size:           4
        .value_kind:     hidden_block_count_z
      - .offset:         76
        .size:           2
        .value_kind:     hidden_group_size_x
      - .offset:         78
        .size:           2
        .value_kind:     hidden_group_size_y
      - .offset:         80
        .size:           2
        .value_kind:     hidden_group_size_z
      - .offset:         82
        .size:           2
        .value_kind:     hidden_remainder_x
      - .offset:         84
        .size:           2
        .value_kind:     hidden_remainder_y
      - .offset:         86
        .size:           2
        .value_kind:     hidden_remainder_z
      - .offset:         104
        .size:           8
        .value_kind:     hidden_global_offset_x
      - .offset:         112
        .size:           8
        .value_kind:     hidden_global_offset_y
      - .offset:         120
        .size:           8
        .value_kind:     hidden_global_offset_z
      - .offset:         128
        .size:           2
        .value_kind:     hidden_grid_dims
      - .offset:         184
        .size:           4
        .value_kind:     hidden_dynamic_lds_size
    .group_segment_fixed_size: 0
    .kernarg_segment_align: 8
    .kernarg_segment_size: 320
    .language:       OpenCL C
    .language_version:
      - 2
      - 0
    .max_flat_workgroup_size: 256
    .name:           _ZN2at6native12_GLOBAL__N_135GammaBetaBackwardCUDAKernelTemplateIN3c108BFloat16EfLj32ELj8ELj64ELb0ELb0ELb0EEEvllPKT_S7_PKT0_SA_PS5_SB_
    .private_segment_fixed_size: 0
    .sgpr_count:     40
    .sgpr_spill_count: 0
    .symbol:         _ZN2at6native12_GLOBAL__N_135GammaBetaBackwardCUDAKernelTemplateIN3c108BFloat16EfLj32ELj8ELj64ELb0ELb0ELb0EEEvllPKT_S7_PKT0_SA_PS5_SB_.kd
    .uniform_work_group_size: 1
    .uses_dynamic_stack: false
    .vgpr_count:     94
    .vgpr_spill_count: 0
    .wavefront_size: 64
  - .args:
      - .offset:         0
        .size:           8
        .value_kind:     by_value
      - .offset:         8
        .size:           8
        .value_kind:     by_value
      - .actual_access:  read_only
        .address_space:  global
        .offset:         16
        .size:           8
        .value_kind:     global_buffer
      - .actual_access:  read_only
        .address_space:  global
        .offset:         24
        .size:           8
        .value_kind:     global_buffer
      - .actual_access:  read_only
        .address_space:  global
        .offset:         32
        .size:           8
        .value_kind:     global_buffer
      - .actual_access:  read_only
        .address_space:  global
        .offset:         40
        .size:           8
        .value_kind:     global_buffer
      - .actual_access:  write_only
        .address_space:  global
        .offset:         48
        .size:           8
        .value_kind:     global_buffer
      - .actual_access:  write_only
        .address_space:  global
        .offset:         56
        .size:           8
        .value_kind:     global_buffer
      - .offset:         64
        .size:           4
        .value_kind:     hidden_block_count_x
      - .offset:         68
        .size:           4
        .value_kind:     hidden_block_count_y
      - .offset:         72
        .size:           4
        .value_kind:     hidden_block_count_z
      - .offset:         76
        .size:           2
        .value_kind:     hidden_group_size_x
      - .offset:         78
        .size:           2
        .value_kind:     hidden_group_size_y
      - .offset:         80
        .size:           2
        .value_kind:     hidden_group_size_z
      - .offset:         82
        .size:           2
        .value_kind:     hidden_remainder_x
      - .offset:         84
        .size:           2
        .value_kind:     hidden_remainder_y
      - .offset:         86
        .size:           2
        .value_kind:     hidden_remainder_z
      - .offset:         104
        .size:           8
        .value_kind:     hidden_global_offset_x
      - .offset:         112
        .size:           8
        .value_kind:     hidden_global_offset_y
      - .offset:         120
        .size:           8
        .value_kind:     hidden_global_offset_z
      - .offset:         128
        .size:           2
        .value_kind:     hidden_grid_dims
      - .offset:         184
        .size:           4
        .value_kind:     hidden_dynamic_lds_size
    .group_segment_fixed_size: 0
    .kernarg_segment_align: 8
    .kernarg_segment_size: 320
    .language:       OpenCL C
    .language_version:
      - 2
      - 0
    .max_flat_workgroup_size: 512
    .name:           _ZN2at6native12_GLOBAL__N_135GammaBetaBackwardCUDAKernelTemplateIN3c108BFloat16EfLj32ELj16ELj128ELb0ELb1ELb0EEEvllPKT_S7_PKT0_SA_PS5_SB_
    .private_segment_fixed_size: 0
    .sgpr_count:     36
    .sgpr_spill_count: 0
    .symbol:         _ZN2at6native12_GLOBAL__N_135GammaBetaBackwardCUDAKernelTemplateIN3c108BFloat16EfLj32ELj16ELj128ELb0ELb1ELb0EEEvllPKT_S7_PKT0_SA_PS5_SB_.kd
    .uniform_work_group_size: 1
    .uses_dynamic_stack: false
    .vgpr_count:     34
    .vgpr_spill_count: 0
    .wavefront_size: 64
  - .args:
      - .offset:         0
        .size:           8
        .value_kind:     by_value
      - .offset:         8
        .size:           8
        .value_kind:     by_value
      - .actual_access:  read_only
        .address_space:  global
        .offset:         16
        .size:           8
        .value_kind:     global_buffer
      - .actual_access:  read_only
        .address_space:  global
        .offset:         24
        .size:           8
        .value_kind:     global_buffer
      - .actual_access:  read_only
        .address_space:  global
        .offset:         32
        .size:           8
        .value_kind:     global_buffer
      - .actual_access:  read_only
        .address_space:  global
        .offset:         40
        .size:           8
        .value_kind:     global_buffer
      - .actual_access:  write_only
        .address_space:  global
        .offset:         48
        .size:           8
        .value_kind:     global_buffer
      - .actual_access:  write_only
        .address_space:  global
        .offset:         56
        .size:           8
        .value_kind:     global_buffer
      - .offset:         64
        .size:           4
        .value_kind:     hidden_block_count_x
      - .offset:         68
        .size:           4
        .value_kind:     hidden_block_count_y
      - .offset:         72
        .size:           4
        .value_kind:     hidden_block_count_z
      - .offset:         76
        .size:           2
        .value_kind:     hidden_group_size_x
      - .offset:         78
        .size:           2
        .value_kind:     hidden_group_size_y
      - .offset:         80
        .size:           2
        .value_kind:     hidden_group_size_z
      - .offset:         82
        .size:           2
        .value_kind:     hidden_remainder_x
      - .offset:         84
        .size:           2
        .value_kind:     hidden_remainder_y
      - .offset:         86
        .size:           2
        .value_kind:     hidden_remainder_z
      - .offset:         104
        .size:           8
        .value_kind:     hidden_global_offset_x
      - .offset:         112
        .size:           8
        .value_kind:     hidden_global_offset_y
      - .offset:         120
        .size:           8
        .value_kind:     hidden_global_offset_z
      - .offset:         128
        .size:           2
        .value_kind:     hidden_grid_dims
      - .offset:         184
        .size:           4
        .value_kind:     hidden_dynamic_lds_size
    .group_segment_fixed_size: 0
    .kernarg_segment_align: 8
    .kernarg_segment_size: 320
    .language:       OpenCL C
    .language_version:
      - 2
      - 0
    .max_flat_workgroup_size: 512
    .name:           _ZN2at6native12_GLOBAL__N_135GammaBetaBackwardCUDAKernelTemplateIN3c108BFloat16EfLj32ELj16ELj128ELb0ELb0ELb0EEEvllPKT_S7_PKT0_SA_PS5_SB_
    .private_segment_fixed_size: 0
    .sgpr_count:     40
    .sgpr_spill_count: 0
    .symbol:         _ZN2at6native12_GLOBAL__N_135GammaBetaBackwardCUDAKernelTemplateIN3c108BFloat16EfLj32ELj16ELj128ELb0ELb0ELb0EEEvllPKT_S7_PKT0_SA_PS5_SB_.kd
    .uniform_work_group_size: 1
    .uses_dynamic_stack: false
    .vgpr_count:     94
    .vgpr_spill_count: 0
    .wavefront_size: 64
  - .args:
      - .offset:         0
        .size:           8
        .value_kind:     by_value
      - .offset:         8
        .size:           8
        .value_kind:     by_value
      - .actual_access:  read_only
        .address_space:  global
        .offset:         16
        .size:           8
        .value_kind:     global_buffer
      - .actual_access:  read_only
        .address_space:  global
        .offset:         24
        .size:           8
        .value_kind:     global_buffer
      - .actual_access:  read_only
        .address_space:  global
        .offset:         32
        .size:           8
        .value_kind:     global_buffer
      - .actual_access:  read_only
        .address_space:  global
        .offset:         40
        .size:           8
        .value_kind:     global_buffer
      - .actual_access:  write_only
        .address_space:  global
        .offset:         48
        .size:           8
        .value_kind:     global_buffer
      - .actual_access:  write_only
        .address_space:  global
        .offset:         56
        .size:           8
        .value_kind:     global_buffer
      - .offset:         64
        .size:           4
        .value_kind:     hidden_block_count_x
      - .offset:         68
        .size:           4
        .value_kind:     hidden_block_count_y
      - .offset:         72
        .size:           4
        .value_kind:     hidden_block_count_z
      - .offset:         76
        .size:           2
        .value_kind:     hidden_group_size_x
      - .offset:         78
        .size:           2
        .value_kind:     hidden_group_size_y
      - .offset:         80
        .size:           2
        .value_kind:     hidden_group_size_z
      - .offset:         82
        .size:           2
        .value_kind:     hidden_remainder_x
      - .offset:         84
        .size:           2
        .value_kind:     hidden_remainder_y
      - .offset:         86
        .size:           2
        .value_kind:     hidden_remainder_z
      - .offset:         104
        .size:           8
        .value_kind:     hidden_global_offset_x
      - .offset:         112
        .size:           8
        .value_kind:     hidden_global_offset_y
      - .offset:         120
        .size:           8
        .value_kind:     hidden_global_offset_z
      - .offset:         128
        .size:           2
        .value_kind:     hidden_grid_dims
      - .offset:         184
        .size:           4
        .value_kind:     hidden_dynamic_lds_size
    .group_segment_fixed_size: 0
    .kernarg_segment_align: 8
    .kernarg_segment_size: 320
    .language:       OpenCL C
    .language_version:
      - 2
      - 0
    .max_flat_workgroup_size: 1024
    .name:           _ZN2at6native12_GLOBAL__N_135GammaBetaBackwardCUDAKernelTemplateIN3c108BFloat16EfLj32ELj32ELj256ELb0ELb1ELb0EEEvllPKT_S7_PKT0_SA_PS5_SB_
    .private_segment_fixed_size: 0
    .sgpr_count:     36
    .sgpr_spill_count: 0
    .symbol:         _ZN2at6native12_GLOBAL__N_135GammaBetaBackwardCUDAKernelTemplateIN3c108BFloat16EfLj32ELj32ELj256ELb0ELb1ELb0EEEvllPKT_S7_PKT0_SA_PS5_SB_.kd
    .uniform_work_group_size: 1
    .uses_dynamic_stack: false
    .vgpr_count:     34
    .vgpr_spill_count: 0
    .wavefront_size: 64
  - .args:
      - .offset:         0
        .size:           8
        .value_kind:     by_value
      - .offset:         8
        .size:           8
        .value_kind:     by_value
      - .actual_access:  read_only
        .address_space:  global
        .offset:         16
        .size:           8
        .value_kind:     global_buffer
      - .actual_access:  read_only
        .address_space:  global
        .offset:         24
        .size:           8
        .value_kind:     global_buffer
      - .actual_access:  read_only
        .address_space:  global
        .offset:         32
        .size:           8
        .value_kind:     global_buffer
      - .actual_access:  read_only
        .address_space:  global
        .offset:         40
        .size:           8
        .value_kind:     global_buffer
      - .actual_access:  write_only
        .address_space:  global
        .offset:         48
        .size:           8
        .value_kind:     global_buffer
      - .actual_access:  write_only
        .address_space:  global
        .offset:         56
        .size:           8
        .value_kind:     global_buffer
      - .offset:         64
        .size:           4
        .value_kind:     hidden_block_count_x
      - .offset:         68
        .size:           4
        .value_kind:     hidden_block_count_y
      - .offset:         72
        .size:           4
        .value_kind:     hidden_block_count_z
      - .offset:         76
        .size:           2
        .value_kind:     hidden_group_size_x
      - .offset:         78
        .size:           2
        .value_kind:     hidden_group_size_y
      - .offset:         80
        .size:           2
        .value_kind:     hidden_group_size_z
      - .offset:         82
        .size:           2
        .value_kind:     hidden_remainder_x
      - .offset:         84
        .size:           2
        .value_kind:     hidden_remainder_y
      - .offset:         86
        .size:           2
        .value_kind:     hidden_remainder_z
      - .offset:         104
        .size:           8
        .value_kind:     hidden_global_offset_x
      - .offset:         112
        .size:           8
        .value_kind:     hidden_global_offset_y
      - .offset:         120
        .size:           8
        .value_kind:     hidden_global_offset_z
      - .offset:         128
        .size:           2
        .value_kind:     hidden_grid_dims
      - .offset:         184
        .size:           4
        .value_kind:     hidden_dynamic_lds_size
    .group_segment_fixed_size: 0
    .kernarg_segment_align: 8
    .kernarg_segment_size: 320
    .language:       OpenCL C
    .language_version:
      - 2
      - 0
    .max_flat_workgroup_size: 1024
    .name:           _ZN2at6native12_GLOBAL__N_135GammaBetaBackwardCUDAKernelTemplateIN3c108BFloat16EfLj32ELj32ELj256ELb0ELb0ELb0EEEvllPKT_S7_PKT0_SA_PS5_SB_
    .private_segment_fixed_size: 116
    .sgpr_count:     44
    .sgpr_spill_count: 0
    .symbol:         _ZN2at6native12_GLOBAL__N_135GammaBetaBackwardCUDAKernelTemplateIN3c108BFloat16EfLj32ELj32ELj256ELb0ELb0ELb0EEEvllPKT_S7_PKT0_SA_PS5_SB_.kd
    .uniform_work_group_size: 1
    .uses_dynamic_stack: false
    .vgpr_count:     64
    .vgpr_spill_count: 52
    .wavefront_size: 64
  - .args:
      - .actual_access:  read_only
        .address_space:  global
        .offset:         0
        .size:           8
        .value_kind:     global_buffer
      - .actual_access:  read_only
        .address_space:  global
        .offset:         8
        .size:           8
        .value_kind:     global_buffer
      - .offset:         16
        .size:           8
        .value_kind:     by_value
      - .offset:         24
        .size:           8
        .value_kind:     by_value
      - .actual_access:  read_only
        .address_space:  global
        .offset:         32
        .size:           8
        .value_kind:     global_buffer
      - .actual_access:  read_only
        .address_space:  global
        .offset:         40
        .size:           8
        .value_kind:     global_buffer
      - .address_space:  global
        .offset:         48
        .size:           8
        .value_kind:     global_buffer
      - .address_space:  global
        .offset:         56
        .size:           8
        .value_kind:     global_buffer
      - .offset:         64
        .size:           4
        .value_kind:     hidden_block_count_x
      - .offset:         68
        .size:           4
        .value_kind:     hidden_block_count_y
      - .offset:         72
        .size:           4
        .value_kind:     hidden_block_count_z
      - .offset:         76
        .size:           2
        .value_kind:     hidden_group_size_x
      - .offset:         78
        .size:           2
        .value_kind:     hidden_group_size_y
      - .offset:         80
        .size:           2
        .value_kind:     hidden_group_size_z
      - .offset:         82
        .size:           2
        .value_kind:     hidden_remainder_x
      - .offset:         84
        .size:           2
        .value_kind:     hidden_remainder_y
      - .offset:         86
        .size:           2
        .value_kind:     hidden_remainder_z
      - .offset:         104
        .size:           8
        .value_kind:     hidden_global_offset_x
      - .offset:         112
        .size:           8
        .value_kind:     hidden_global_offset_y
      - .offset:         120
        .size:           8
        .value_kind:     hidden_global_offset_z
      - .offset:         128
        .size:           2
        .value_kind:     hidden_grid_dims
      - .offset:         184
        .size:           4
        .value_kind:     hidden_dynamic_lds_size
    .group_segment_fixed_size: 0
    .kernarg_segment_align: 8
    .kernarg_segment_size: 320
    .language:       OpenCL C
    .language_version:
      - 2
      - 0
    .max_flat_workgroup_size: 1024
    .name:           _ZN2at6native12_GLOBAL__N_118cuComputeGradInputIddLb1EEEvPKT_S5_llPKT0_S8_S5_PS3_
    .private_segment_fixed_size: 0
    .sgpr_count:     53
    .sgpr_spill_count: 0
    .symbol:         _ZN2at6native12_GLOBAL__N_118cuComputeGradInputIddLb1EEEvPKT_S5_llPKT0_S8_S5_PS3_.kd
    .uniform_work_group_size: 1
    .uses_dynamic_stack: false
    .vgpr_count:     27
    .vgpr_spill_count: 0
    .wavefront_size: 64
  - .args:
      - .actual_access:  read_only
        .address_space:  global
        .offset:         0
        .size:           8
        .value_kind:     global_buffer
      - .actual_access:  read_only
        .address_space:  global
        .offset:         8
        .size:           8
        .value_kind:     global_buffer
      - .actual_access:  read_only
        .address_space:  global
        .offset:         16
        .size:           8
        .value_kind:     global_buffer
      - .actual_access:  read_only
        .address_space:  global
        .offset:         24
        .size:           8
        .value_kind:     global_buffer
      - .actual_access:  read_only
        .address_space:  global
        .offset:         32
        .size:           8
        .value_kind:     global_buffer
      - .address_space:  global
        .offset:         40
        .size:           8
        .value_kind:     global_buffer
      - .offset:         48
        .size:           4
        .value_kind:     by_value
      - .offset:         56
        .size:           4
        .value_kind:     hidden_block_count_x
      - .offset:         60
        .size:           4
        .value_kind:     hidden_block_count_y
      - .offset:         64
        .size:           4
        .value_kind:     hidden_block_count_z
      - .offset:         68
        .size:           2
        .value_kind:     hidden_group_size_x
      - .offset:         70
        .size:           2
        .value_kind:     hidden_group_size_y
      - .offset:         72
        .size:           2
        .value_kind:     hidden_group_size_z
      - .offset:         74
        .size:           2
        .value_kind:     hidden_remainder_x
      - .offset:         76
        .size:           2
        .value_kind:     hidden_remainder_y
      - .offset:         78
        .size:           2
        .value_kind:     hidden_remainder_z
      - .offset:         96
        .size:           8
        .value_kind:     hidden_global_offset_x
      - .offset:         104
        .size:           8
        .value_kind:     hidden_global_offset_y
      - .offset:         112
        .size:           8
        .value_kind:     hidden_global_offset_z
      - .offset:         120
        .size:           2
        .value_kind:     hidden_grid_dims
      - .offset:         176
        .size:           4
        .value_kind:     hidden_dynamic_lds_size
    .group_segment_fixed_size: 0
    .kernarg_segment_align: 8
    .kernarg_segment_size: 312
    .language:       OpenCL C
    .language_version:
      - 2
      - 0
    .max_flat_workgroup_size: 1024
    .name:           _ZN2at6native12_GLOBAL__N_128layer_norm_grad_input_kernelIddLb1EEEvPKT_S5_PKT0_S8_S5_PS3_i
    .private_segment_fixed_size: 0
    .sgpr_count:     30
    .sgpr_spill_count: 0
    .symbol:         _ZN2at6native12_GLOBAL__N_128layer_norm_grad_input_kernelIddLb1EEEvPKT_S5_PKT0_S8_S5_PS3_i.kd
    .uniform_work_group_size: 1
    .uses_dynamic_stack: false
    .vgpr_count:     33
    .vgpr_spill_count: 0
    .wavefront_size: 64
  - .args:
      - .offset:         0
        .size:           8
        .value_kind:     by_value
      - .offset:         8
        .size:           8
        .value_kind:     by_value
      - .address_space:  global
        .offset:         16
        .size:           8
        .value_kind:     global_buffer
      - .address_space:  global
        .offset:         24
        .size:           8
        .value_kind:     global_buffer
      - .address_space:  global
        .offset:         32
        .size:           8
        .value_kind:     global_buffer
      - .address_space:  global
        .offset:         40
        .size:           8
        .value_kind:     global_buffer
      - .address_space:  global
        .offset:         48
        .size:           8
        .value_kind:     global_buffer
      - .address_space:  global
        .offset:         56
        .size:           8
        .value_kind:     global_buffer
      - .offset:         64
        .size:           4
        .value_kind:     hidden_block_count_x
      - .offset:         68
        .size:           4
        .value_kind:     hidden_block_count_y
      - .offset:         72
        .size:           4
        .value_kind:     hidden_block_count_z
      - .offset:         76
        .size:           2
        .value_kind:     hidden_group_size_x
      - .offset:         78
        .size:           2
        .value_kind:     hidden_group_size_y
      - .offset:         80
        .size:           2
        .value_kind:     hidden_group_size_z
      - .offset:         82
        .size:           2
        .value_kind:     hidden_remainder_x
      - .offset:         84
        .size:           2
        .value_kind:     hidden_remainder_y
      - .offset:         86
        .size:           2
        .value_kind:     hidden_remainder_z
      - .offset:         104
        .size:           8
        .value_kind:     hidden_global_offset_x
      - .offset:         112
        .size:           8
        .value_kind:     hidden_global_offset_y
      - .offset:         120
        .size:           8
        .value_kind:     hidden_global_offset_z
      - .offset:         128
        .size:           2
        .value_kind:     hidden_grid_dims
    .group_segment_fixed_size: 0
    .kernarg_segment_align: 8
    .kernarg_segment_size: 320
    .language:       OpenCL C
    .language_version:
      - 2
      - 0
    .max_flat_workgroup_size: 1024
    .name:           _ZN2at6native12_GLOBAL__N_133GammaBetaBackwardSimpleCUDAKernelIddLb1EEEvllPKT_S5_PKT0_S8_PS3_S9_
    .private_segment_fixed_size: 0
    .sgpr_count:     24
    .sgpr_spill_count: 0
    .symbol:         _ZN2at6native12_GLOBAL__N_133GammaBetaBackwardSimpleCUDAKernelIddLb1EEEvllPKT_S5_PKT0_S8_PS3_S9_.kd
    .uniform_work_group_size: 1
    .uses_dynamic_stack: false
    .vgpr_count:     11
    .vgpr_spill_count: 0
    .wavefront_size: 64
  - .args:
      - .offset:         0
        .size:           8
        .value_kind:     by_value
      - .offset:         8
        .size:           8
        .value_kind:     by_value
      - .actual_access:  read_only
        .address_space:  global
        .offset:         16
        .size:           8
        .value_kind:     global_buffer
      - .actual_access:  read_only
        .address_space:  global
        .offset:         24
        .size:           8
        .value_kind:     global_buffer
      - .actual_access:  read_only
        .address_space:  global
        .offset:         32
        .size:           8
        .value_kind:     global_buffer
      - .actual_access:  read_only
        .address_space:  global
        .offset:         40
        .size:           8
        .value_kind:     global_buffer
      - .actual_access:  write_only
        .address_space:  global
        .offset:         48
        .size:           8
        .value_kind:     global_buffer
      - .actual_access:  read_only
        .address_space:  global
        .offset:         56
        .size:           8
        .value_kind:     global_buffer
      - .offset:         64
        .size:           4
        .value_kind:     hidden_block_count_x
      - .offset:         68
        .size:           4
        .value_kind:     hidden_block_count_y
      - .offset:         72
        .size:           4
        .value_kind:     hidden_block_count_z
      - .offset:         76
        .size:           2
        .value_kind:     hidden_group_size_x
      - .offset:         78
        .size:           2
        .value_kind:     hidden_group_size_y
      - .offset:         80
        .size:           2
        .value_kind:     hidden_group_size_z
      - .offset:         82
        .size:           2
        .value_kind:     hidden_remainder_x
      - .offset:         84
        .size:           2
        .value_kind:     hidden_remainder_y
      - .offset:         86
        .size:           2
        .value_kind:     hidden_remainder_z
      - .offset:         104
        .size:           8
        .value_kind:     hidden_global_offset_x
      - .offset:         112
        .size:           8
        .value_kind:     hidden_global_offset_y
      - .offset:         120
        .size:           8
        .value_kind:     hidden_global_offset_z
      - .offset:         128
        .size:           2
        .value_kind:     hidden_grid_dims
    .group_segment_fixed_size: 0
    .kernarg_segment_align: 8
    .kernarg_segment_size: 320
    .language:       OpenCL C
    .language_version:
      - 2
      - 0
    .max_flat_workgroup_size: 64
    .name:           _ZN2at6native12_GLOBAL__N_135GammaBetaBackwardCUDAKernelTemplateIddLj64ELj1ELj32ELb1ELb1ELb1EEEvllPKT_S5_PKT0_S8_PS3_S9_
    .private_segment_fixed_size: 0
    .sgpr_count:     34
    .sgpr_spill_count: 0
    .symbol:         _ZN2at6native12_GLOBAL__N_135GammaBetaBackwardCUDAKernelTemplateIddLj64ELj1ELj32ELb1ELb1ELb1EEEvllPKT_S5_PKT0_S8_PS3_S9_.kd
    .uniform_work_group_size: 1
    .uses_dynamic_stack: false
    .vgpr_count:     65
    .vgpr_spill_count: 0
    .wavefront_size: 64
  - .args:
      - .offset:         0
        .size:           8
        .value_kind:     by_value
      - .offset:         8
        .size:           8
        .value_kind:     by_value
      - .actual_access:  read_only
        .address_space:  global
        .offset:         16
        .size:           8
        .value_kind:     global_buffer
      - .actual_access:  read_only
        .address_space:  global
        .offset:         24
        .size:           8
        .value_kind:     global_buffer
      - .actual_access:  read_only
        .address_space:  global
        .offset:         32
        .size:           8
        .value_kind:     global_buffer
      - .actual_access:  read_only
        .address_space:  global
        .offset:         40
        .size:           8
        .value_kind:     global_buffer
      - .actual_access:  write_only
        .address_space:  global
        .offset:         48
        .size:           8
        .value_kind:     global_buffer
      - .actual_access:  read_only
        .address_space:  global
        .offset:         56
        .size:           8
        .value_kind:     global_buffer
      - .offset:         64
        .size:           4
        .value_kind:     hidden_block_count_x
      - .offset:         68
        .size:           4
        .value_kind:     hidden_block_count_y
      - .offset:         72
        .size:           4
        .value_kind:     hidden_block_count_z
      - .offset:         76
        .size:           2
        .value_kind:     hidden_group_size_x
      - .offset:         78
        .size:           2
        .value_kind:     hidden_group_size_y
      - .offset:         80
        .size:           2
        .value_kind:     hidden_group_size_z
      - .offset:         82
        .size:           2
        .value_kind:     hidden_remainder_x
      - .offset:         84
        .size:           2
        .value_kind:     hidden_remainder_y
      - .offset:         86
        .size:           2
        .value_kind:     hidden_remainder_z
      - .offset:         104
        .size:           8
        .value_kind:     hidden_global_offset_x
      - .offset:         112
        .size:           8
        .value_kind:     hidden_global_offset_y
      - .offset:         120
        .size:           8
        .value_kind:     hidden_global_offset_z
      - .offset:         128
        .size:           2
        .value_kind:     hidden_grid_dims
    .group_segment_fixed_size: 0
    .kernarg_segment_align: 8
    .kernarg_segment_size: 320
    .language:       OpenCL C
    .language_version:
      - 2
      - 0
    .max_flat_workgroup_size: 64
    .name:           _ZN2at6native12_GLOBAL__N_135GammaBetaBackwardCUDAKernelTemplateIddLj64ELj1ELj32ELb1ELb0ELb1EEEvllPKT_S5_PKT0_S8_PS3_S9_
    .private_segment_fixed_size: 600
    .sgpr_count:     44
    .sgpr_spill_count: 0
    .symbol:         _ZN2at6native12_GLOBAL__N_135GammaBetaBackwardCUDAKernelTemplateIddLj64ELj1ELj32ELb1ELb0ELb1EEEvllPKT_S5_PKT0_S8_PS3_S9_.kd
    .uniform_work_group_size: 1
    .uses_dynamic_stack: false
    .vgpr_count:     256
    .vgpr_spill_count: 325
    .wavefront_size: 64
  - .args:
      - .offset:         0
        .size:           8
        .value_kind:     by_value
      - .offset:         8
        .size:           8
        .value_kind:     by_value
      - .actual_access:  read_only
        .address_space:  global
        .offset:         16
        .size:           8
        .value_kind:     global_buffer
      - .actual_access:  read_only
        .address_space:  global
        .offset:         24
        .size:           8
        .value_kind:     global_buffer
      - .actual_access:  read_only
        .address_space:  global
        .offset:         32
        .size:           8
        .value_kind:     global_buffer
      - .actual_access:  read_only
        .address_space:  global
        .offset:         40
        .size:           8
        .value_kind:     global_buffer
      - .actual_access:  write_only
        .address_space:  global
        .offset:         48
        .size:           8
        .value_kind:     global_buffer
      - .actual_access:  read_only
        .address_space:  global
        .offset:         56
        .size:           8
        .value_kind:     global_buffer
      - .offset:         64
        .size:           4
        .value_kind:     hidden_block_count_x
      - .offset:         68
        .size:           4
        .value_kind:     hidden_block_count_y
      - .offset:         72
        .size:           4
        .value_kind:     hidden_block_count_z
      - .offset:         76
        .size:           2
        .value_kind:     hidden_group_size_x
      - .offset:         78
        .size:           2
        .value_kind:     hidden_group_size_y
      - .offset:         80
        .size:           2
        .value_kind:     hidden_group_size_z
      - .offset:         82
        .size:           2
        .value_kind:     hidden_remainder_x
      - .offset:         84
        .size:           2
        .value_kind:     hidden_remainder_y
      - .offset:         86
        .size:           2
        .value_kind:     hidden_remainder_z
      - .offset:         104
        .size:           8
        .value_kind:     hidden_global_offset_x
      - .offset:         112
        .size:           8
        .value_kind:     hidden_global_offset_y
      - .offset:         120
        .size:           8
        .value_kind:     hidden_global_offset_z
      - .offset:         128
        .size:           2
        .value_kind:     hidden_grid_dims
    .group_segment_fixed_size: 0
    .kernarg_segment_align: 8
    .kernarg_segment_size: 320
    .language:       OpenCL C
    .language_version:
      - 2
      - 0
    .max_flat_workgroup_size: 64
    .name:           _ZN2at6native12_GLOBAL__N_135GammaBetaBackwardCUDAKernelTemplateIddLj64ELj1ELj8ELb1ELb1ELb1EEEvllPKT_S5_PKT0_S8_PS3_S9_
    .private_segment_fixed_size: 0
    .sgpr_count:     34
    .sgpr_spill_count: 0
    .symbol:         _ZN2at6native12_GLOBAL__N_135GammaBetaBackwardCUDAKernelTemplateIddLj64ELj1ELj8ELb1ELb1ELb1EEEvllPKT_S5_PKT0_S8_PS3_S9_.kd
    .uniform_work_group_size: 1
    .uses_dynamic_stack: false
    .vgpr_count:     32
    .vgpr_spill_count: 0
    .wavefront_size: 64
  - .args:
      - .offset:         0
        .size:           8
        .value_kind:     by_value
      - .offset:         8
        .size:           8
        .value_kind:     by_value
      - .actual_access:  read_only
        .address_space:  global
        .offset:         16
        .size:           8
        .value_kind:     global_buffer
      - .actual_access:  read_only
        .address_space:  global
        .offset:         24
        .size:           8
        .value_kind:     global_buffer
      - .actual_access:  read_only
        .address_space:  global
        .offset:         32
        .size:           8
        .value_kind:     global_buffer
      - .actual_access:  read_only
        .address_space:  global
        .offset:         40
        .size:           8
        .value_kind:     global_buffer
      - .actual_access:  write_only
        .address_space:  global
        .offset:         48
        .size:           8
        .value_kind:     global_buffer
      - .actual_access:  read_only
        .address_space:  global
        .offset:         56
        .size:           8
        .value_kind:     global_buffer
      - .offset:         64
        .size:           4
        .value_kind:     hidden_block_count_x
      - .offset:         68
        .size:           4
        .value_kind:     hidden_block_count_y
      - .offset:         72
        .size:           4
        .value_kind:     hidden_block_count_z
      - .offset:         76
        .size:           2
        .value_kind:     hidden_group_size_x
      - .offset:         78
        .size:           2
        .value_kind:     hidden_group_size_y
      - .offset:         80
        .size:           2
        .value_kind:     hidden_group_size_z
      - .offset:         82
        .size:           2
        .value_kind:     hidden_remainder_x
      - .offset:         84
        .size:           2
        .value_kind:     hidden_remainder_y
      - .offset:         86
        .size:           2
        .value_kind:     hidden_remainder_z
      - .offset:         104
        .size:           8
        .value_kind:     hidden_global_offset_x
      - .offset:         112
        .size:           8
        .value_kind:     hidden_global_offset_y
      - .offset:         120
        .size:           8
        .value_kind:     hidden_global_offset_z
      - .offset:         128
        .size:           2
        .value_kind:     hidden_grid_dims
    .group_segment_fixed_size: 0
    .kernarg_segment_align: 8
    .kernarg_segment_size: 320
    .language:       OpenCL C
    .language_version:
      - 2
      - 0
    .max_flat_workgroup_size: 64
    .name:           _ZN2at6native12_GLOBAL__N_135GammaBetaBackwardCUDAKernelTemplateIddLj64ELj1ELj8ELb1ELb0ELb1EEEvllPKT_S5_PKT0_S8_PS3_S9_
    .private_segment_fixed_size: 0
    .sgpr_count:     40
    .sgpr_spill_count: 0
    .symbol:         _ZN2at6native12_GLOBAL__N_135GammaBetaBackwardCUDAKernelTemplateIddLj64ELj1ELj8ELb1ELb0ELb1EEEvllPKT_S5_PKT0_S8_PS3_S9_.kd
    .uniform_work_group_size: 1
    .uses_dynamic_stack: false
    .vgpr_count:     106
    .vgpr_spill_count: 0
    .wavefront_size: 64
  - .args:
      - .offset:         0
        .size:           8
        .value_kind:     by_value
      - .offset:         8
        .size:           8
        .value_kind:     by_value
      - .actual_access:  read_only
        .address_space:  global
        .offset:         16
        .size:           8
        .value_kind:     global_buffer
      - .actual_access:  read_only
        .address_space:  global
        .offset:         24
        .size:           8
        .value_kind:     global_buffer
      - .actual_access:  read_only
        .address_space:  global
        .offset:         32
        .size:           8
        .value_kind:     global_buffer
      - .actual_access:  read_only
        .address_space:  global
        .offset:         40
        .size:           8
        .value_kind:     global_buffer
      - .actual_access:  write_only
        .address_space:  global
        .offset:         48
        .size:           8
        .value_kind:     global_buffer
      - .actual_access:  read_only
        .address_space:  global
        .offset:         56
        .size:           8
        .value_kind:     global_buffer
      - .offset:         64
        .size:           4
        .value_kind:     hidden_block_count_x
      - .offset:         68
        .size:           4
        .value_kind:     hidden_block_count_y
      - .offset:         72
        .size:           4
        .value_kind:     hidden_block_count_z
      - .offset:         76
        .size:           2
        .value_kind:     hidden_group_size_x
      - .offset:         78
        .size:           2
        .value_kind:     hidden_group_size_y
      - .offset:         80
        .size:           2
        .value_kind:     hidden_group_size_z
      - .offset:         82
        .size:           2
        .value_kind:     hidden_remainder_x
      - .offset:         84
        .size:           2
        .value_kind:     hidden_remainder_y
      - .offset:         86
        .size:           2
        .value_kind:     hidden_remainder_z
      - .offset:         104
        .size:           8
        .value_kind:     hidden_global_offset_x
      - .offset:         112
        .size:           8
        .value_kind:     hidden_global_offset_y
      - .offset:         120
        .size:           8
        .value_kind:     hidden_global_offset_z
      - .offset:         128
        .size:           2
        .value_kind:     hidden_grid_dims
      - .offset:         184
        .size:           4
        .value_kind:     hidden_dynamic_lds_size
    .group_segment_fixed_size: 0
    .kernarg_segment_align: 8
    .kernarg_segment_size: 320
    .language:       OpenCL C
    .language_version:
      - 2
      - 0
    .max_flat_workgroup_size: 512
    .name:           _ZN2at6native12_GLOBAL__N_135GammaBetaBackwardCUDAKernelTemplateIddLj64ELj8ELj64ELb0ELb1ELb1EEEvllPKT_S5_PKT0_S8_PS3_S9_
    .private_segment_fixed_size: 0
    .sgpr_count:     30
    .sgpr_spill_count: 0
    .symbol:         _ZN2at6native12_GLOBAL__N_135GammaBetaBackwardCUDAKernelTemplateIddLj64ELj8ELj64ELb0ELb1ELb1EEEvllPKT_S5_PKT0_S8_PS3_S9_.kd
    .uniform_work_group_size: 1
    .uses_dynamic_stack: false
    .vgpr_count:     30
    .vgpr_spill_count: 0
    .wavefront_size: 64
  - .args:
      - .offset:         0
        .size:           8
        .value_kind:     by_value
      - .offset:         8
        .size:           8
        .value_kind:     by_value
      - .actual_access:  read_only
        .address_space:  global
        .offset:         16
        .size:           8
        .value_kind:     global_buffer
      - .actual_access:  read_only
        .address_space:  global
        .offset:         24
        .size:           8
        .value_kind:     global_buffer
      - .actual_access:  read_only
        .address_space:  global
        .offset:         32
        .size:           8
        .value_kind:     global_buffer
      - .actual_access:  read_only
        .address_space:  global
        .offset:         40
        .size:           8
        .value_kind:     global_buffer
      - .actual_access:  write_only
        .address_space:  global
        .offset:         48
        .size:           8
        .value_kind:     global_buffer
      - .actual_access:  read_only
        .address_space:  global
        .offset:         56
        .size:           8
        .value_kind:     global_buffer
      - .offset:         64
        .size:           4
        .value_kind:     hidden_block_count_x
      - .offset:         68
        .size:           4
        .value_kind:     hidden_block_count_y
      - .offset:         72
        .size:           4
        .value_kind:     hidden_block_count_z
      - .offset:         76
        .size:           2
        .value_kind:     hidden_group_size_x
      - .offset:         78
        .size:           2
        .value_kind:     hidden_group_size_y
      - .offset:         80
        .size:           2
        .value_kind:     hidden_group_size_z
      - .offset:         82
        .size:           2
        .value_kind:     hidden_remainder_x
      - .offset:         84
        .size:           2
        .value_kind:     hidden_remainder_y
      - .offset:         86
        .size:           2
        .value_kind:     hidden_remainder_z
      - .offset:         104
        .size:           8
        .value_kind:     hidden_global_offset_x
      - .offset:         112
        .size:           8
        .value_kind:     hidden_global_offset_y
      - .offset:         120
        .size:           8
        .value_kind:     hidden_global_offset_z
      - .offset:         128
        .size:           2
        .value_kind:     hidden_grid_dims
      - .offset:         184
        .size:           4
        .value_kind:     hidden_dynamic_lds_size
    .group_segment_fixed_size: 0
    .kernarg_segment_align: 8
    .kernarg_segment_size: 320
    .language:       OpenCL C
    .language_version:
      - 2
      - 0
    .max_flat_workgroup_size: 512
    .name:           _ZN2at6native12_GLOBAL__N_135GammaBetaBackwardCUDAKernelTemplateIddLj64ELj8ELj64ELb0ELb0ELb1EEEvllPKT_S5_PKT0_S8_PS3_S9_
    .private_segment_fixed_size: 0
    .sgpr_count:     38
    .sgpr_spill_count: 0
    .symbol:         _ZN2at6native12_GLOBAL__N_135GammaBetaBackwardCUDAKernelTemplateIddLj64ELj8ELj64ELb0ELb0ELb1EEEvllPKT_S5_PKT0_S8_PS3_S9_.kd
    .uniform_work_group_size: 1
    .uses_dynamic_stack: false
    .vgpr_count:     105
    .vgpr_spill_count: 0
    .wavefront_size: 64
  - .args:
      - .offset:         0
        .size:           8
        .value_kind:     by_value
      - .offset:         8
        .size:           8
        .value_kind:     by_value
      - .actual_access:  read_only
        .address_space:  global
        .offset:         16
        .size:           8
        .value_kind:     global_buffer
      - .actual_access:  read_only
        .address_space:  global
        .offset:         24
        .size:           8
        .value_kind:     global_buffer
      - .actual_access:  read_only
        .address_space:  global
        .offset:         32
        .size:           8
        .value_kind:     global_buffer
      - .actual_access:  read_only
        .address_space:  global
        .offset:         40
        .size:           8
        .value_kind:     global_buffer
      - .actual_access:  write_only
        .address_space:  global
        .offset:         48
        .size:           8
        .value_kind:     global_buffer
      - .actual_access:  read_only
        .address_space:  global
        .offset:         56
        .size:           8
        .value_kind:     global_buffer
      - .offset:         64
        .size:           4
        .value_kind:     hidden_block_count_x
      - .offset:         68
        .size:           4
        .value_kind:     hidden_block_count_y
      - .offset:         72
        .size:           4
        .value_kind:     hidden_block_count_z
      - .offset:         76
        .size:           2
        .value_kind:     hidden_group_size_x
      - .offset:         78
        .size:           2
        .value_kind:     hidden_group_size_y
      - .offset:         80
        .size:           2
        .value_kind:     hidden_group_size_z
      - .offset:         82
        .size:           2
        .value_kind:     hidden_remainder_x
      - .offset:         84
        .size:           2
        .value_kind:     hidden_remainder_y
      - .offset:         86
        .size:           2
        .value_kind:     hidden_remainder_z
      - .offset:         104
        .size:           8
        .value_kind:     hidden_global_offset_x
      - .offset:         112
        .size:           8
        .value_kind:     hidden_global_offset_y
      - .offset:         120
        .size:           8
        .value_kind:     hidden_global_offset_z
      - .offset:         128
        .size:           2
        .value_kind:     hidden_grid_dims
      - .offset:         184
        .size:           4
        .value_kind:     hidden_dynamic_lds_size
    .group_segment_fixed_size: 0
    .kernarg_segment_align: 8
    .kernarg_segment_size: 320
    .language:       OpenCL C
    .language_version:
      - 2
      - 0
    .max_flat_workgroup_size: 1024
    .name:           _ZN2at6native12_GLOBAL__N_135GammaBetaBackwardCUDAKernelTemplateIddLj64ELj16ELj128ELb0ELb1ELb1EEEvllPKT_S5_PKT0_S8_PS3_S9_
    .private_segment_fixed_size: 0
    .sgpr_count:     30
    .sgpr_spill_count: 0
    .symbol:         _ZN2at6native12_GLOBAL__N_135GammaBetaBackwardCUDAKernelTemplateIddLj64ELj16ELj128ELb0ELb1ELb1EEEvllPKT_S5_PKT0_S8_PS3_S9_.kd
    .uniform_work_group_size: 1
    .uses_dynamic_stack: false
    .vgpr_count:     31
    .vgpr_spill_count: 0
    .wavefront_size: 64
  - .args:
      - .offset:         0
        .size:           8
        .value_kind:     by_value
      - .offset:         8
        .size:           8
        .value_kind:     by_value
      - .actual_access:  read_only
        .address_space:  global
        .offset:         16
        .size:           8
        .value_kind:     global_buffer
      - .actual_access:  read_only
        .address_space:  global
        .offset:         24
        .size:           8
        .value_kind:     global_buffer
      - .actual_access:  read_only
        .address_space:  global
        .offset:         32
        .size:           8
        .value_kind:     global_buffer
      - .actual_access:  read_only
        .address_space:  global
        .offset:         40
        .size:           8
        .value_kind:     global_buffer
      - .actual_access:  write_only
        .address_space:  global
        .offset:         48
        .size:           8
        .value_kind:     global_buffer
      - .actual_access:  read_only
        .address_space:  global
        .offset:         56
        .size:           8
        .value_kind:     global_buffer
      - .offset:         64
        .size:           4
        .value_kind:     hidden_block_count_x
      - .offset:         68
        .size:           4
        .value_kind:     hidden_block_count_y
      - .offset:         72
        .size:           4
        .value_kind:     hidden_block_count_z
      - .offset:         76
        .size:           2
        .value_kind:     hidden_group_size_x
      - .offset:         78
        .size:           2
        .value_kind:     hidden_group_size_y
      - .offset:         80
        .size:           2
        .value_kind:     hidden_group_size_z
      - .offset:         82
        .size:           2
        .value_kind:     hidden_remainder_x
      - .offset:         84
        .size:           2
        .value_kind:     hidden_remainder_y
      - .offset:         86
        .size:           2
        .value_kind:     hidden_remainder_z
      - .offset:         104
        .size:           8
        .value_kind:     hidden_global_offset_x
      - .offset:         112
        .size:           8
        .value_kind:     hidden_global_offset_y
      - .offset:         120
        .size:           8
        .value_kind:     hidden_global_offset_z
      - .offset:         128
        .size:           2
        .value_kind:     hidden_grid_dims
      - .offset:         184
        .size:           4
        .value_kind:     hidden_dynamic_lds_size
    .group_segment_fixed_size: 0
    .kernarg_segment_align: 8
    .kernarg_segment_size: 320
    .language:       OpenCL C
    .language_version:
      - 2
      - 0
    .max_flat_workgroup_size: 1024
    .name:           _ZN2at6native12_GLOBAL__N_135GammaBetaBackwardCUDAKernelTemplateIddLj64ELj16ELj128ELb0ELb0ELb1EEEvllPKT_S5_PKT0_S8_PS3_S9_
    .private_segment_fixed_size: 184
    .sgpr_count:     44
    .sgpr_spill_count: 0
    .symbol:         _ZN2at6native12_GLOBAL__N_135GammaBetaBackwardCUDAKernelTemplateIddLj64ELj16ELj128ELb0ELb0ELb1EEEvllPKT_S5_PKT0_S8_PS3_S9_.kd
    .uniform_work_group_size: 1
    .uses_dynamic_stack: false
    .vgpr_count:     64
    .vgpr_spill_count: 103
    .wavefront_size: 64
  - .args:
      - .offset:         0
        .size:           8
        .value_kind:     by_value
      - .offset:         8
        .size:           8
        .value_kind:     by_value
      - .actual_access:  read_only
        .address_space:  global
        .offset:         16
        .size:           8
        .value_kind:     global_buffer
      - .actual_access:  read_only
        .address_space:  global
        .offset:         24
        .size:           8
        .value_kind:     global_buffer
      - .actual_access:  read_only
        .address_space:  global
        .offset:         32
        .size:           8
        .value_kind:     global_buffer
      - .actual_access:  read_only
        .address_space:  global
        .offset:         40
        .size:           8
        .value_kind:     global_buffer
      - .actual_access:  write_only
        .address_space:  global
        .offset:         48
        .size:           8
        .value_kind:     global_buffer
      - .actual_access:  read_only
        .address_space:  global
        .offset:         56
        .size:           8
        .value_kind:     global_buffer
      - .offset:         64
        .size:           4
        .value_kind:     hidden_block_count_x
      - .offset:         68
        .size:           4
        .value_kind:     hidden_block_count_y
      - .offset:         72
        .size:           4
        .value_kind:     hidden_block_count_z
      - .offset:         76
        .size:           2
        .value_kind:     hidden_group_size_x
      - .offset:         78
        .size:           2
        .value_kind:     hidden_group_size_y
      - .offset:         80
        .size:           2
        .value_kind:     hidden_group_size_z
      - .offset:         82
        .size:           2
        .value_kind:     hidden_remainder_x
      - .offset:         84
        .size:           2
        .value_kind:     hidden_remainder_y
      - .offset:         86
        .size:           2
        .value_kind:     hidden_remainder_z
      - .offset:         104
        .size:           8
        .value_kind:     hidden_global_offset_x
      - .offset:         112
        .size:           8
        .value_kind:     hidden_global_offset_y
      - .offset:         120
        .size:           8
        .value_kind:     hidden_global_offset_z
      - .offset:         128
        .size:           2
        .value_kind:     hidden_grid_dims
      - .offset:         184
        .size:           4
        .value_kind:     hidden_dynamic_lds_size
    .group_segment_fixed_size: 0
    .kernarg_segment_align: 8
    .kernarg_segment_size: 320
    .language:       OpenCL C
    .language_version:
      - 2
      - 0
    .max_flat_workgroup_size: 1024
    .name:           _ZN2at6native12_GLOBAL__N_135GammaBetaBackwardCUDAKernelTemplateIddLj64ELj16ELj256ELb0ELb1ELb1EEEvllPKT_S5_PKT0_S8_PS3_S9_
    .private_segment_fixed_size: 0
    .sgpr_count:     30
    .sgpr_spill_count: 0
    .symbol:         _ZN2at6native12_GLOBAL__N_135GammaBetaBackwardCUDAKernelTemplateIddLj64ELj16ELj256ELb0ELb1ELb1EEEvllPKT_S5_PKT0_S8_PS3_S9_.kd
    .uniform_work_group_size: 1
    .uses_dynamic_stack: false
    .vgpr_count:     38
    .vgpr_spill_count: 0
    .wavefront_size: 64
  - .args:
      - .offset:         0
        .size:           8
        .value_kind:     by_value
      - .offset:         8
        .size:           8
        .value_kind:     by_value
      - .actual_access:  read_only
        .address_space:  global
        .offset:         16
        .size:           8
        .value_kind:     global_buffer
      - .actual_access:  read_only
        .address_space:  global
        .offset:         24
        .size:           8
        .value_kind:     global_buffer
      - .actual_access:  read_only
        .address_space:  global
        .offset:         32
        .size:           8
        .value_kind:     global_buffer
      - .actual_access:  read_only
        .address_space:  global
        .offset:         40
        .size:           8
        .value_kind:     global_buffer
      - .actual_access:  write_only
        .address_space:  global
        .offset:         48
        .size:           8
        .value_kind:     global_buffer
      - .actual_access:  read_only
        .address_space:  global
        .offset:         56
        .size:           8
        .value_kind:     global_buffer
      - .offset:         64
        .size:           4
        .value_kind:     hidden_block_count_x
      - .offset:         68
        .size:           4
        .value_kind:     hidden_block_count_y
      - .offset:         72
        .size:           4
        .value_kind:     hidden_block_count_z
      - .offset:         76
        .size:           2
        .value_kind:     hidden_group_size_x
      - .offset:         78
        .size:           2
        .value_kind:     hidden_group_size_y
      - .offset:         80
        .size:           2
        .value_kind:     hidden_group_size_z
      - .offset:         82
        .size:           2
        .value_kind:     hidden_remainder_x
      - .offset:         84
        .size:           2
        .value_kind:     hidden_remainder_y
      - .offset:         86
        .size:           2
        .value_kind:     hidden_remainder_z
      - .offset:         104
        .size:           8
        .value_kind:     hidden_global_offset_x
      - .offset:         112
        .size:           8
        .value_kind:     hidden_global_offset_y
      - .offset:         120
        .size:           8
        .value_kind:     hidden_global_offset_z
      - .offset:         128
        .size:           2
        .value_kind:     hidden_grid_dims
      - .offset:         184
        .size:           4
        .value_kind:     hidden_dynamic_lds_size
    .group_segment_fixed_size: 0
    .kernarg_segment_align: 8
    .kernarg_segment_size: 320
    .language:       OpenCL C
    .language_version:
      - 2
      - 0
    .max_flat_workgroup_size: 1024
    .name:           _ZN2at6native12_GLOBAL__N_135GammaBetaBackwardCUDAKernelTemplateIddLj64ELj16ELj256ELb0ELb0ELb1EEEvllPKT_S5_PKT0_S8_PS3_S9_
    .private_segment_fixed_size: 580
    .sgpr_count:     44
    .sgpr_spill_count: 0
    .symbol:         _ZN2at6native12_GLOBAL__N_135GammaBetaBackwardCUDAKernelTemplateIddLj64ELj16ELj256ELb0ELb0ELb1EEEvllPKT_S5_PKT0_S8_PS3_S9_.kd
    .uniform_work_group_size: 1
    .uses_dynamic_stack: false
    .vgpr_count:     64
    .vgpr_spill_count: 434
    .wavefront_size: 64
  - .args:
      - .offset:         0
        .size:           8
        .value_kind:     by_value
      - .offset:         8
        .size:           8
        .value_kind:     by_value
      - .actual_access:  read_only
        .address_space:  global
        .offset:         16
        .size:           8
        .value_kind:     global_buffer
      - .actual_access:  read_only
        .address_space:  global
        .offset:         24
        .size:           8
        .value_kind:     global_buffer
      - .actual_access:  read_only
        .address_space:  global
        .offset:         32
        .size:           8
        .value_kind:     global_buffer
      - .actual_access:  read_only
        .address_space:  global
        .offset:         40
        .size:           8
        .value_kind:     global_buffer
      - .actual_access:  write_only
        .address_space:  global
        .offset:         48
        .size:           8
        .value_kind:     global_buffer
      - .actual_access:  read_only
        .address_space:  global
        .offset:         56
        .size:           8
        .value_kind:     global_buffer
      - .offset:         64
        .size:           4
        .value_kind:     hidden_block_count_x
      - .offset:         68
        .size:           4
        .value_kind:     hidden_block_count_y
      - .offset:         72
        .size:           4
        .value_kind:     hidden_block_count_z
      - .offset:         76
        .size:           2
        .value_kind:     hidden_group_size_x
      - .offset:         78
        .size:           2
        .value_kind:     hidden_group_size_y
      - .offset:         80
        .size:           2
        .value_kind:     hidden_group_size_z
      - .offset:         82
        .size:           2
        .value_kind:     hidden_remainder_x
      - .offset:         84
        .size:           2
        .value_kind:     hidden_remainder_y
      - .offset:         86
        .size:           2
        .value_kind:     hidden_remainder_z
      - .offset:         104
        .size:           8
        .value_kind:     hidden_global_offset_x
      - .offset:         112
        .size:           8
        .value_kind:     hidden_global_offset_y
      - .offset:         120
        .size:           8
        .value_kind:     hidden_global_offset_z
      - .offset:         128
        .size:           2
        .value_kind:     hidden_grid_dims
    .group_segment_fixed_size: 0
    .kernarg_segment_align: 8
    .kernarg_segment_size: 320
    .language:       OpenCL C
    .language_version:
      - 2
      - 0
    .max_flat_workgroup_size: 32
    .name:           _ZN2at6native12_GLOBAL__N_135GammaBetaBackwardCUDAKernelTemplateIddLj32ELj1ELj32ELb1ELb1ELb1EEEvllPKT_S5_PKT0_S8_PS3_S9_
    .private_segment_fixed_size: 0
    .sgpr_count:     34
    .sgpr_spill_count: 0
    .symbol:         _ZN2at6native12_GLOBAL__N_135GammaBetaBackwardCUDAKernelTemplateIddLj32ELj1ELj32ELb1ELb1ELb1EEEvllPKT_S5_PKT0_S8_PS3_S9_.kd
    .uniform_work_group_size: 1
    .uses_dynamic_stack: false
    .vgpr_count:     65
    .vgpr_spill_count: 0
    .wavefront_size: 64
  - .args:
      - .offset:         0
        .size:           8
        .value_kind:     by_value
      - .offset:         8
        .size:           8
        .value_kind:     by_value
      - .actual_access:  read_only
        .address_space:  global
        .offset:         16
        .size:           8
        .value_kind:     global_buffer
      - .actual_access:  read_only
        .address_space:  global
        .offset:         24
        .size:           8
        .value_kind:     global_buffer
      - .actual_access:  read_only
        .address_space:  global
        .offset:         32
        .size:           8
        .value_kind:     global_buffer
      - .actual_access:  read_only
        .address_space:  global
        .offset:         40
        .size:           8
        .value_kind:     global_buffer
      - .actual_access:  write_only
        .address_space:  global
        .offset:         48
        .size:           8
        .value_kind:     global_buffer
      - .actual_access:  read_only
        .address_space:  global
        .offset:         56
        .size:           8
        .value_kind:     global_buffer
      - .offset:         64
        .size:           4
        .value_kind:     hidden_block_count_x
      - .offset:         68
        .size:           4
        .value_kind:     hidden_block_count_y
      - .offset:         72
        .size:           4
        .value_kind:     hidden_block_count_z
      - .offset:         76
        .size:           2
        .value_kind:     hidden_group_size_x
      - .offset:         78
        .size:           2
        .value_kind:     hidden_group_size_y
      - .offset:         80
        .size:           2
        .value_kind:     hidden_group_size_z
      - .offset:         82
        .size:           2
        .value_kind:     hidden_remainder_x
      - .offset:         84
        .size:           2
        .value_kind:     hidden_remainder_y
      - .offset:         86
        .size:           2
        .value_kind:     hidden_remainder_z
      - .offset:         104
        .size:           8
        .value_kind:     hidden_global_offset_x
      - .offset:         112
        .size:           8
        .value_kind:     hidden_global_offset_y
      - .offset:         120
        .size:           8
        .value_kind:     hidden_global_offset_z
      - .offset:         128
        .size:           2
        .value_kind:     hidden_grid_dims
    .group_segment_fixed_size: 0
    .kernarg_segment_align: 8
    .kernarg_segment_size: 320
    .language:       OpenCL C
    .language_version:
      - 2
      - 0
    .max_flat_workgroup_size: 32
    .name:           _ZN2at6native12_GLOBAL__N_135GammaBetaBackwardCUDAKernelTemplateIddLj32ELj1ELj32ELb1ELb0ELb1EEEvllPKT_S5_PKT0_S8_PS3_S9_
    .private_segment_fixed_size: 600
    .sgpr_count:     44
    .sgpr_spill_count: 0
    .symbol:         _ZN2at6native12_GLOBAL__N_135GammaBetaBackwardCUDAKernelTemplateIddLj32ELj1ELj32ELb1ELb0ELb1EEEvllPKT_S5_PKT0_S8_PS3_S9_.kd
    .uniform_work_group_size: 1
    .uses_dynamic_stack: false
    .vgpr_count:     256
    .vgpr_spill_count: 325
    .wavefront_size: 64
  - .args:
      - .offset:         0
        .size:           8
        .value_kind:     by_value
      - .offset:         8
        .size:           8
        .value_kind:     by_value
      - .actual_access:  read_only
        .address_space:  global
        .offset:         16
        .size:           8
        .value_kind:     global_buffer
      - .actual_access:  read_only
        .address_space:  global
        .offset:         24
        .size:           8
        .value_kind:     global_buffer
      - .actual_access:  read_only
        .address_space:  global
        .offset:         32
        .size:           8
        .value_kind:     global_buffer
      - .actual_access:  read_only
        .address_space:  global
        .offset:         40
        .size:           8
        .value_kind:     global_buffer
      - .actual_access:  write_only
        .address_space:  global
        .offset:         48
        .size:           8
        .value_kind:     global_buffer
      - .actual_access:  read_only
        .address_space:  global
        .offset:         56
        .size:           8
        .value_kind:     global_buffer
      - .offset:         64
        .size:           4
        .value_kind:     hidden_block_count_x
      - .offset:         68
        .size:           4
        .value_kind:     hidden_block_count_y
      - .offset:         72
        .size:           4
        .value_kind:     hidden_block_count_z
      - .offset:         76
        .size:           2
        .value_kind:     hidden_group_size_x
      - .offset:         78
        .size:           2
        .value_kind:     hidden_group_size_y
      - .offset:         80
        .size:           2
        .value_kind:     hidden_group_size_z
      - .offset:         82
        .size:           2
        .value_kind:     hidden_remainder_x
      - .offset:         84
        .size:           2
        .value_kind:     hidden_remainder_y
      - .offset:         86
        .size:           2
        .value_kind:     hidden_remainder_z
      - .offset:         104
        .size:           8
        .value_kind:     hidden_global_offset_x
      - .offset:         112
        .size:           8
        .value_kind:     hidden_global_offset_y
      - .offset:         120
        .size:           8
        .value_kind:     hidden_global_offset_z
      - .offset:         128
        .size:           2
        .value_kind:     hidden_grid_dims
    .group_segment_fixed_size: 0
    .kernarg_segment_align: 8
    .kernarg_segment_size: 320
    .language:       OpenCL C
    .language_version:
      - 2
      - 0
    .max_flat_workgroup_size: 32
    .name:           _ZN2at6native12_GLOBAL__N_135GammaBetaBackwardCUDAKernelTemplateIddLj32ELj1ELj8ELb1ELb1ELb1EEEvllPKT_S5_PKT0_S8_PS3_S9_
    .private_segment_fixed_size: 0
    .sgpr_count:     34
    .sgpr_spill_count: 0
    .symbol:         _ZN2at6native12_GLOBAL__N_135GammaBetaBackwardCUDAKernelTemplateIddLj32ELj1ELj8ELb1ELb1ELb1EEEvllPKT_S5_PKT0_S8_PS3_S9_.kd
    .uniform_work_group_size: 1
    .uses_dynamic_stack: false
    .vgpr_count:     32
    .vgpr_spill_count: 0
    .wavefront_size: 64
  - .args:
      - .offset:         0
        .size:           8
        .value_kind:     by_value
      - .offset:         8
        .size:           8
        .value_kind:     by_value
      - .actual_access:  read_only
        .address_space:  global
        .offset:         16
        .size:           8
        .value_kind:     global_buffer
      - .actual_access:  read_only
        .address_space:  global
        .offset:         24
        .size:           8
        .value_kind:     global_buffer
      - .actual_access:  read_only
        .address_space:  global
        .offset:         32
        .size:           8
        .value_kind:     global_buffer
      - .actual_access:  read_only
        .address_space:  global
        .offset:         40
        .size:           8
        .value_kind:     global_buffer
      - .actual_access:  write_only
        .address_space:  global
        .offset:         48
        .size:           8
        .value_kind:     global_buffer
      - .actual_access:  read_only
        .address_space:  global
        .offset:         56
        .size:           8
        .value_kind:     global_buffer
      - .offset:         64
        .size:           4
        .value_kind:     hidden_block_count_x
      - .offset:         68
        .size:           4
        .value_kind:     hidden_block_count_y
      - .offset:         72
        .size:           4
        .value_kind:     hidden_block_count_z
      - .offset:         76
        .size:           2
        .value_kind:     hidden_group_size_x
      - .offset:         78
        .size:           2
        .value_kind:     hidden_group_size_y
      - .offset:         80
        .size:           2
        .value_kind:     hidden_group_size_z
      - .offset:         82
        .size:           2
        .value_kind:     hidden_remainder_x
      - .offset:         84
        .size:           2
        .value_kind:     hidden_remainder_y
      - .offset:         86
        .size:           2
        .value_kind:     hidden_remainder_z
      - .offset:         104
        .size:           8
        .value_kind:     hidden_global_offset_x
      - .offset:         112
        .size:           8
        .value_kind:     hidden_global_offset_y
      - .offset:         120
        .size:           8
        .value_kind:     hidden_global_offset_z
      - .offset:         128
        .size:           2
        .value_kind:     hidden_grid_dims
    .group_segment_fixed_size: 0
    .kernarg_segment_align: 8
    .kernarg_segment_size: 320
    .language:       OpenCL C
    .language_version:
      - 2
      - 0
    .max_flat_workgroup_size: 32
    .name:           _ZN2at6native12_GLOBAL__N_135GammaBetaBackwardCUDAKernelTemplateIddLj32ELj1ELj8ELb1ELb0ELb1EEEvllPKT_S5_PKT0_S8_PS3_S9_
    .private_segment_fixed_size: 0
    .sgpr_count:     40
    .sgpr_spill_count: 0
    .symbol:         _ZN2at6native12_GLOBAL__N_135GammaBetaBackwardCUDAKernelTemplateIddLj32ELj1ELj8ELb1ELb0ELb1EEEvllPKT_S5_PKT0_S8_PS3_S9_.kd
    .uniform_work_group_size: 1
    .uses_dynamic_stack: false
    .vgpr_count:     106
    .vgpr_spill_count: 0
    .wavefront_size: 64
  - .args:
      - .offset:         0
        .size:           8
        .value_kind:     by_value
      - .offset:         8
        .size:           8
        .value_kind:     by_value
      - .actual_access:  read_only
        .address_space:  global
        .offset:         16
        .size:           8
        .value_kind:     global_buffer
      - .actual_access:  read_only
        .address_space:  global
        .offset:         24
        .size:           8
        .value_kind:     global_buffer
      - .actual_access:  read_only
        .address_space:  global
        .offset:         32
        .size:           8
        .value_kind:     global_buffer
      - .actual_access:  read_only
        .address_space:  global
        .offset:         40
        .size:           8
        .value_kind:     global_buffer
      - .actual_access:  write_only
        .address_space:  global
        .offset:         48
        .size:           8
        .value_kind:     global_buffer
      - .actual_access:  read_only
        .address_space:  global
        .offset:         56
        .size:           8
        .value_kind:     global_buffer
      - .offset:         64
        .size:           4
        .value_kind:     hidden_block_count_x
      - .offset:         68
        .size:           4
        .value_kind:     hidden_block_count_y
      - .offset:         72
        .size:           4
        .value_kind:     hidden_block_count_z
      - .offset:         76
        .size:           2
        .value_kind:     hidden_group_size_x
      - .offset:         78
        .size:           2
        .value_kind:     hidden_group_size_y
      - .offset:         80
        .size:           2
        .value_kind:     hidden_group_size_z
      - .offset:         82
        .size:           2
        .value_kind:     hidden_remainder_x
      - .offset:         84
        .size:           2
        .value_kind:     hidden_remainder_y
      - .offset:         86
        .size:           2
        .value_kind:     hidden_remainder_z
      - .offset:         104
        .size:           8
        .value_kind:     hidden_global_offset_x
      - .offset:         112
        .size:           8
        .value_kind:     hidden_global_offset_y
      - .offset:         120
        .size:           8
        .value_kind:     hidden_global_offset_z
      - .offset:         128
        .size:           2
        .value_kind:     hidden_grid_dims
      - .offset:         184
        .size:           4
        .value_kind:     hidden_dynamic_lds_size
    .group_segment_fixed_size: 0
    .kernarg_segment_align: 8
    .kernarg_segment_size: 320
    .language:       OpenCL C
    .language_version:
      - 2
      - 0
    .max_flat_workgroup_size: 256
    .name:           _ZN2at6native12_GLOBAL__N_135GammaBetaBackwardCUDAKernelTemplateIddLj32ELj8ELj64ELb0ELb1ELb1EEEvllPKT_S5_PKT0_S8_PS3_S9_
    .private_segment_fixed_size: 0
    .sgpr_count:     30
    .sgpr_spill_count: 0
    .symbol:         _ZN2at6native12_GLOBAL__N_135GammaBetaBackwardCUDAKernelTemplateIddLj32ELj8ELj64ELb0ELb1ELb1EEEvllPKT_S5_PKT0_S8_PS3_S9_.kd
    .uniform_work_group_size: 1
    .uses_dynamic_stack: false
    .vgpr_count:     30
    .vgpr_spill_count: 0
    .wavefront_size: 64
  - .args:
      - .offset:         0
        .size:           8
        .value_kind:     by_value
      - .offset:         8
        .size:           8
        .value_kind:     by_value
      - .actual_access:  read_only
        .address_space:  global
        .offset:         16
        .size:           8
        .value_kind:     global_buffer
      - .actual_access:  read_only
        .address_space:  global
        .offset:         24
        .size:           8
        .value_kind:     global_buffer
      - .actual_access:  read_only
        .address_space:  global
        .offset:         32
        .size:           8
        .value_kind:     global_buffer
      - .actual_access:  read_only
        .address_space:  global
        .offset:         40
        .size:           8
        .value_kind:     global_buffer
      - .actual_access:  write_only
        .address_space:  global
        .offset:         48
        .size:           8
        .value_kind:     global_buffer
      - .actual_access:  read_only
        .address_space:  global
        .offset:         56
        .size:           8
        .value_kind:     global_buffer
      - .offset:         64
        .size:           4
        .value_kind:     hidden_block_count_x
      - .offset:         68
        .size:           4
        .value_kind:     hidden_block_count_y
      - .offset:         72
        .size:           4
        .value_kind:     hidden_block_count_z
      - .offset:         76
        .size:           2
        .value_kind:     hidden_group_size_x
      - .offset:         78
        .size:           2
        .value_kind:     hidden_group_size_y
      - .offset:         80
        .size:           2
        .value_kind:     hidden_group_size_z
      - .offset:         82
        .size:           2
        .value_kind:     hidden_remainder_x
      - .offset:         84
        .size:           2
        .value_kind:     hidden_remainder_y
      - .offset:         86
        .size:           2
        .value_kind:     hidden_remainder_z
      - .offset:         104
        .size:           8
        .value_kind:     hidden_global_offset_x
      - .offset:         112
        .size:           8
        .value_kind:     hidden_global_offset_y
      - .offset:         120
        .size:           8
        .value_kind:     hidden_global_offset_z
      - .offset:         128
        .size:           2
        .value_kind:     hidden_grid_dims
      - .offset:         184
        .size:           4
        .value_kind:     hidden_dynamic_lds_size
    .group_segment_fixed_size: 0
    .kernarg_segment_align: 8
    .kernarg_segment_size: 320
    .language:       OpenCL C
    .language_version:
      - 2
      - 0
    .max_flat_workgroup_size: 256
    .name:           _ZN2at6native12_GLOBAL__N_135GammaBetaBackwardCUDAKernelTemplateIddLj32ELj8ELj64ELb0ELb0ELb1EEEvllPKT_S5_PKT0_S8_PS3_S9_
    .private_segment_fixed_size: 0
    .sgpr_count:     38
    .sgpr_spill_count: 0
    .symbol:         _ZN2at6native12_GLOBAL__N_135GammaBetaBackwardCUDAKernelTemplateIddLj32ELj8ELj64ELb0ELb0ELb1EEEvllPKT_S5_PKT0_S8_PS3_S9_.kd
    .uniform_work_group_size: 1
    .uses_dynamic_stack: false
    .vgpr_count:     105
    .vgpr_spill_count: 0
    .wavefront_size: 64
  - .args:
      - .offset:         0
        .size:           8
        .value_kind:     by_value
      - .offset:         8
        .size:           8
        .value_kind:     by_value
      - .actual_access:  read_only
        .address_space:  global
        .offset:         16
        .size:           8
        .value_kind:     global_buffer
      - .actual_access:  read_only
        .address_space:  global
        .offset:         24
        .size:           8
        .value_kind:     global_buffer
      - .actual_access:  read_only
        .address_space:  global
        .offset:         32
        .size:           8
        .value_kind:     global_buffer
      - .actual_access:  read_only
        .address_space:  global
        .offset:         40
        .size:           8
        .value_kind:     global_buffer
      - .actual_access:  write_only
        .address_space:  global
        .offset:         48
        .size:           8
        .value_kind:     global_buffer
      - .actual_access:  read_only
        .address_space:  global
        .offset:         56
        .size:           8
        .value_kind:     global_buffer
      - .offset:         64
        .size:           4
        .value_kind:     hidden_block_count_x
      - .offset:         68
        .size:           4
        .value_kind:     hidden_block_count_y
      - .offset:         72
        .size:           4
        .value_kind:     hidden_block_count_z
      - .offset:         76
        .size:           2
        .value_kind:     hidden_group_size_x
      - .offset:         78
        .size:           2
        .value_kind:     hidden_group_size_y
      - .offset:         80
        .size:           2
        .value_kind:     hidden_group_size_z
      - .offset:         82
        .size:           2
        .value_kind:     hidden_remainder_x
      - .offset:         84
        .size:           2
        .value_kind:     hidden_remainder_y
      - .offset:         86
        .size:           2
        .value_kind:     hidden_remainder_z
      - .offset:         104
        .size:           8
        .value_kind:     hidden_global_offset_x
      - .offset:         112
        .size:           8
        .value_kind:     hidden_global_offset_y
      - .offset:         120
        .size:           8
        .value_kind:     hidden_global_offset_z
      - .offset:         128
        .size:           2
        .value_kind:     hidden_grid_dims
      - .offset:         184
        .size:           4
        .value_kind:     hidden_dynamic_lds_size
    .group_segment_fixed_size: 0
    .kernarg_segment_align: 8
    .kernarg_segment_size: 320
    .language:       OpenCL C
    .language_version:
      - 2
      - 0
    .max_flat_workgroup_size: 512
    .name:           _ZN2at6native12_GLOBAL__N_135GammaBetaBackwardCUDAKernelTemplateIddLj32ELj16ELj128ELb0ELb1ELb1EEEvllPKT_S5_PKT0_S8_PS3_S9_
    .private_segment_fixed_size: 0
    .sgpr_count:     30
    .sgpr_spill_count: 0
    .symbol:         _ZN2at6native12_GLOBAL__N_135GammaBetaBackwardCUDAKernelTemplateIddLj32ELj16ELj128ELb0ELb1ELb1EEEvllPKT_S5_PKT0_S8_PS3_S9_.kd
    .uniform_work_group_size: 1
    .uses_dynamic_stack: false
    .vgpr_count:     30
    .vgpr_spill_count: 0
    .wavefront_size: 64
  - .args:
      - .offset:         0
        .size:           8
        .value_kind:     by_value
      - .offset:         8
        .size:           8
        .value_kind:     by_value
      - .actual_access:  read_only
        .address_space:  global
        .offset:         16
        .size:           8
        .value_kind:     global_buffer
      - .actual_access:  read_only
        .address_space:  global
        .offset:         24
        .size:           8
        .value_kind:     global_buffer
      - .actual_access:  read_only
        .address_space:  global
        .offset:         32
        .size:           8
        .value_kind:     global_buffer
      - .actual_access:  read_only
        .address_space:  global
        .offset:         40
        .size:           8
        .value_kind:     global_buffer
      - .actual_access:  write_only
        .address_space:  global
        .offset:         48
        .size:           8
        .value_kind:     global_buffer
      - .actual_access:  read_only
        .address_space:  global
        .offset:         56
        .size:           8
        .value_kind:     global_buffer
      - .offset:         64
        .size:           4
        .value_kind:     hidden_block_count_x
      - .offset:         68
        .size:           4
        .value_kind:     hidden_block_count_y
      - .offset:         72
        .size:           4
        .value_kind:     hidden_block_count_z
      - .offset:         76
        .size:           2
        .value_kind:     hidden_group_size_x
      - .offset:         78
        .size:           2
        .value_kind:     hidden_group_size_y
      - .offset:         80
        .size:           2
        .value_kind:     hidden_group_size_z
      - .offset:         82
        .size:           2
        .value_kind:     hidden_remainder_x
      - .offset:         84
        .size:           2
        .value_kind:     hidden_remainder_y
      - .offset:         86
        .size:           2
        .value_kind:     hidden_remainder_z
      - .offset:         104
        .size:           8
        .value_kind:     hidden_global_offset_x
      - .offset:         112
        .size:           8
        .value_kind:     hidden_global_offset_y
      - .offset:         120
        .size:           8
        .value_kind:     hidden_global_offset_z
      - .offset:         128
        .size:           2
        .value_kind:     hidden_grid_dims
      - .offset:         184
        .size:           4
        .value_kind:     hidden_dynamic_lds_size
    .group_segment_fixed_size: 0
    .kernarg_segment_align: 8
    .kernarg_segment_size: 320
    .language:       OpenCL C
    .language_version:
      - 2
      - 0
    .max_flat_workgroup_size: 512
    .name:           _ZN2at6native12_GLOBAL__N_135GammaBetaBackwardCUDAKernelTemplateIddLj32ELj16ELj128ELb0ELb0ELb1EEEvllPKT_S5_PKT0_S8_PS3_S9_
    .private_segment_fixed_size: 0
    .sgpr_count:     38
    .sgpr_spill_count: 0
    .symbol:         _ZN2at6native12_GLOBAL__N_135GammaBetaBackwardCUDAKernelTemplateIddLj32ELj16ELj128ELb0ELb0ELb1EEEvllPKT_S5_PKT0_S8_PS3_S9_.kd
    .uniform_work_group_size: 1
    .uses_dynamic_stack: false
    .vgpr_count:     105
    .vgpr_spill_count: 0
    .wavefront_size: 64
  - .args:
      - .offset:         0
        .size:           8
        .value_kind:     by_value
      - .offset:         8
        .size:           8
        .value_kind:     by_value
      - .actual_access:  read_only
        .address_space:  global
        .offset:         16
        .size:           8
        .value_kind:     global_buffer
      - .actual_access:  read_only
        .address_space:  global
        .offset:         24
        .size:           8
        .value_kind:     global_buffer
      - .actual_access:  read_only
        .address_space:  global
        .offset:         32
        .size:           8
        .value_kind:     global_buffer
      - .actual_access:  read_only
        .address_space:  global
        .offset:         40
        .size:           8
        .value_kind:     global_buffer
      - .actual_access:  write_only
        .address_space:  global
        .offset:         48
        .size:           8
        .value_kind:     global_buffer
      - .actual_access:  read_only
        .address_space:  global
        .offset:         56
        .size:           8
        .value_kind:     global_buffer
      - .offset:         64
        .size:           4
        .value_kind:     hidden_block_count_x
      - .offset:         68
        .size:           4
        .value_kind:     hidden_block_count_y
      - .offset:         72
        .size:           4
        .value_kind:     hidden_block_count_z
      - .offset:         76
        .size:           2
        .value_kind:     hidden_group_size_x
      - .offset:         78
        .size:           2
        .value_kind:     hidden_group_size_y
      - .offset:         80
        .size:           2
        .value_kind:     hidden_group_size_z
      - .offset:         82
        .size:           2
        .value_kind:     hidden_remainder_x
      - .offset:         84
        .size:           2
        .value_kind:     hidden_remainder_y
      - .offset:         86
        .size:           2
        .value_kind:     hidden_remainder_z
      - .offset:         104
        .size:           8
        .value_kind:     hidden_global_offset_x
      - .offset:         112
        .size:           8
        .value_kind:     hidden_global_offset_y
      - .offset:         120
        .size:           8
        .value_kind:     hidden_global_offset_z
      - .offset:         128
        .size:           2
        .value_kind:     hidden_grid_dims
      - .offset:         184
        .size:           4
        .value_kind:     hidden_dynamic_lds_size
    .group_segment_fixed_size: 0
    .kernarg_segment_align: 8
    .kernarg_segment_size: 320
    .language:       OpenCL C
    .language_version:
      - 2
      - 0
    .max_flat_workgroup_size: 1024
    .name:           _ZN2at6native12_GLOBAL__N_135GammaBetaBackwardCUDAKernelTemplateIddLj32ELj32ELj256ELb0ELb1ELb1EEEvllPKT_S5_PKT0_S8_PS3_S9_
    .private_segment_fixed_size: 0
    .sgpr_count:     30
    .sgpr_spill_count: 0
    .symbol:         _ZN2at6native12_GLOBAL__N_135GammaBetaBackwardCUDAKernelTemplateIddLj32ELj32ELj256ELb0ELb1ELb1EEEvllPKT_S5_PKT0_S8_PS3_S9_.kd
    .uniform_work_group_size: 1
    .uses_dynamic_stack: false
    .vgpr_count:     31
    .vgpr_spill_count: 0
    .wavefront_size: 64
  - .args:
      - .offset:         0
        .size:           8
        .value_kind:     by_value
      - .offset:         8
        .size:           8
        .value_kind:     by_value
      - .actual_access:  read_only
        .address_space:  global
        .offset:         16
        .size:           8
        .value_kind:     global_buffer
      - .actual_access:  read_only
        .address_space:  global
        .offset:         24
        .size:           8
        .value_kind:     global_buffer
      - .actual_access:  read_only
        .address_space:  global
        .offset:         32
        .size:           8
        .value_kind:     global_buffer
      - .actual_access:  read_only
        .address_space:  global
        .offset:         40
        .size:           8
        .value_kind:     global_buffer
      - .actual_access:  write_only
        .address_space:  global
        .offset:         48
        .size:           8
        .value_kind:     global_buffer
      - .actual_access:  read_only
        .address_space:  global
        .offset:         56
        .size:           8
        .value_kind:     global_buffer
      - .offset:         64
        .size:           4
        .value_kind:     hidden_block_count_x
      - .offset:         68
        .size:           4
        .value_kind:     hidden_block_count_y
      - .offset:         72
        .size:           4
        .value_kind:     hidden_block_count_z
      - .offset:         76
        .size:           2
        .value_kind:     hidden_group_size_x
      - .offset:         78
        .size:           2
        .value_kind:     hidden_group_size_y
      - .offset:         80
        .size:           2
        .value_kind:     hidden_group_size_z
      - .offset:         82
        .size:           2
        .value_kind:     hidden_remainder_x
      - .offset:         84
        .size:           2
        .value_kind:     hidden_remainder_y
      - .offset:         86
        .size:           2
        .value_kind:     hidden_remainder_z
      - .offset:         104
        .size:           8
        .value_kind:     hidden_global_offset_x
      - .offset:         112
        .size:           8
        .value_kind:     hidden_global_offset_y
      - .offset:         120
        .size:           8
        .value_kind:     hidden_global_offset_z
      - .offset:         128
        .size:           2
        .value_kind:     hidden_grid_dims
      - .offset:         184
        .size:           4
        .value_kind:     hidden_dynamic_lds_size
    .group_segment_fixed_size: 0
    .kernarg_segment_align: 8
    .kernarg_segment_size: 320
    .language:       OpenCL C
    .language_version:
      - 2
      - 0
    .max_flat_workgroup_size: 1024
    .name:           _ZN2at6native12_GLOBAL__N_135GammaBetaBackwardCUDAKernelTemplateIddLj32ELj32ELj256ELb0ELb0ELb1EEEvllPKT_S5_PKT0_S8_PS3_S9_
    .private_segment_fixed_size: 184
    .sgpr_count:     44
    .sgpr_spill_count: 0
    .symbol:         _ZN2at6native12_GLOBAL__N_135GammaBetaBackwardCUDAKernelTemplateIddLj32ELj32ELj256ELb0ELb0ELb1EEEvllPKT_S5_PKT0_S8_PS3_S9_.kd
    .uniform_work_group_size: 1
    .uses_dynamic_stack: false
    .vgpr_count:     64
    .vgpr_spill_count: 102
    .wavefront_size: 64
  - .args:
      - .actual_access:  read_only
        .address_space:  global
        .offset:         0
        .size:           8
        .value_kind:     global_buffer
      - .actual_access:  read_only
        .address_space:  global
        .offset:         8
        .size:           8
        .value_kind:     global_buffer
      - .offset:         16
        .size:           8
        .value_kind:     by_value
      - .offset:         24
        .size:           8
        .value_kind:     by_value
      - .actual_access:  read_only
        .address_space:  global
        .offset:         32
        .size:           8
        .value_kind:     global_buffer
      - .actual_access:  read_only
        .address_space:  global
        .offset:         40
        .size:           8
        .value_kind:     global_buffer
      - .address_space:  global
        .offset:         48
        .size:           8
        .value_kind:     global_buffer
      - .address_space:  global
        .offset:         56
        .size:           8
        .value_kind:     global_buffer
      - .offset:         64
        .size:           4
        .value_kind:     hidden_block_count_x
      - .offset:         68
        .size:           4
        .value_kind:     hidden_block_count_y
      - .offset:         72
        .size:           4
        .value_kind:     hidden_block_count_z
      - .offset:         76
        .size:           2
        .value_kind:     hidden_group_size_x
      - .offset:         78
        .size:           2
        .value_kind:     hidden_group_size_y
      - .offset:         80
        .size:           2
        .value_kind:     hidden_group_size_z
      - .offset:         82
        .size:           2
        .value_kind:     hidden_remainder_x
      - .offset:         84
        .size:           2
        .value_kind:     hidden_remainder_y
      - .offset:         86
        .size:           2
        .value_kind:     hidden_remainder_z
      - .offset:         104
        .size:           8
        .value_kind:     hidden_global_offset_x
      - .offset:         112
        .size:           8
        .value_kind:     hidden_global_offset_y
      - .offset:         120
        .size:           8
        .value_kind:     hidden_global_offset_z
      - .offset:         128
        .size:           2
        .value_kind:     hidden_grid_dims
      - .offset:         184
        .size:           4
        .value_kind:     hidden_dynamic_lds_size
    .group_segment_fixed_size: 0
    .kernarg_segment_align: 8
    .kernarg_segment_size: 320
    .language:       OpenCL C
    .language_version:
      - 2
      - 0
    .max_flat_workgroup_size: 1024
    .name:           _ZN2at6native12_GLOBAL__N_118cuComputeGradInputIffLb1EEEvPKT_S5_llPKT0_S8_S5_PS3_
    .private_segment_fixed_size: 0
    .sgpr_count:     52
    .sgpr_spill_count: 0
    .symbol:         _ZN2at6native12_GLOBAL__N_118cuComputeGradInputIffLb1EEEvPKT_S5_llPKT0_S8_S5_PS3_.kd
    .uniform_work_group_size: 1
    .uses_dynamic_stack: false
    .vgpr_count:     26
    .vgpr_spill_count: 0
    .wavefront_size: 64
  - .args:
      - .actual_access:  read_only
        .address_space:  global
        .offset:         0
        .size:           8
        .value_kind:     global_buffer
      - .actual_access:  read_only
        .address_space:  global
        .offset:         8
        .size:           8
        .value_kind:     global_buffer
      - .actual_access:  read_only
        .address_space:  global
        .offset:         16
        .size:           8
        .value_kind:     global_buffer
      - .actual_access:  read_only
        .address_space:  global
        .offset:         24
        .size:           8
        .value_kind:     global_buffer
      - .actual_access:  read_only
        .address_space:  global
        .offset:         32
        .size:           8
        .value_kind:     global_buffer
      - .address_space:  global
        .offset:         40
        .size:           8
        .value_kind:     global_buffer
      - .offset:         48
        .size:           4
        .value_kind:     by_value
      - .offset:         56
        .size:           4
        .value_kind:     hidden_block_count_x
      - .offset:         60
        .size:           4
        .value_kind:     hidden_block_count_y
      - .offset:         64
        .size:           4
        .value_kind:     hidden_block_count_z
      - .offset:         68
        .size:           2
        .value_kind:     hidden_group_size_x
      - .offset:         70
        .size:           2
        .value_kind:     hidden_group_size_y
      - .offset:         72
        .size:           2
        .value_kind:     hidden_group_size_z
      - .offset:         74
        .size:           2
        .value_kind:     hidden_remainder_x
      - .offset:         76
        .size:           2
        .value_kind:     hidden_remainder_y
      - .offset:         78
        .size:           2
        .value_kind:     hidden_remainder_z
      - .offset:         96
        .size:           8
        .value_kind:     hidden_global_offset_x
      - .offset:         104
        .size:           8
        .value_kind:     hidden_global_offset_y
      - .offset:         112
        .size:           8
        .value_kind:     hidden_global_offset_z
      - .offset:         120
        .size:           2
        .value_kind:     hidden_grid_dims
      - .offset:         176
        .size:           4
        .value_kind:     hidden_dynamic_lds_size
    .group_segment_fixed_size: 0
    .kernarg_segment_align: 8
    .kernarg_segment_size: 312
    .language:       OpenCL C
    .language_version:
      - 2
      - 0
    .max_flat_workgroup_size: 1024
    .name:           _ZN2at6native12_GLOBAL__N_128layer_norm_grad_input_kernelIffLb1EEEvPKT_S5_PKT0_S8_S5_PS3_i
    .private_segment_fixed_size: 0
    .sgpr_count:     29
    .sgpr_spill_count: 0
    .symbol:         _ZN2at6native12_GLOBAL__N_128layer_norm_grad_input_kernelIffLb1EEEvPKT_S5_PKT0_S8_S5_PS3_i.kd
    .uniform_work_group_size: 1
    .uses_dynamic_stack: false
    .vgpr_count:     22
    .vgpr_spill_count: 0
    .wavefront_size: 64
  - .args:
      - .offset:         0
        .size:           8
        .value_kind:     by_value
      - .offset:         8
        .size:           8
        .value_kind:     by_value
      - .address_space:  global
        .offset:         16
        .size:           8
        .value_kind:     global_buffer
      - .address_space:  global
        .offset:         24
        .size:           8
        .value_kind:     global_buffer
      - .address_space:  global
        .offset:         32
        .size:           8
        .value_kind:     global_buffer
      - .address_space:  global
        .offset:         40
        .size:           8
        .value_kind:     global_buffer
      - .address_space:  global
        .offset:         48
        .size:           8
        .value_kind:     global_buffer
      - .address_space:  global
        .offset:         56
        .size:           8
        .value_kind:     global_buffer
      - .offset:         64
        .size:           4
        .value_kind:     hidden_block_count_x
      - .offset:         68
        .size:           4
        .value_kind:     hidden_block_count_y
      - .offset:         72
        .size:           4
        .value_kind:     hidden_block_count_z
      - .offset:         76
        .size:           2
        .value_kind:     hidden_group_size_x
      - .offset:         78
        .size:           2
        .value_kind:     hidden_group_size_y
      - .offset:         80
        .size:           2
        .value_kind:     hidden_group_size_z
      - .offset:         82
        .size:           2
        .value_kind:     hidden_remainder_x
      - .offset:         84
        .size:           2
        .value_kind:     hidden_remainder_y
      - .offset:         86
        .size:           2
        .value_kind:     hidden_remainder_z
      - .offset:         104
        .size:           8
        .value_kind:     hidden_global_offset_x
      - .offset:         112
        .size:           8
        .value_kind:     hidden_global_offset_y
      - .offset:         120
        .size:           8
        .value_kind:     hidden_global_offset_z
      - .offset:         128
        .size:           2
        .value_kind:     hidden_grid_dims
    .group_segment_fixed_size: 0
    .kernarg_segment_align: 8
    .kernarg_segment_size: 320
    .language:       OpenCL C
    .language_version:
      - 2
      - 0
    .max_flat_workgroup_size: 1024
    .name:           _ZN2at6native12_GLOBAL__N_133GammaBetaBackwardSimpleCUDAKernelIffLb1EEEvllPKT_S5_PKT0_S8_PS3_S9_
    .private_segment_fixed_size: 0
    .sgpr_count:     24
    .sgpr_spill_count: 0
    .symbol:         _ZN2at6native12_GLOBAL__N_133GammaBetaBackwardSimpleCUDAKernelIffLb1EEEvllPKT_S5_PKT0_S8_PS3_S9_.kd
    .uniform_work_group_size: 1
    .uses_dynamic_stack: false
    .vgpr_count:     9
    .vgpr_spill_count: 0
    .wavefront_size: 64
  - .args:
      - .offset:         0
        .size:           8
        .value_kind:     by_value
      - .offset:         8
        .size:           8
        .value_kind:     by_value
      - .actual_access:  read_only
        .address_space:  global
        .offset:         16
        .size:           8
        .value_kind:     global_buffer
      - .actual_access:  read_only
        .address_space:  global
        .offset:         24
        .size:           8
        .value_kind:     global_buffer
      - .actual_access:  read_only
        .address_space:  global
        .offset:         32
        .size:           8
        .value_kind:     global_buffer
      - .actual_access:  read_only
        .address_space:  global
        .offset:         40
        .size:           8
        .value_kind:     global_buffer
      - .actual_access:  write_only
        .address_space:  global
        .offset:         48
        .size:           8
        .value_kind:     global_buffer
      - .actual_access:  read_only
        .address_space:  global
        .offset:         56
        .size:           8
        .value_kind:     global_buffer
      - .offset:         64
        .size:           4
        .value_kind:     hidden_block_count_x
      - .offset:         68
        .size:           4
        .value_kind:     hidden_block_count_y
      - .offset:         72
        .size:           4
        .value_kind:     hidden_block_count_z
      - .offset:         76
        .size:           2
        .value_kind:     hidden_group_size_x
      - .offset:         78
        .size:           2
        .value_kind:     hidden_group_size_y
      - .offset:         80
        .size:           2
        .value_kind:     hidden_group_size_z
      - .offset:         82
        .size:           2
        .value_kind:     hidden_remainder_x
      - .offset:         84
        .size:           2
        .value_kind:     hidden_remainder_y
      - .offset:         86
        .size:           2
        .value_kind:     hidden_remainder_z
      - .offset:         104
        .size:           8
        .value_kind:     hidden_global_offset_x
      - .offset:         112
        .size:           8
        .value_kind:     hidden_global_offset_y
      - .offset:         120
        .size:           8
        .value_kind:     hidden_global_offset_z
      - .offset:         128
        .size:           2
        .value_kind:     hidden_grid_dims
    .group_segment_fixed_size: 0
    .kernarg_segment_align: 8
    .kernarg_segment_size: 320
    .language:       OpenCL C
    .language_version:
      - 2
      - 0
    .max_flat_workgroup_size: 64
    .name:           _ZN2at6native12_GLOBAL__N_135GammaBetaBackwardCUDAKernelTemplateIffLj64ELj1ELj32ELb1ELb1ELb1EEEvllPKT_S5_PKT0_S8_PS3_S9_
    .private_segment_fixed_size: 0
    .sgpr_count:     34
    .sgpr_spill_count: 0
    .symbol:         _ZN2at6native12_GLOBAL__N_135GammaBetaBackwardCUDAKernelTemplateIffLj64ELj1ELj32ELb1ELb1ELb1EEEvllPKT_S5_PKT0_S8_PS3_S9_.kd
    .uniform_work_group_size: 1
    .uses_dynamic_stack: false
    .vgpr_count:     48
    .vgpr_spill_count: 0
    .wavefront_size: 64
  - .args:
      - .offset:         0
        .size:           8
        .value_kind:     by_value
      - .offset:         8
        .size:           8
        .value_kind:     by_value
      - .actual_access:  read_only
        .address_space:  global
        .offset:         16
        .size:           8
        .value_kind:     global_buffer
      - .actual_access:  read_only
        .address_space:  global
        .offset:         24
        .size:           8
        .value_kind:     global_buffer
      - .actual_access:  read_only
        .address_space:  global
        .offset:         32
        .size:           8
        .value_kind:     global_buffer
      - .actual_access:  read_only
        .address_space:  global
        .offset:         40
        .size:           8
        .value_kind:     global_buffer
      - .actual_access:  write_only
        .address_space:  global
        .offset:         48
        .size:           8
        .value_kind:     global_buffer
      - .actual_access:  read_only
        .address_space:  global
        .offset:         56
        .size:           8
        .value_kind:     global_buffer
      - .offset:         64
        .size:           4
        .value_kind:     hidden_block_count_x
      - .offset:         68
        .size:           4
        .value_kind:     hidden_block_count_y
      - .offset:         72
        .size:           4
        .value_kind:     hidden_block_count_z
      - .offset:         76
        .size:           2
        .value_kind:     hidden_group_size_x
      - .offset:         78
        .size:           2
        .value_kind:     hidden_group_size_y
      - .offset:         80
        .size:           2
        .value_kind:     hidden_group_size_z
      - .offset:         82
        .size:           2
        .value_kind:     hidden_remainder_x
      - .offset:         84
        .size:           2
        .value_kind:     hidden_remainder_y
      - .offset:         86
        .size:           2
        .value_kind:     hidden_remainder_z
      - .offset:         104
        .size:           8
        .value_kind:     hidden_global_offset_x
      - .offset:         112
        .size:           8
        .value_kind:     hidden_global_offset_y
      - .offset:         120
        .size:           8
        .value_kind:     hidden_global_offset_z
      - .offset:         128
        .size:           2
        .value_kind:     hidden_grid_dims
    .group_segment_fixed_size: 0
    .kernarg_segment_align: 8
    .kernarg_segment_size: 320
    .language:       OpenCL C
    .language_version:
      - 2
      - 0
    .max_flat_workgroup_size: 64
    .name:           _ZN2at6native12_GLOBAL__N_135GammaBetaBackwardCUDAKernelTemplateIffLj64ELj1ELj32ELb1ELb0ELb1EEEvllPKT_S5_PKT0_S8_PS3_S9_
    .private_segment_fixed_size: 304
    .sgpr_count:     44
    .sgpr_spill_count: 0
    .symbol:         _ZN2at6native12_GLOBAL__N_135GammaBetaBackwardCUDAKernelTemplateIffLj64ELj1ELj32ELb1ELb0ELb1EEEvllPKT_S5_PKT0_S8_PS3_S9_.kd
    .uniform_work_group_size: 1
    .uses_dynamic_stack: false
    .vgpr_count:     256
    .vgpr_spill_count: 146
    .wavefront_size: 64
  - .args:
      - .offset:         0
        .size:           8
        .value_kind:     by_value
      - .offset:         8
        .size:           8
        .value_kind:     by_value
      - .actual_access:  read_only
        .address_space:  global
        .offset:         16
        .size:           8
        .value_kind:     global_buffer
      - .actual_access:  read_only
        .address_space:  global
        .offset:         24
        .size:           8
        .value_kind:     global_buffer
      - .actual_access:  read_only
        .address_space:  global
        .offset:         32
        .size:           8
        .value_kind:     global_buffer
      - .actual_access:  read_only
        .address_space:  global
        .offset:         40
        .size:           8
        .value_kind:     global_buffer
      - .actual_access:  write_only
        .address_space:  global
        .offset:         48
        .size:           8
        .value_kind:     global_buffer
      - .actual_access:  read_only
        .address_space:  global
        .offset:         56
        .size:           8
        .value_kind:     global_buffer
      - .offset:         64
        .size:           4
        .value_kind:     hidden_block_count_x
      - .offset:         68
        .size:           4
        .value_kind:     hidden_block_count_y
      - .offset:         72
        .size:           4
        .value_kind:     hidden_block_count_z
      - .offset:         76
        .size:           2
        .value_kind:     hidden_group_size_x
      - .offset:         78
        .size:           2
        .value_kind:     hidden_group_size_y
      - .offset:         80
        .size:           2
        .value_kind:     hidden_group_size_z
      - .offset:         82
        .size:           2
        .value_kind:     hidden_remainder_x
      - .offset:         84
        .size:           2
        .value_kind:     hidden_remainder_y
      - .offset:         86
        .size:           2
        .value_kind:     hidden_remainder_z
      - .offset:         104
        .size:           8
        .value_kind:     hidden_global_offset_x
      - .offset:         112
        .size:           8
        .value_kind:     hidden_global_offset_y
      - .offset:         120
        .size:           8
        .value_kind:     hidden_global_offset_z
      - .offset:         128
        .size:           2
        .value_kind:     hidden_grid_dims
    .group_segment_fixed_size: 0
    .kernarg_segment_align: 8
    .kernarg_segment_size: 320
    .language:       OpenCL C
    .language_version:
      - 2
      - 0
    .max_flat_workgroup_size: 64
    .name:           _ZN2at6native12_GLOBAL__N_135GammaBetaBackwardCUDAKernelTemplateIffLj64ELj1ELj8ELb1ELb1ELb1EEEvllPKT_S5_PKT0_S8_PS3_S9_
    .private_segment_fixed_size: 0
    .sgpr_count:     34
    .sgpr_spill_count: 0
    .symbol:         _ZN2at6native12_GLOBAL__N_135GammaBetaBackwardCUDAKernelTemplateIffLj64ELj1ELj8ELb1ELb1ELb1EEEvllPKT_S5_PKT0_S8_PS3_S9_.kd
    .uniform_work_group_size: 1
    .uses_dynamic_stack: false
    .vgpr_count:     24
    .vgpr_spill_count: 0
    .wavefront_size: 64
  - .args:
      - .offset:         0
        .size:           8
        .value_kind:     by_value
      - .offset:         8
        .size:           8
        .value_kind:     by_value
      - .actual_access:  read_only
        .address_space:  global
        .offset:         16
        .size:           8
        .value_kind:     global_buffer
      - .actual_access:  read_only
        .address_space:  global
        .offset:         24
        .size:           8
        .value_kind:     global_buffer
      - .actual_access:  read_only
        .address_space:  global
        .offset:         32
        .size:           8
        .value_kind:     global_buffer
      - .actual_access:  read_only
        .address_space:  global
        .offset:         40
        .size:           8
        .value_kind:     global_buffer
      - .actual_access:  write_only
        .address_space:  global
        .offset:         48
        .size:           8
        .value_kind:     global_buffer
      - .actual_access:  read_only
        .address_space:  global
        .offset:         56
        .size:           8
        .value_kind:     global_buffer
      - .offset:         64
        .size:           4
        .value_kind:     hidden_block_count_x
      - .offset:         68
        .size:           4
        .value_kind:     hidden_block_count_y
      - .offset:         72
        .size:           4
        .value_kind:     hidden_block_count_z
      - .offset:         76
        .size:           2
        .value_kind:     hidden_group_size_x
      - .offset:         78
        .size:           2
        .value_kind:     hidden_group_size_y
      - .offset:         80
        .size:           2
        .value_kind:     hidden_group_size_z
      - .offset:         82
        .size:           2
        .value_kind:     hidden_remainder_x
      - .offset:         84
        .size:           2
        .value_kind:     hidden_remainder_y
      - .offset:         86
        .size:           2
        .value_kind:     hidden_remainder_z
      - .offset:         104
        .size:           8
        .value_kind:     hidden_global_offset_x
      - .offset:         112
        .size:           8
        .value_kind:     hidden_global_offset_y
      - .offset:         120
        .size:           8
        .value_kind:     hidden_global_offset_z
      - .offset:         128
        .size:           2
        .value_kind:     hidden_grid_dims
    .group_segment_fixed_size: 0
    .kernarg_segment_align: 8
    .kernarg_segment_size: 320
    .language:       OpenCL C
    .language_version:
      - 2
      - 0
    .max_flat_workgroup_size: 64
    .name:           _ZN2at6native12_GLOBAL__N_135GammaBetaBackwardCUDAKernelTemplateIffLj64ELj1ELj8ELb1ELb0ELb1EEEvllPKT_S5_PKT0_S8_PS3_S9_
    .private_segment_fixed_size: 0
    .sgpr_count:     40
    .sgpr_spill_count: 0
    .symbol:         _ZN2at6native12_GLOBAL__N_135GammaBetaBackwardCUDAKernelTemplateIffLj64ELj1ELj8ELb1ELb0ELb1EEEvllPKT_S5_PKT0_S8_PS3_S9_.kd
    .uniform_work_group_size: 1
    .uses_dynamic_stack: false
    .vgpr_count:     91
    .vgpr_spill_count: 0
    .wavefront_size: 64
  - .args:
      - .offset:         0
        .size:           8
        .value_kind:     by_value
      - .offset:         8
        .size:           8
        .value_kind:     by_value
      - .actual_access:  read_only
        .address_space:  global
        .offset:         16
        .size:           8
        .value_kind:     global_buffer
      - .actual_access:  read_only
        .address_space:  global
        .offset:         24
        .size:           8
        .value_kind:     global_buffer
      - .actual_access:  read_only
        .address_space:  global
        .offset:         32
        .size:           8
        .value_kind:     global_buffer
      - .actual_access:  read_only
        .address_space:  global
        .offset:         40
        .size:           8
        .value_kind:     global_buffer
      - .actual_access:  write_only
        .address_space:  global
        .offset:         48
        .size:           8
        .value_kind:     global_buffer
      - .actual_access:  read_only
        .address_space:  global
        .offset:         56
        .size:           8
        .value_kind:     global_buffer
      - .offset:         64
        .size:           4
        .value_kind:     hidden_block_count_x
      - .offset:         68
        .size:           4
        .value_kind:     hidden_block_count_y
      - .offset:         72
        .size:           4
        .value_kind:     hidden_block_count_z
      - .offset:         76
        .size:           2
        .value_kind:     hidden_group_size_x
      - .offset:         78
        .size:           2
        .value_kind:     hidden_group_size_y
      - .offset:         80
        .size:           2
        .value_kind:     hidden_group_size_z
      - .offset:         82
        .size:           2
        .value_kind:     hidden_remainder_x
      - .offset:         84
        .size:           2
        .value_kind:     hidden_remainder_y
      - .offset:         86
        .size:           2
        .value_kind:     hidden_remainder_z
      - .offset:         104
        .size:           8
        .value_kind:     hidden_global_offset_x
      - .offset:         112
        .size:           8
        .value_kind:     hidden_global_offset_y
      - .offset:         120
        .size:           8
        .value_kind:     hidden_global_offset_z
      - .offset:         128
        .size:           2
        .value_kind:     hidden_grid_dims
      - .offset:         184
        .size:           4
        .value_kind:     hidden_dynamic_lds_size
    .group_segment_fixed_size: 0
    .kernarg_segment_align: 8
    .kernarg_segment_size: 320
    .language:       OpenCL C
    .language_version:
      - 2
      - 0
    .max_flat_workgroup_size: 512
    .name:           _ZN2at6native12_GLOBAL__N_135GammaBetaBackwardCUDAKernelTemplateIffLj64ELj8ELj64ELb0ELb1ELb1EEEvllPKT_S5_PKT0_S8_PS3_S9_
    .private_segment_fixed_size: 0
    .sgpr_count:     30
    .sgpr_spill_count: 0
    .symbol:         _ZN2at6native12_GLOBAL__N_135GammaBetaBackwardCUDAKernelTemplateIffLj64ELj8ELj64ELb0ELb1ELb1EEEvllPKT_S5_PKT0_S8_PS3_S9_.kd
    .uniform_work_group_size: 1
    .uses_dynamic_stack: false
    .vgpr_count:     23
    .vgpr_spill_count: 0
    .wavefront_size: 64
  - .args:
      - .offset:         0
        .size:           8
        .value_kind:     by_value
      - .offset:         8
        .size:           8
        .value_kind:     by_value
      - .actual_access:  read_only
        .address_space:  global
        .offset:         16
        .size:           8
        .value_kind:     global_buffer
      - .actual_access:  read_only
        .address_space:  global
        .offset:         24
        .size:           8
        .value_kind:     global_buffer
      - .actual_access:  read_only
        .address_space:  global
        .offset:         32
        .size:           8
        .value_kind:     global_buffer
      - .actual_access:  read_only
        .address_space:  global
        .offset:         40
        .size:           8
        .value_kind:     global_buffer
      - .actual_access:  write_only
        .address_space:  global
        .offset:         48
        .size:           8
        .value_kind:     global_buffer
      - .actual_access:  read_only
        .address_space:  global
        .offset:         56
        .size:           8
        .value_kind:     global_buffer
      - .offset:         64
        .size:           4
        .value_kind:     hidden_block_count_x
      - .offset:         68
        .size:           4
        .value_kind:     hidden_block_count_y
      - .offset:         72
        .size:           4
        .value_kind:     hidden_block_count_z
      - .offset:         76
        .size:           2
        .value_kind:     hidden_group_size_x
      - .offset:         78
        .size:           2
        .value_kind:     hidden_group_size_y
      - .offset:         80
        .size:           2
        .value_kind:     hidden_group_size_z
      - .offset:         82
        .size:           2
        .value_kind:     hidden_remainder_x
      - .offset:         84
        .size:           2
        .value_kind:     hidden_remainder_y
      - .offset:         86
        .size:           2
        .value_kind:     hidden_remainder_z
      - .offset:         104
        .size:           8
        .value_kind:     hidden_global_offset_x
      - .offset:         112
        .size:           8
        .value_kind:     hidden_global_offset_y
      - .offset:         120
        .size:           8
        .value_kind:     hidden_global_offset_z
      - .offset:         128
        .size:           2
        .value_kind:     hidden_grid_dims
      - .offset:         184
        .size:           4
        .value_kind:     hidden_dynamic_lds_size
    .group_segment_fixed_size: 0
    .kernarg_segment_align: 8
    .kernarg_segment_size: 320
    .language:       OpenCL C
    .language_version:
      - 2
      - 0
    .max_flat_workgroup_size: 512
    .name:           _ZN2at6native12_GLOBAL__N_135GammaBetaBackwardCUDAKernelTemplateIffLj64ELj8ELj64ELb0ELb0ELb1EEEvllPKT_S5_PKT0_S8_PS3_S9_
    .private_segment_fixed_size: 0
    .sgpr_count:     38
    .sgpr_spill_count: 0
    .symbol:         _ZN2at6native12_GLOBAL__N_135GammaBetaBackwardCUDAKernelTemplateIffLj64ELj8ELj64ELb0ELb0ELb1EEEvllPKT_S5_PKT0_S8_PS3_S9_.kd
    .uniform_work_group_size: 1
    .uses_dynamic_stack: false
    .vgpr_count:     90
    .vgpr_spill_count: 0
    .wavefront_size: 64
  - .args:
      - .offset:         0
        .size:           8
        .value_kind:     by_value
      - .offset:         8
        .size:           8
        .value_kind:     by_value
      - .actual_access:  read_only
        .address_space:  global
        .offset:         16
        .size:           8
        .value_kind:     global_buffer
      - .actual_access:  read_only
        .address_space:  global
        .offset:         24
        .size:           8
        .value_kind:     global_buffer
      - .actual_access:  read_only
        .address_space:  global
        .offset:         32
        .size:           8
        .value_kind:     global_buffer
      - .actual_access:  read_only
        .address_space:  global
        .offset:         40
        .size:           8
        .value_kind:     global_buffer
      - .actual_access:  write_only
        .address_space:  global
        .offset:         48
        .size:           8
        .value_kind:     global_buffer
      - .actual_access:  read_only
        .address_space:  global
        .offset:         56
        .size:           8
        .value_kind:     global_buffer
      - .offset:         64
        .size:           4
        .value_kind:     hidden_block_count_x
      - .offset:         68
        .size:           4
        .value_kind:     hidden_block_count_y
      - .offset:         72
        .size:           4
        .value_kind:     hidden_block_count_z
      - .offset:         76
        .size:           2
        .value_kind:     hidden_group_size_x
      - .offset:         78
        .size:           2
        .value_kind:     hidden_group_size_y
      - .offset:         80
        .size:           2
        .value_kind:     hidden_group_size_z
      - .offset:         82
        .size:           2
        .value_kind:     hidden_remainder_x
      - .offset:         84
        .size:           2
        .value_kind:     hidden_remainder_y
      - .offset:         86
        .size:           2
        .value_kind:     hidden_remainder_z
      - .offset:         104
        .size:           8
        .value_kind:     hidden_global_offset_x
      - .offset:         112
        .size:           8
        .value_kind:     hidden_global_offset_y
      - .offset:         120
        .size:           8
        .value_kind:     hidden_global_offset_z
      - .offset:         128
        .size:           2
        .value_kind:     hidden_grid_dims
      - .offset:         184
        .size:           4
        .value_kind:     hidden_dynamic_lds_size
    .group_segment_fixed_size: 0
    .kernarg_segment_align: 8
    .kernarg_segment_size: 320
    .language:       OpenCL C
    .language_version:
      - 2
      - 0
    .max_flat_workgroup_size: 1024
    .name:           _ZN2at6native12_GLOBAL__N_135GammaBetaBackwardCUDAKernelTemplateIffLj64ELj16ELj128ELb0ELb1ELb1EEEvllPKT_S5_PKT0_S8_PS3_S9_
    .private_segment_fixed_size: 0
    .sgpr_count:     30
    .sgpr_spill_count: 0
    .symbol:         _ZN2at6native12_GLOBAL__N_135GammaBetaBackwardCUDAKernelTemplateIffLj64ELj16ELj128ELb0ELb1ELb1EEEvllPKT_S5_PKT0_S8_PS3_S9_.kd
    .uniform_work_group_size: 1
    .uses_dynamic_stack: false
    .vgpr_count:     23
    .vgpr_spill_count: 0
    .wavefront_size: 64
  - .args:
      - .offset:         0
        .size:           8
        .value_kind:     by_value
      - .offset:         8
        .size:           8
        .value_kind:     by_value
      - .actual_access:  read_only
        .address_space:  global
        .offset:         16
        .size:           8
        .value_kind:     global_buffer
      - .actual_access:  read_only
        .address_space:  global
        .offset:         24
        .size:           8
        .value_kind:     global_buffer
      - .actual_access:  read_only
        .address_space:  global
        .offset:         32
        .size:           8
        .value_kind:     global_buffer
      - .actual_access:  read_only
        .address_space:  global
        .offset:         40
        .size:           8
        .value_kind:     global_buffer
      - .actual_access:  write_only
        .address_space:  global
        .offset:         48
        .size:           8
        .value_kind:     global_buffer
      - .actual_access:  read_only
        .address_space:  global
        .offset:         56
        .size:           8
        .value_kind:     global_buffer
      - .offset:         64
        .size:           4
        .value_kind:     hidden_block_count_x
      - .offset:         68
        .size:           4
        .value_kind:     hidden_block_count_y
      - .offset:         72
        .size:           4
        .value_kind:     hidden_block_count_z
      - .offset:         76
        .size:           2
        .value_kind:     hidden_group_size_x
      - .offset:         78
        .size:           2
        .value_kind:     hidden_group_size_y
      - .offset:         80
        .size:           2
        .value_kind:     hidden_group_size_z
      - .offset:         82
        .size:           2
        .value_kind:     hidden_remainder_x
      - .offset:         84
        .size:           2
        .value_kind:     hidden_remainder_y
      - .offset:         86
        .size:           2
        .value_kind:     hidden_remainder_z
      - .offset:         104
        .size:           8
        .value_kind:     hidden_global_offset_x
      - .offset:         112
        .size:           8
        .value_kind:     hidden_global_offset_y
      - .offset:         120
        .size:           8
        .value_kind:     hidden_global_offset_z
      - .offset:         128
        .size:           2
        .value_kind:     hidden_grid_dims
      - .offset:         184
        .size:           4
        .value_kind:     hidden_dynamic_lds_size
    .group_segment_fixed_size: 0
    .kernarg_segment_align: 8
    .kernarg_segment_size: 320
    .language:       OpenCL C
    .language_version:
      - 2
      - 0
    .max_flat_workgroup_size: 1024
    .name:           _ZN2at6native12_GLOBAL__N_135GammaBetaBackwardCUDAKernelTemplateIffLj64ELj16ELj128ELb0ELb0ELb1EEEvllPKT_S5_PKT0_S8_PS3_S9_
    .private_segment_fixed_size: 108
    .sgpr_count:     44
    .sgpr_spill_count: 0
    .symbol:         _ZN2at6native12_GLOBAL__N_135GammaBetaBackwardCUDAKernelTemplateIffLj64ELj16ELj128ELb0ELb0ELb1EEEvllPKT_S5_PKT0_S8_PS3_S9_.kd
    .uniform_work_group_size: 1
    .uses_dynamic_stack: false
    .vgpr_count:     64
    .vgpr_spill_count: 49
    .wavefront_size: 64
  - .args:
      - .offset:         0
        .size:           8
        .value_kind:     by_value
      - .offset:         8
        .size:           8
        .value_kind:     by_value
      - .actual_access:  read_only
        .address_space:  global
        .offset:         16
        .size:           8
        .value_kind:     global_buffer
      - .actual_access:  read_only
        .address_space:  global
        .offset:         24
        .size:           8
        .value_kind:     global_buffer
      - .actual_access:  read_only
        .address_space:  global
        .offset:         32
        .size:           8
        .value_kind:     global_buffer
      - .actual_access:  read_only
        .address_space:  global
        .offset:         40
        .size:           8
        .value_kind:     global_buffer
      - .actual_access:  write_only
        .address_space:  global
        .offset:         48
        .size:           8
        .value_kind:     global_buffer
      - .actual_access:  read_only
        .address_space:  global
        .offset:         56
        .size:           8
        .value_kind:     global_buffer
      - .offset:         64
        .size:           4
        .value_kind:     hidden_block_count_x
      - .offset:         68
        .size:           4
        .value_kind:     hidden_block_count_y
      - .offset:         72
        .size:           4
        .value_kind:     hidden_block_count_z
      - .offset:         76
        .size:           2
        .value_kind:     hidden_group_size_x
      - .offset:         78
        .size:           2
        .value_kind:     hidden_group_size_y
      - .offset:         80
        .size:           2
        .value_kind:     hidden_group_size_z
      - .offset:         82
        .size:           2
        .value_kind:     hidden_remainder_x
      - .offset:         84
        .size:           2
        .value_kind:     hidden_remainder_y
      - .offset:         86
        .size:           2
        .value_kind:     hidden_remainder_z
      - .offset:         104
        .size:           8
        .value_kind:     hidden_global_offset_x
      - .offset:         112
        .size:           8
        .value_kind:     hidden_global_offset_y
      - .offset:         120
        .size:           8
        .value_kind:     hidden_global_offset_z
      - .offset:         128
        .size:           2
        .value_kind:     hidden_grid_dims
      - .offset:         184
        .size:           4
        .value_kind:     hidden_dynamic_lds_size
    .group_segment_fixed_size: 0
    .kernarg_segment_align: 8
    .kernarg_segment_size: 320
    .language:       OpenCL C
    .language_version:
      - 2
      - 0
    .max_flat_workgroup_size: 1024
    .name:           _ZN2at6native12_GLOBAL__N_135GammaBetaBackwardCUDAKernelTemplateIffLj64ELj16ELj256ELb0ELb1ELb1EEEvllPKT_S5_PKT0_S8_PS3_S9_
    .private_segment_fixed_size: 0
    .sgpr_count:     30
    .sgpr_spill_count: 0
    .symbol:         _ZN2at6native12_GLOBAL__N_135GammaBetaBackwardCUDAKernelTemplateIffLj64ELj16ELj256ELb0ELb1ELb1EEEvllPKT_S5_PKT0_S8_PS3_S9_.kd
    .uniform_work_group_size: 1
    .uses_dynamic_stack: false
    .vgpr_count:     31
    .vgpr_spill_count: 0
    .wavefront_size: 64
  - .args:
      - .offset:         0
        .size:           8
        .value_kind:     by_value
      - .offset:         8
        .size:           8
        .value_kind:     by_value
      - .actual_access:  read_only
        .address_space:  global
        .offset:         16
        .size:           8
        .value_kind:     global_buffer
      - .actual_access:  read_only
        .address_space:  global
        .offset:         24
        .size:           8
        .value_kind:     global_buffer
      - .actual_access:  read_only
        .address_space:  global
        .offset:         32
        .size:           8
        .value_kind:     global_buffer
      - .actual_access:  read_only
        .address_space:  global
        .offset:         40
        .size:           8
        .value_kind:     global_buffer
      - .actual_access:  write_only
        .address_space:  global
        .offset:         48
        .size:           8
        .value_kind:     global_buffer
      - .actual_access:  read_only
        .address_space:  global
        .offset:         56
        .size:           8
        .value_kind:     global_buffer
      - .offset:         64
        .size:           4
        .value_kind:     hidden_block_count_x
      - .offset:         68
        .size:           4
        .value_kind:     hidden_block_count_y
      - .offset:         72
        .size:           4
        .value_kind:     hidden_block_count_z
      - .offset:         76
        .size:           2
        .value_kind:     hidden_group_size_x
      - .offset:         78
        .size:           2
        .value_kind:     hidden_group_size_y
      - .offset:         80
        .size:           2
        .value_kind:     hidden_group_size_z
      - .offset:         82
        .size:           2
        .value_kind:     hidden_remainder_x
      - .offset:         84
        .size:           2
        .value_kind:     hidden_remainder_y
      - .offset:         86
        .size:           2
        .value_kind:     hidden_remainder_z
      - .offset:         104
        .size:           8
        .value_kind:     hidden_global_offset_x
      - .offset:         112
        .size:           8
        .value_kind:     hidden_global_offset_y
      - .offset:         120
        .size:           8
        .value_kind:     hidden_global_offset_z
      - .offset:         128
        .size:           2
        .value_kind:     hidden_grid_dims
      - .offset:         184
        .size:           4
        .value_kind:     hidden_dynamic_lds_size
    .group_segment_fixed_size: 0
    .kernarg_segment_align: 8
    .kernarg_segment_size: 320
    .language:       OpenCL C
    .language_version:
      - 2
      - 0
    .max_flat_workgroup_size: 1024
    .name:           _ZN2at6native12_GLOBAL__N_135GammaBetaBackwardCUDAKernelTemplateIffLj64ELj16ELj256ELb0ELb0ELb1EEEvllPKT_S5_PKT0_S8_PS3_S9_
    .private_segment_fixed_size: 420
    .sgpr_count:     44
    .sgpr_spill_count: 0
    .symbol:         _ZN2at6native12_GLOBAL__N_135GammaBetaBackwardCUDAKernelTemplateIffLj64ELj16ELj256ELb0ELb0ELb1EEEvllPKT_S5_PKT0_S8_PS3_S9_.kd
    .uniform_work_group_size: 1
    .uses_dynamic_stack: false
    .vgpr_count:     64
    .vgpr_spill_count: 294
    .wavefront_size: 64
  - .args:
      - .offset:         0
        .size:           8
        .value_kind:     by_value
      - .offset:         8
        .size:           8
        .value_kind:     by_value
      - .actual_access:  read_only
        .address_space:  global
        .offset:         16
        .size:           8
        .value_kind:     global_buffer
      - .actual_access:  read_only
        .address_space:  global
        .offset:         24
        .size:           8
        .value_kind:     global_buffer
      - .actual_access:  read_only
        .address_space:  global
        .offset:         32
        .size:           8
        .value_kind:     global_buffer
      - .actual_access:  read_only
        .address_space:  global
        .offset:         40
        .size:           8
        .value_kind:     global_buffer
      - .actual_access:  write_only
        .address_space:  global
        .offset:         48
        .size:           8
        .value_kind:     global_buffer
      - .actual_access:  read_only
        .address_space:  global
        .offset:         56
        .size:           8
        .value_kind:     global_buffer
      - .offset:         64
        .size:           4
        .value_kind:     hidden_block_count_x
      - .offset:         68
        .size:           4
        .value_kind:     hidden_block_count_y
      - .offset:         72
        .size:           4
        .value_kind:     hidden_block_count_z
      - .offset:         76
        .size:           2
        .value_kind:     hidden_group_size_x
      - .offset:         78
        .size:           2
        .value_kind:     hidden_group_size_y
      - .offset:         80
        .size:           2
        .value_kind:     hidden_group_size_z
      - .offset:         82
        .size:           2
        .value_kind:     hidden_remainder_x
      - .offset:         84
        .size:           2
        .value_kind:     hidden_remainder_y
      - .offset:         86
        .size:           2
        .value_kind:     hidden_remainder_z
      - .offset:         104
        .size:           8
        .value_kind:     hidden_global_offset_x
      - .offset:         112
        .size:           8
        .value_kind:     hidden_global_offset_y
      - .offset:         120
        .size:           8
        .value_kind:     hidden_global_offset_z
      - .offset:         128
        .size:           2
        .value_kind:     hidden_grid_dims
    .group_segment_fixed_size: 0
    .kernarg_segment_align: 8
    .kernarg_segment_size: 320
    .language:       OpenCL C
    .language_version:
      - 2
      - 0
    .max_flat_workgroup_size: 32
    .name:           _ZN2at6native12_GLOBAL__N_135GammaBetaBackwardCUDAKernelTemplateIffLj32ELj1ELj32ELb1ELb1ELb1EEEvllPKT_S5_PKT0_S8_PS3_S9_
    .private_segment_fixed_size: 0
    .sgpr_count:     34
    .sgpr_spill_count: 0
    .symbol:         _ZN2at6native12_GLOBAL__N_135GammaBetaBackwardCUDAKernelTemplateIffLj32ELj1ELj32ELb1ELb1ELb1EEEvllPKT_S5_PKT0_S8_PS3_S9_.kd
    .uniform_work_group_size: 1
    .uses_dynamic_stack: false
    .vgpr_count:     48
    .vgpr_spill_count: 0
    .wavefront_size: 64
  - .args:
      - .offset:         0
        .size:           8
        .value_kind:     by_value
      - .offset:         8
        .size:           8
        .value_kind:     by_value
      - .actual_access:  read_only
        .address_space:  global
        .offset:         16
        .size:           8
        .value_kind:     global_buffer
      - .actual_access:  read_only
        .address_space:  global
        .offset:         24
        .size:           8
        .value_kind:     global_buffer
      - .actual_access:  read_only
        .address_space:  global
        .offset:         32
        .size:           8
        .value_kind:     global_buffer
      - .actual_access:  read_only
        .address_space:  global
        .offset:         40
        .size:           8
        .value_kind:     global_buffer
      - .actual_access:  write_only
        .address_space:  global
        .offset:         48
        .size:           8
        .value_kind:     global_buffer
      - .actual_access:  read_only
        .address_space:  global
        .offset:         56
        .size:           8
        .value_kind:     global_buffer
      - .offset:         64
        .size:           4
        .value_kind:     hidden_block_count_x
      - .offset:         68
        .size:           4
        .value_kind:     hidden_block_count_y
      - .offset:         72
        .size:           4
        .value_kind:     hidden_block_count_z
      - .offset:         76
        .size:           2
        .value_kind:     hidden_group_size_x
      - .offset:         78
        .size:           2
        .value_kind:     hidden_group_size_y
      - .offset:         80
        .size:           2
        .value_kind:     hidden_group_size_z
      - .offset:         82
        .size:           2
        .value_kind:     hidden_remainder_x
      - .offset:         84
        .size:           2
        .value_kind:     hidden_remainder_y
      - .offset:         86
        .size:           2
        .value_kind:     hidden_remainder_z
      - .offset:         104
        .size:           8
        .value_kind:     hidden_global_offset_x
      - .offset:         112
        .size:           8
        .value_kind:     hidden_global_offset_y
      - .offset:         120
        .size:           8
        .value_kind:     hidden_global_offset_z
      - .offset:         128
        .size:           2
        .value_kind:     hidden_grid_dims
    .group_segment_fixed_size: 0
    .kernarg_segment_align: 8
    .kernarg_segment_size: 320
    .language:       OpenCL C
    .language_version:
      - 2
      - 0
    .max_flat_workgroup_size: 32
    .name:           _ZN2at6native12_GLOBAL__N_135GammaBetaBackwardCUDAKernelTemplateIffLj32ELj1ELj32ELb1ELb0ELb1EEEvllPKT_S5_PKT0_S8_PS3_S9_
    .private_segment_fixed_size: 304
    .sgpr_count:     44
    .sgpr_spill_count: 0
    .symbol:         _ZN2at6native12_GLOBAL__N_135GammaBetaBackwardCUDAKernelTemplateIffLj32ELj1ELj32ELb1ELb0ELb1EEEvllPKT_S5_PKT0_S8_PS3_S9_.kd
    .uniform_work_group_size: 1
    .uses_dynamic_stack: false
    .vgpr_count:     256
    .vgpr_spill_count: 146
    .wavefront_size: 64
  - .args:
      - .offset:         0
        .size:           8
        .value_kind:     by_value
      - .offset:         8
        .size:           8
        .value_kind:     by_value
      - .actual_access:  read_only
        .address_space:  global
        .offset:         16
        .size:           8
        .value_kind:     global_buffer
      - .actual_access:  read_only
        .address_space:  global
        .offset:         24
        .size:           8
        .value_kind:     global_buffer
      - .actual_access:  read_only
        .address_space:  global
        .offset:         32
        .size:           8
        .value_kind:     global_buffer
      - .actual_access:  read_only
        .address_space:  global
        .offset:         40
        .size:           8
        .value_kind:     global_buffer
      - .actual_access:  write_only
        .address_space:  global
        .offset:         48
        .size:           8
        .value_kind:     global_buffer
      - .actual_access:  read_only
        .address_space:  global
        .offset:         56
        .size:           8
        .value_kind:     global_buffer
      - .offset:         64
        .size:           4
        .value_kind:     hidden_block_count_x
      - .offset:         68
        .size:           4
        .value_kind:     hidden_block_count_y
      - .offset:         72
        .size:           4
        .value_kind:     hidden_block_count_z
      - .offset:         76
        .size:           2
        .value_kind:     hidden_group_size_x
      - .offset:         78
        .size:           2
        .value_kind:     hidden_group_size_y
      - .offset:         80
        .size:           2
        .value_kind:     hidden_group_size_z
      - .offset:         82
        .size:           2
        .value_kind:     hidden_remainder_x
      - .offset:         84
        .size:           2
        .value_kind:     hidden_remainder_y
      - .offset:         86
        .size:           2
        .value_kind:     hidden_remainder_z
      - .offset:         104
        .size:           8
        .value_kind:     hidden_global_offset_x
      - .offset:         112
        .size:           8
        .value_kind:     hidden_global_offset_y
      - .offset:         120
        .size:           8
        .value_kind:     hidden_global_offset_z
      - .offset:         128
        .size:           2
        .value_kind:     hidden_grid_dims
    .group_segment_fixed_size: 0
    .kernarg_segment_align: 8
    .kernarg_segment_size: 320
    .language:       OpenCL C
    .language_version:
      - 2
      - 0
    .max_flat_workgroup_size: 32
    .name:           _ZN2at6native12_GLOBAL__N_135GammaBetaBackwardCUDAKernelTemplateIffLj32ELj1ELj8ELb1ELb1ELb1EEEvllPKT_S5_PKT0_S8_PS3_S9_
    .private_segment_fixed_size: 0
    .sgpr_count:     34
    .sgpr_spill_count: 0
    .symbol:         _ZN2at6native12_GLOBAL__N_135GammaBetaBackwardCUDAKernelTemplateIffLj32ELj1ELj8ELb1ELb1ELb1EEEvllPKT_S5_PKT0_S8_PS3_S9_.kd
    .uniform_work_group_size: 1
    .uses_dynamic_stack: false
    .vgpr_count:     24
    .vgpr_spill_count: 0
    .wavefront_size: 64
  - .args:
      - .offset:         0
        .size:           8
        .value_kind:     by_value
      - .offset:         8
        .size:           8
        .value_kind:     by_value
      - .actual_access:  read_only
        .address_space:  global
        .offset:         16
        .size:           8
        .value_kind:     global_buffer
      - .actual_access:  read_only
        .address_space:  global
        .offset:         24
        .size:           8
        .value_kind:     global_buffer
      - .actual_access:  read_only
        .address_space:  global
        .offset:         32
        .size:           8
        .value_kind:     global_buffer
      - .actual_access:  read_only
        .address_space:  global
        .offset:         40
        .size:           8
        .value_kind:     global_buffer
      - .actual_access:  write_only
        .address_space:  global
        .offset:         48
        .size:           8
        .value_kind:     global_buffer
      - .actual_access:  read_only
        .address_space:  global
        .offset:         56
        .size:           8
        .value_kind:     global_buffer
      - .offset:         64
        .size:           4
        .value_kind:     hidden_block_count_x
      - .offset:         68
        .size:           4
        .value_kind:     hidden_block_count_y
      - .offset:         72
        .size:           4
        .value_kind:     hidden_block_count_z
      - .offset:         76
        .size:           2
        .value_kind:     hidden_group_size_x
      - .offset:         78
        .size:           2
        .value_kind:     hidden_group_size_y
      - .offset:         80
        .size:           2
        .value_kind:     hidden_group_size_z
      - .offset:         82
        .size:           2
        .value_kind:     hidden_remainder_x
      - .offset:         84
        .size:           2
        .value_kind:     hidden_remainder_y
      - .offset:         86
        .size:           2
        .value_kind:     hidden_remainder_z
      - .offset:         104
        .size:           8
        .value_kind:     hidden_global_offset_x
      - .offset:         112
        .size:           8
        .value_kind:     hidden_global_offset_y
      - .offset:         120
        .size:           8
        .value_kind:     hidden_global_offset_z
      - .offset:         128
        .size:           2
        .value_kind:     hidden_grid_dims
    .group_segment_fixed_size: 0
    .kernarg_segment_align: 8
    .kernarg_segment_size: 320
    .language:       OpenCL C
    .language_version:
      - 2
      - 0
    .max_flat_workgroup_size: 32
    .name:           _ZN2at6native12_GLOBAL__N_135GammaBetaBackwardCUDAKernelTemplateIffLj32ELj1ELj8ELb1ELb0ELb1EEEvllPKT_S5_PKT0_S8_PS3_S9_
    .private_segment_fixed_size: 0
    .sgpr_count:     40
    .sgpr_spill_count: 0
    .symbol:         _ZN2at6native12_GLOBAL__N_135GammaBetaBackwardCUDAKernelTemplateIffLj32ELj1ELj8ELb1ELb0ELb1EEEvllPKT_S5_PKT0_S8_PS3_S9_.kd
    .uniform_work_group_size: 1
    .uses_dynamic_stack: false
    .vgpr_count:     91
    .vgpr_spill_count: 0
    .wavefront_size: 64
  - .args:
      - .offset:         0
        .size:           8
        .value_kind:     by_value
      - .offset:         8
        .size:           8
        .value_kind:     by_value
      - .actual_access:  read_only
        .address_space:  global
        .offset:         16
        .size:           8
        .value_kind:     global_buffer
      - .actual_access:  read_only
        .address_space:  global
        .offset:         24
        .size:           8
        .value_kind:     global_buffer
      - .actual_access:  read_only
        .address_space:  global
        .offset:         32
        .size:           8
        .value_kind:     global_buffer
      - .actual_access:  read_only
        .address_space:  global
        .offset:         40
        .size:           8
        .value_kind:     global_buffer
      - .actual_access:  write_only
        .address_space:  global
        .offset:         48
        .size:           8
        .value_kind:     global_buffer
      - .actual_access:  read_only
        .address_space:  global
        .offset:         56
        .size:           8
        .value_kind:     global_buffer
      - .offset:         64
        .size:           4
        .value_kind:     hidden_block_count_x
      - .offset:         68
        .size:           4
        .value_kind:     hidden_block_count_y
      - .offset:         72
        .size:           4
        .value_kind:     hidden_block_count_z
      - .offset:         76
        .size:           2
        .value_kind:     hidden_group_size_x
      - .offset:         78
        .size:           2
        .value_kind:     hidden_group_size_y
      - .offset:         80
        .size:           2
        .value_kind:     hidden_group_size_z
      - .offset:         82
        .size:           2
        .value_kind:     hidden_remainder_x
      - .offset:         84
        .size:           2
        .value_kind:     hidden_remainder_y
      - .offset:         86
        .size:           2
        .value_kind:     hidden_remainder_z
      - .offset:         104
        .size:           8
        .value_kind:     hidden_global_offset_x
      - .offset:         112
        .size:           8
        .value_kind:     hidden_global_offset_y
      - .offset:         120
        .size:           8
        .value_kind:     hidden_global_offset_z
      - .offset:         128
        .size:           2
        .value_kind:     hidden_grid_dims
      - .offset:         184
        .size:           4
        .value_kind:     hidden_dynamic_lds_size
    .group_segment_fixed_size: 0
    .kernarg_segment_align: 8
    .kernarg_segment_size: 320
    .language:       OpenCL C
    .language_version:
      - 2
      - 0
    .max_flat_workgroup_size: 256
    .name:           _ZN2at6native12_GLOBAL__N_135GammaBetaBackwardCUDAKernelTemplateIffLj32ELj8ELj64ELb0ELb1ELb1EEEvllPKT_S5_PKT0_S8_PS3_S9_
    .private_segment_fixed_size: 0
    .sgpr_count:     30
    .sgpr_spill_count: 0
    .symbol:         _ZN2at6native12_GLOBAL__N_135GammaBetaBackwardCUDAKernelTemplateIffLj32ELj8ELj64ELb0ELb1ELb1EEEvllPKT_S5_PKT0_S8_PS3_S9_.kd
    .uniform_work_group_size: 1
    .uses_dynamic_stack: false
    .vgpr_count:     23
    .vgpr_spill_count: 0
    .wavefront_size: 64
  - .args:
      - .offset:         0
        .size:           8
        .value_kind:     by_value
      - .offset:         8
        .size:           8
        .value_kind:     by_value
      - .actual_access:  read_only
        .address_space:  global
        .offset:         16
        .size:           8
        .value_kind:     global_buffer
      - .actual_access:  read_only
        .address_space:  global
        .offset:         24
        .size:           8
        .value_kind:     global_buffer
      - .actual_access:  read_only
        .address_space:  global
        .offset:         32
        .size:           8
        .value_kind:     global_buffer
      - .actual_access:  read_only
        .address_space:  global
        .offset:         40
        .size:           8
        .value_kind:     global_buffer
      - .actual_access:  write_only
        .address_space:  global
        .offset:         48
        .size:           8
        .value_kind:     global_buffer
      - .actual_access:  read_only
        .address_space:  global
        .offset:         56
        .size:           8
        .value_kind:     global_buffer
      - .offset:         64
        .size:           4
        .value_kind:     hidden_block_count_x
      - .offset:         68
        .size:           4
        .value_kind:     hidden_block_count_y
      - .offset:         72
        .size:           4
        .value_kind:     hidden_block_count_z
      - .offset:         76
        .size:           2
        .value_kind:     hidden_group_size_x
      - .offset:         78
        .size:           2
        .value_kind:     hidden_group_size_y
      - .offset:         80
        .size:           2
        .value_kind:     hidden_group_size_z
      - .offset:         82
        .size:           2
        .value_kind:     hidden_remainder_x
      - .offset:         84
        .size:           2
        .value_kind:     hidden_remainder_y
      - .offset:         86
        .size:           2
        .value_kind:     hidden_remainder_z
      - .offset:         104
        .size:           8
        .value_kind:     hidden_global_offset_x
      - .offset:         112
        .size:           8
        .value_kind:     hidden_global_offset_y
      - .offset:         120
        .size:           8
        .value_kind:     hidden_global_offset_z
      - .offset:         128
        .size:           2
        .value_kind:     hidden_grid_dims
      - .offset:         184
        .size:           4
        .value_kind:     hidden_dynamic_lds_size
    .group_segment_fixed_size: 0
    .kernarg_segment_align: 8
    .kernarg_segment_size: 320
    .language:       OpenCL C
    .language_version:
      - 2
      - 0
    .max_flat_workgroup_size: 256
    .name:           _ZN2at6native12_GLOBAL__N_135GammaBetaBackwardCUDAKernelTemplateIffLj32ELj8ELj64ELb0ELb0ELb1EEEvllPKT_S5_PKT0_S8_PS3_S9_
    .private_segment_fixed_size: 0
    .sgpr_count:     38
    .sgpr_spill_count: 0
    .symbol:         _ZN2at6native12_GLOBAL__N_135GammaBetaBackwardCUDAKernelTemplateIffLj32ELj8ELj64ELb0ELb0ELb1EEEvllPKT_S5_PKT0_S8_PS3_S9_.kd
    .uniform_work_group_size: 1
    .uses_dynamic_stack: false
    .vgpr_count:     90
    .vgpr_spill_count: 0
    .wavefront_size: 64
  - .args:
      - .offset:         0
        .size:           8
        .value_kind:     by_value
      - .offset:         8
        .size:           8
        .value_kind:     by_value
      - .actual_access:  read_only
        .address_space:  global
        .offset:         16
        .size:           8
        .value_kind:     global_buffer
      - .actual_access:  read_only
        .address_space:  global
        .offset:         24
        .size:           8
        .value_kind:     global_buffer
      - .actual_access:  read_only
        .address_space:  global
        .offset:         32
        .size:           8
        .value_kind:     global_buffer
      - .actual_access:  read_only
        .address_space:  global
        .offset:         40
        .size:           8
        .value_kind:     global_buffer
      - .actual_access:  write_only
        .address_space:  global
        .offset:         48
        .size:           8
        .value_kind:     global_buffer
      - .actual_access:  read_only
        .address_space:  global
        .offset:         56
        .size:           8
        .value_kind:     global_buffer
      - .offset:         64
        .size:           4
        .value_kind:     hidden_block_count_x
      - .offset:         68
        .size:           4
        .value_kind:     hidden_block_count_y
      - .offset:         72
        .size:           4
        .value_kind:     hidden_block_count_z
      - .offset:         76
        .size:           2
        .value_kind:     hidden_group_size_x
      - .offset:         78
        .size:           2
        .value_kind:     hidden_group_size_y
      - .offset:         80
        .size:           2
        .value_kind:     hidden_group_size_z
      - .offset:         82
        .size:           2
        .value_kind:     hidden_remainder_x
      - .offset:         84
        .size:           2
        .value_kind:     hidden_remainder_y
      - .offset:         86
        .size:           2
        .value_kind:     hidden_remainder_z
      - .offset:         104
        .size:           8
        .value_kind:     hidden_global_offset_x
      - .offset:         112
        .size:           8
        .value_kind:     hidden_global_offset_y
      - .offset:         120
        .size:           8
        .value_kind:     hidden_global_offset_z
      - .offset:         128
        .size:           2
        .value_kind:     hidden_grid_dims
      - .offset:         184
        .size:           4
        .value_kind:     hidden_dynamic_lds_size
    .group_segment_fixed_size: 0
    .kernarg_segment_align: 8
    .kernarg_segment_size: 320
    .language:       OpenCL C
    .language_version:
      - 2
      - 0
    .max_flat_workgroup_size: 512
    .name:           _ZN2at6native12_GLOBAL__N_135GammaBetaBackwardCUDAKernelTemplateIffLj32ELj16ELj128ELb0ELb1ELb1EEEvllPKT_S5_PKT0_S8_PS3_S9_
    .private_segment_fixed_size: 0
    .sgpr_count:     30
    .sgpr_spill_count: 0
    .symbol:         _ZN2at6native12_GLOBAL__N_135GammaBetaBackwardCUDAKernelTemplateIffLj32ELj16ELj128ELb0ELb1ELb1EEEvllPKT_S5_PKT0_S8_PS3_S9_.kd
    .uniform_work_group_size: 1
    .uses_dynamic_stack: false
    .vgpr_count:     23
    .vgpr_spill_count: 0
    .wavefront_size: 64
  - .args:
      - .offset:         0
        .size:           8
        .value_kind:     by_value
      - .offset:         8
        .size:           8
        .value_kind:     by_value
      - .actual_access:  read_only
        .address_space:  global
        .offset:         16
        .size:           8
        .value_kind:     global_buffer
      - .actual_access:  read_only
        .address_space:  global
        .offset:         24
        .size:           8
        .value_kind:     global_buffer
      - .actual_access:  read_only
        .address_space:  global
        .offset:         32
        .size:           8
        .value_kind:     global_buffer
      - .actual_access:  read_only
        .address_space:  global
        .offset:         40
        .size:           8
        .value_kind:     global_buffer
      - .actual_access:  write_only
        .address_space:  global
        .offset:         48
        .size:           8
        .value_kind:     global_buffer
      - .actual_access:  read_only
        .address_space:  global
        .offset:         56
        .size:           8
        .value_kind:     global_buffer
      - .offset:         64
        .size:           4
        .value_kind:     hidden_block_count_x
      - .offset:         68
        .size:           4
        .value_kind:     hidden_block_count_y
      - .offset:         72
        .size:           4
        .value_kind:     hidden_block_count_z
      - .offset:         76
        .size:           2
        .value_kind:     hidden_group_size_x
      - .offset:         78
        .size:           2
        .value_kind:     hidden_group_size_y
      - .offset:         80
        .size:           2
        .value_kind:     hidden_group_size_z
      - .offset:         82
        .size:           2
        .value_kind:     hidden_remainder_x
      - .offset:         84
        .size:           2
        .value_kind:     hidden_remainder_y
      - .offset:         86
        .size:           2
        .value_kind:     hidden_remainder_z
      - .offset:         104
        .size:           8
        .value_kind:     hidden_global_offset_x
      - .offset:         112
        .size:           8
        .value_kind:     hidden_global_offset_y
      - .offset:         120
        .size:           8
        .value_kind:     hidden_global_offset_z
      - .offset:         128
        .size:           2
        .value_kind:     hidden_grid_dims
      - .offset:         184
        .size:           4
        .value_kind:     hidden_dynamic_lds_size
    .group_segment_fixed_size: 0
    .kernarg_segment_align: 8
    .kernarg_segment_size: 320
    .language:       OpenCL C
    .language_version:
      - 2
      - 0
    .max_flat_workgroup_size: 512
    .name:           _ZN2at6native12_GLOBAL__N_135GammaBetaBackwardCUDAKernelTemplateIffLj32ELj16ELj128ELb0ELb0ELb1EEEvllPKT_S5_PKT0_S8_PS3_S9_
    .private_segment_fixed_size: 0
    .sgpr_count:     38
    .sgpr_spill_count: 0
    .symbol:         _ZN2at6native12_GLOBAL__N_135GammaBetaBackwardCUDAKernelTemplateIffLj32ELj16ELj128ELb0ELb0ELb1EEEvllPKT_S5_PKT0_S8_PS3_S9_.kd
    .uniform_work_group_size: 1
    .uses_dynamic_stack: false
    .vgpr_count:     90
    .vgpr_spill_count: 0
    .wavefront_size: 64
  - .args:
      - .offset:         0
        .size:           8
        .value_kind:     by_value
      - .offset:         8
        .size:           8
        .value_kind:     by_value
      - .actual_access:  read_only
        .address_space:  global
        .offset:         16
        .size:           8
        .value_kind:     global_buffer
      - .actual_access:  read_only
        .address_space:  global
        .offset:         24
        .size:           8
        .value_kind:     global_buffer
      - .actual_access:  read_only
        .address_space:  global
        .offset:         32
        .size:           8
        .value_kind:     global_buffer
      - .actual_access:  read_only
        .address_space:  global
        .offset:         40
        .size:           8
        .value_kind:     global_buffer
      - .actual_access:  write_only
        .address_space:  global
        .offset:         48
        .size:           8
        .value_kind:     global_buffer
      - .actual_access:  read_only
        .address_space:  global
        .offset:         56
        .size:           8
        .value_kind:     global_buffer
      - .offset:         64
        .size:           4
        .value_kind:     hidden_block_count_x
      - .offset:         68
        .size:           4
        .value_kind:     hidden_block_count_y
      - .offset:         72
        .size:           4
        .value_kind:     hidden_block_count_z
      - .offset:         76
        .size:           2
        .value_kind:     hidden_group_size_x
      - .offset:         78
        .size:           2
        .value_kind:     hidden_group_size_y
      - .offset:         80
        .size:           2
        .value_kind:     hidden_group_size_z
      - .offset:         82
        .size:           2
        .value_kind:     hidden_remainder_x
      - .offset:         84
        .size:           2
        .value_kind:     hidden_remainder_y
      - .offset:         86
        .size:           2
        .value_kind:     hidden_remainder_z
      - .offset:         104
        .size:           8
        .value_kind:     hidden_global_offset_x
      - .offset:         112
        .size:           8
        .value_kind:     hidden_global_offset_y
      - .offset:         120
        .size:           8
        .value_kind:     hidden_global_offset_z
      - .offset:         128
        .size:           2
        .value_kind:     hidden_grid_dims
      - .offset:         184
        .size:           4
        .value_kind:     hidden_dynamic_lds_size
    .group_segment_fixed_size: 0
    .kernarg_segment_align: 8
    .kernarg_segment_size: 320
    .language:       OpenCL C
    .language_version:
      - 2
      - 0
    .max_flat_workgroup_size: 1024
    .name:           _ZN2at6native12_GLOBAL__N_135GammaBetaBackwardCUDAKernelTemplateIffLj32ELj32ELj256ELb0ELb1ELb1EEEvllPKT_S5_PKT0_S8_PS3_S9_
    .private_segment_fixed_size: 0
    .sgpr_count:     30
    .sgpr_spill_count: 0
    .symbol:         _ZN2at6native12_GLOBAL__N_135GammaBetaBackwardCUDAKernelTemplateIffLj32ELj32ELj256ELb0ELb1ELb1EEEvllPKT_S5_PKT0_S8_PS3_S9_.kd
    .uniform_work_group_size: 1
    .uses_dynamic_stack: false
    .vgpr_count:     23
    .vgpr_spill_count: 0
    .wavefront_size: 64
  - .args:
      - .offset:         0
        .size:           8
        .value_kind:     by_value
      - .offset:         8
        .size:           8
        .value_kind:     by_value
      - .actual_access:  read_only
        .address_space:  global
        .offset:         16
        .size:           8
        .value_kind:     global_buffer
      - .actual_access:  read_only
        .address_space:  global
        .offset:         24
        .size:           8
        .value_kind:     global_buffer
      - .actual_access:  read_only
        .address_space:  global
        .offset:         32
        .size:           8
        .value_kind:     global_buffer
      - .actual_access:  read_only
        .address_space:  global
        .offset:         40
        .size:           8
        .value_kind:     global_buffer
      - .actual_access:  write_only
        .address_space:  global
        .offset:         48
        .size:           8
        .value_kind:     global_buffer
      - .actual_access:  read_only
        .address_space:  global
        .offset:         56
        .size:           8
        .value_kind:     global_buffer
      - .offset:         64
        .size:           4
        .value_kind:     hidden_block_count_x
      - .offset:         68
        .size:           4
        .value_kind:     hidden_block_count_y
      - .offset:         72
        .size:           4
        .value_kind:     hidden_block_count_z
      - .offset:         76
        .size:           2
        .value_kind:     hidden_group_size_x
      - .offset:         78
        .size:           2
        .value_kind:     hidden_group_size_y
      - .offset:         80
        .size:           2
        .value_kind:     hidden_group_size_z
      - .offset:         82
        .size:           2
        .value_kind:     hidden_remainder_x
      - .offset:         84
        .size:           2
        .value_kind:     hidden_remainder_y
      - .offset:         86
        .size:           2
        .value_kind:     hidden_remainder_z
      - .offset:         104
        .size:           8
        .value_kind:     hidden_global_offset_x
      - .offset:         112
        .size:           8
        .value_kind:     hidden_global_offset_y
      - .offset:         120
        .size:           8
        .value_kind:     hidden_global_offset_z
      - .offset:         128
        .size:           2
        .value_kind:     hidden_grid_dims
      - .offset:         184
        .size:           4
        .value_kind:     hidden_dynamic_lds_size
    .group_segment_fixed_size: 0
    .kernarg_segment_align: 8
    .kernarg_segment_size: 320
    .language:       OpenCL C
    .language_version:
      - 2
      - 0
    .max_flat_workgroup_size: 1024
    .name:           _ZN2at6native12_GLOBAL__N_135GammaBetaBackwardCUDAKernelTemplateIffLj32ELj32ELj256ELb0ELb0ELb1EEEvllPKT_S5_PKT0_S8_PS3_S9_
    .private_segment_fixed_size: 108
    .sgpr_count:     44
    .sgpr_spill_count: 0
    .symbol:         _ZN2at6native12_GLOBAL__N_135GammaBetaBackwardCUDAKernelTemplateIffLj32ELj32ELj256ELb0ELb0ELb1EEEvllPKT_S5_PKT0_S8_PS3_S9_.kd
    .uniform_work_group_size: 1
    .uses_dynamic_stack: false
    .vgpr_count:     64
    .vgpr_spill_count: 49
    .wavefront_size: 64
  - .args:
      - .actual_access:  read_only
        .address_space:  global
        .offset:         0
        .size:           8
        .value_kind:     global_buffer
      - .actual_access:  read_only
        .address_space:  global
        .offset:         8
        .size:           8
        .value_kind:     global_buffer
      - .offset:         16
        .size:           8
        .value_kind:     by_value
      - .offset:         24
        .size:           8
        .value_kind:     by_value
      - .actual_access:  read_only
        .address_space:  global
        .offset:         32
        .size:           8
        .value_kind:     global_buffer
      - .actual_access:  read_only
        .address_space:  global
        .offset:         40
        .size:           8
        .value_kind:     global_buffer
      - .address_space:  global
        .offset:         48
        .size:           8
        .value_kind:     global_buffer
      - .address_space:  global
        .offset:         56
        .size:           8
        .value_kind:     global_buffer
      - .offset:         64
        .size:           4
        .value_kind:     hidden_block_count_x
      - .offset:         68
        .size:           4
        .value_kind:     hidden_block_count_y
      - .offset:         72
        .size:           4
        .value_kind:     hidden_block_count_z
      - .offset:         76
        .size:           2
        .value_kind:     hidden_group_size_x
      - .offset:         78
        .size:           2
        .value_kind:     hidden_group_size_y
      - .offset:         80
        .size:           2
        .value_kind:     hidden_group_size_z
      - .offset:         82
        .size:           2
        .value_kind:     hidden_remainder_x
      - .offset:         84
        .size:           2
        .value_kind:     hidden_remainder_y
      - .offset:         86
        .size:           2
        .value_kind:     hidden_remainder_z
      - .offset:         104
        .size:           8
        .value_kind:     hidden_global_offset_x
      - .offset:         112
        .size:           8
        .value_kind:     hidden_global_offset_y
      - .offset:         120
        .size:           8
        .value_kind:     hidden_global_offset_z
      - .offset:         128
        .size:           2
        .value_kind:     hidden_grid_dims
      - .offset:         184
        .size:           4
        .value_kind:     hidden_dynamic_lds_size
    .group_segment_fixed_size: 0
    .kernarg_segment_align: 8
    .kernarg_segment_size: 320
    .language:       OpenCL C
    .language_version:
      - 2
      - 0
    .max_flat_workgroup_size: 1024
    .name:           _ZN2at6native12_GLOBAL__N_118cuComputeGradInputIN3c104HalfEfLb1EEEvPKT_S7_llPKT0_SA_S7_PS5_
    .private_segment_fixed_size: 0
    .sgpr_count:     52
    .sgpr_spill_count: 0
    .symbol:         _ZN2at6native12_GLOBAL__N_118cuComputeGradInputIN3c104HalfEfLb1EEEvPKT_S7_llPKT0_SA_S7_PS5_.kd
    .uniform_work_group_size: 1
    .uses_dynamic_stack: false
    .vgpr_count:     24
    .vgpr_spill_count: 0
    .wavefront_size: 64
  - .args:
      - .actual_access:  read_only
        .address_space:  global
        .offset:         0
        .size:           8
        .value_kind:     global_buffer
      - .actual_access:  read_only
        .address_space:  global
        .offset:         8
        .size:           8
        .value_kind:     global_buffer
      - .actual_access:  read_only
        .address_space:  global
        .offset:         16
        .size:           8
        .value_kind:     global_buffer
      - .actual_access:  read_only
        .address_space:  global
        .offset:         24
        .size:           8
        .value_kind:     global_buffer
      - .actual_access:  read_only
        .address_space:  global
        .offset:         32
        .size:           8
        .value_kind:     global_buffer
      - .address_space:  global
        .offset:         40
        .size:           8
        .value_kind:     global_buffer
      - .offset:         48
        .size:           4
        .value_kind:     by_value
      - .offset:         56
        .size:           4
        .value_kind:     hidden_block_count_x
      - .offset:         60
        .size:           4
        .value_kind:     hidden_block_count_y
      - .offset:         64
        .size:           4
        .value_kind:     hidden_block_count_z
      - .offset:         68
        .size:           2
        .value_kind:     hidden_group_size_x
      - .offset:         70
        .size:           2
        .value_kind:     hidden_group_size_y
      - .offset:         72
        .size:           2
        .value_kind:     hidden_group_size_z
      - .offset:         74
        .size:           2
        .value_kind:     hidden_remainder_x
      - .offset:         76
        .size:           2
        .value_kind:     hidden_remainder_y
      - .offset:         78
        .size:           2
        .value_kind:     hidden_remainder_z
      - .offset:         96
        .size:           8
        .value_kind:     hidden_global_offset_x
      - .offset:         104
        .size:           8
        .value_kind:     hidden_global_offset_y
      - .offset:         112
        .size:           8
        .value_kind:     hidden_global_offset_z
      - .offset:         120
        .size:           2
        .value_kind:     hidden_grid_dims
      - .offset:         176
        .size:           4
        .value_kind:     hidden_dynamic_lds_size
    .group_segment_fixed_size: 0
    .kernarg_segment_align: 8
    .kernarg_segment_size: 312
    .language:       OpenCL C
    .language_version:
      - 2
      - 0
    .max_flat_workgroup_size: 1024
    .name:           _ZN2at6native12_GLOBAL__N_128layer_norm_grad_input_kernelIN3c104HalfEfLb1EEEvPKT_S7_PKT0_SA_S7_PS5_i
    .private_segment_fixed_size: 0
    .sgpr_count:     29
    .sgpr_spill_count: 0
    .symbol:         _ZN2at6native12_GLOBAL__N_128layer_norm_grad_input_kernelIN3c104HalfEfLb1EEEvPKT_S7_PKT0_SA_S7_PS5_i.kd
    .uniform_work_group_size: 1
    .uses_dynamic_stack: false
    .vgpr_count:     22
    .vgpr_spill_count: 0
    .wavefront_size: 64
  - .args:
      - .offset:         0
        .size:           8
        .value_kind:     by_value
      - .offset:         8
        .size:           8
        .value_kind:     by_value
      - .address_space:  global
        .offset:         16
        .size:           8
        .value_kind:     global_buffer
      - .address_space:  global
        .offset:         24
        .size:           8
        .value_kind:     global_buffer
      - .address_space:  global
        .offset:         32
        .size:           8
        .value_kind:     global_buffer
      - .address_space:  global
        .offset:         40
        .size:           8
        .value_kind:     global_buffer
      - .address_space:  global
        .offset:         48
        .size:           8
        .value_kind:     global_buffer
      - .address_space:  global
        .offset:         56
        .size:           8
        .value_kind:     global_buffer
      - .offset:         64
        .size:           4
        .value_kind:     hidden_block_count_x
      - .offset:         68
        .size:           4
        .value_kind:     hidden_block_count_y
      - .offset:         72
        .size:           4
        .value_kind:     hidden_block_count_z
      - .offset:         76
        .size:           2
        .value_kind:     hidden_group_size_x
      - .offset:         78
        .size:           2
        .value_kind:     hidden_group_size_y
      - .offset:         80
        .size:           2
        .value_kind:     hidden_group_size_z
      - .offset:         82
        .size:           2
        .value_kind:     hidden_remainder_x
      - .offset:         84
        .size:           2
        .value_kind:     hidden_remainder_y
      - .offset:         86
        .size:           2
        .value_kind:     hidden_remainder_z
      - .offset:         104
        .size:           8
        .value_kind:     hidden_global_offset_x
      - .offset:         112
        .size:           8
        .value_kind:     hidden_global_offset_y
      - .offset:         120
        .size:           8
        .value_kind:     hidden_global_offset_z
      - .offset:         128
        .size:           2
        .value_kind:     hidden_grid_dims
    .group_segment_fixed_size: 0
    .kernarg_segment_align: 8
    .kernarg_segment_size: 320
    .language:       OpenCL C
    .language_version:
      - 2
      - 0
    .max_flat_workgroup_size: 1024
    .name:           _ZN2at6native12_GLOBAL__N_133GammaBetaBackwardSimpleCUDAKernelIN3c104HalfEfLb1EEEvllPKT_S7_PKT0_SA_PS5_SB_
    .private_segment_fixed_size: 0
    .sgpr_count:     24
    .sgpr_spill_count: 0
    .symbol:         _ZN2at6native12_GLOBAL__N_133GammaBetaBackwardSimpleCUDAKernelIN3c104HalfEfLb1EEEvllPKT_S7_PKT0_SA_PS5_SB_.kd
    .uniform_work_group_size: 1
    .uses_dynamic_stack: false
    .vgpr_count:     9
    .vgpr_spill_count: 0
    .wavefront_size: 64
  - .args:
      - .offset:         0
        .size:           8
        .value_kind:     by_value
      - .offset:         8
        .size:           8
        .value_kind:     by_value
      - .actual_access:  read_only
        .address_space:  global
        .offset:         16
        .size:           8
        .value_kind:     global_buffer
      - .actual_access:  read_only
        .address_space:  global
        .offset:         24
        .size:           8
        .value_kind:     global_buffer
      - .actual_access:  read_only
        .address_space:  global
        .offset:         32
        .size:           8
        .value_kind:     global_buffer
      - .actual_access:  read_only
        .address_space:  global
        .offset:         40
        .size:           8
        .value_kind:     global_buffer
      - .actual_access:  write_only
        .address_space:  global
        .offset:         48
        .size:           8
        .value_kind:     global_buffer
      - .actual_access:  read_only
        .address_space:  global
        .offset:         56
        .size:           8
        .value_kind:     global_buffer
      - .offset:         64
        .size:           4
        .value_kind:     hidden_block_count_x
      - .offset:         68
        .size:           4
        .value_kind:     hidden_block_count_y
      - .offset:         72
        .size:           4
        .value_kind:     hidden_block_count_z
      - .offset:         76
        .size:           2
        .value_kind:     hidden_group_size_x
      - .offset:         78
        .size:           2
        .value_kind:     hidden_group_size_y
      - .offset:         80
        .size:           2
        .value_kind:     hidden_group_size_z
      - .offset:         82
        .size:           2
        .value_kind:     hidden_remainder_x
      - .offset:         84
        .size:           2
        .value_kind:     hidden_remainder_y
      - .offset:         86
        .size:           2
        .value_kind:     hidden_remainder_z
      - .offset:         104
        .size:           8
        .value_kind:     hidden_global_offset_x
      - .offset:         112
        .size:           8
        .value_kind:     hidden_global_offset_y
      - .offset:         120
        .size:           8
        .value_kind:     hidden_global_offset_z
      - .offset:         128
        .size:           2
        .value_kind:     hidden_grid_dims
    .group_segment_fixed_size: 0
    .kernarg_segment_align: 8
    .kernarg_segment_size: 320
    .language:       OpenCL C
    .language_version:
      - 2
      - 0
    .max_flat_workgroup_size: 64
    .name:           _ZN2at6native12_GLOBAL__N_135GammaBetaBackwardCUDAKernelTemplateIN3c104HalfEfLj64ELj1ELj32ELb1ELb1ELb1EEEvllPKT_S7_PKT0_SA_PS5_SB_
    .private_segment_fixed_size: 0
    .sgpr_count:     34
    .sgpr_spill_count: 0
    .symbol:         _ZN2at6native12_GLOBAL__N_135GammaBetaBackwardCUDAKernelTemplateIN3c104HalfEfLj64ELj1ELj32ELb1ELb1ELb1EEEvllPKT_S7_PKT0_SA_PS5_SB_.kd
    .uniform_work_group_size: 1
    .uses_dynamic_stack: false
    .vgpr_count:     48
    .vgpr_spill_count: 0
    .wavefront_size: 64
  - .args:
      - .offset:         0
        .size:           8
        .value_kind:     by_value
      - .offset:         8
        .size:           8
        .value_kind:     by_value
      - .actual_access:  read_only
        .address_space:  global
        .offset:         16
        .size:           8
        .value_kind:     global_buffer
      - .actual_access:  read_only
        .address_space:  global
        .offset:         24
        .size:           8
        .value_kind:     global_buffer
      - .actual_access:  read_only
        .address_space:  global
        .offset:         32
        .size:           8
        .value_kind:     global_buffer
      - .actual_access:  read_only
        .address_space:  global
        .offset:         40
        .size:           8
        .value_kind:     global_buffer
      - .actual_access:  write_only
        .address_space:  global
        .offset:         48
        .size:           8
        .value_kind:     global_buffer
      - .actual_access:  read_only
        .address_space:  global
        .offset:         56
        .size:           8
        .value_kind:     global_buffer
      - .offset:         64
        .size:           4
        .value_kind:     hidden_block_count_x
      - .offset:         68
        .size:           4
        .value_kind:     hidden_block_count_y
      - .offset:         72
        .size:           4
        .value_kind:     hidden_block_count_z
      - .offset:         76
        .size:           2
        .value_kind:     hidden_group_size_x
      - .offset:         78
        .size:           2
        .value_kind:     hidden_group_size_y
      - .offset:         80
        .size:           2
        .value_kind:     hidden_group_size_z
      - .offset:         82
        .size:           2
        .value_kind:     hidden_remainder_x
      - .offset:         84
        .size:           2
        .value_kind:     hidden_remainder_y
      - .offset:         86
        .size:           2
        .value_kind:     hidden_remainder_z
      - .offset:         104
        .size:           8
        .value_kind:     hidden_global_offset_x
      - .offset:         112
        .size:           8
        .value_kind:     hidden_global_offset_y
      - .offset:         120
        .size:           8
        .value_kind:     hidden_global_offset_z
      - .offset:         128
        .size:           2
        .value_kind:     hidden_grid_dims
    .group_segment_fixed_size: 0
    .kernarg_segment_align: 8
    .kernarg_segment_size: 320
    .language:       OpenCL C
    .language_version:
      - 2
      - 0
    .max_flat_workgroup_size: 64
    .name:           _ZN2at6native12_GLOBAL__N_135GammaBetaBackwardCUDAKernelTemplateIN3c104HalfEfLj64ELj1ELj32ELb1ELb0ELb1EEEvllPKT_S7_PKT0_SA_PS5_SB_
    .private_segment_fixed_size: 304
    .sgpr_count:     44
    .sgpr_spill_count: 0
    .symbol:         _ZN2at6native12_GLOBAL__N_135GammaBetaBackwardCUDAKernelTemplateIN3c104HalfEfLj64ELj1ELj32ELb1ELb0ELb1EEEvllPKT_S7_PKT0_SA_PS5_SB_.kd
    .uniform_work_group_size: 1
    .uses_dynamic_stack: false
    .vgpr_count:     256
    .vgpr_spill_count: 146
    .wavefront_size: 64
  - .args:
      - .offset:         0
        .size:           8
        .value_kind:     by_value
      - .offset:         8
        .size:           8
        .value_kind:     by_value
      - .actual_access:  read_only
        .address_space:  global
        .offset:         16
        .size:           8
        .value_kind:     global_buffer
      - .actual_access:  read_only
        .address_space:  global
        .offset:         24
        .size:           8
        .value_kind:     global_buffer
      - .actual_access:  read_only
        .address_space:  global
        .offset:         32
        .size:           8
        .value_kind:     global_buffer
      - .actual_access:  read_only
        .address_space:  global
        .offset:         40
        .size:           8
        .value_kind:     global_buffer
      - .actual_access:  write_only
        .address_space:  global
        .offset:         48
        .size:           8
        .value_kind:     global_buffer
      - .actual_access:  read_only
        .address_space:  global
        .offset:         56
        .size:           8
        .value_kind:     global_buffer
      - .offset:         64
        .size:           4
        .value_kind:     hidden_block_count_x
      - .offset:         68
        .size:           4
        .value_kind:     hidden_block_count_y
      - .offset:         72
        .size:           4
        .value_kind:     hidden_block_count_z
      - .offset:         76
        .size:           2
        .value_kind:     hidden_group_size_x
      - .offset:         78
        .size:           2
        .value_kind:     hidden_group_size_y
      - .offset:         80
        .size:           2
        .value_kind:     hidden_group_size_z
      - .offset:         82
        .size:           2
        .value_kind:     hidden_remainder_x
      - .offset:         84
        .size:           2
        .value_kind:     hidden_remainder_y
      - .offset:         86
        .size:           2
        .value_kind:     hidden_remainder_z
      - .offset:         104
        .size:           8
        .value_kind:     hidden_global_offset_x
      - .offset:         112
        .size:           8
        .value_kind:     hidden_global_offset_y
      - .offset:         120
        .size:           8
        .value_kind:     hidden_global_offset_z
      - .offset:         128
        .size:           2
        .value_kind:     hidden_grid_dims
    .group_segment_fixed_size: 0
    .kernarg_segment_align: 8
    .kernarg_segment_size: 320
    .language:       OpenCL C
    .language_version:
      - 2
      - 0
    .max_flat_workgroup_size: 64
    .name:           _ZN2at6native12_GLOBAL__N_135GammaBetaBackwardCUDAKernelTemplateIN3c104HalfEfLj64ELj1ELj8ELb1ELb1ELb1EEEvllPKT_S7_PKT0_SA_PS5_SB_
    .private_segment_fixed_size: 0
    .sgpr_count:     34
    .sgpr_spill_count: 0
    .symbol:         _ZN2at6native12_GLOBAL__N_135GammaBetaBackwardCUDAKernelTemplateIN3c104HalfEfLj64ELj1ELj8ELb1ELb1ELb1EEEvllPKT_S7_PKT0_SA_PS5_SB_.kd
    .uniform_work_group_size: 1
    .uses_dynamic_stack: false
    .vgpr_count:     24
    .vgpr_spill_count: 0
    .wavefront_size: 64
  - .args:
      - .offset:         0
        .size:           8
        .value_kind:     by_value
      - .offset:         8
        .size:           8
        .value_kind:     by_value
      - .actual_access:  read_only
        .address_space:  global
        .offset:         16
        .size:           8
        .value_kind:     global_buffer
      - .actual_access:  read_only
        .address_space:  global
        .offset:         24
        .size:           8
        .value_kind:     global_buffer
      - .actual_access:  read_only
        .address_space:  global
        .offset:         32
        .size:           8
        .value_kind:     global_buffer
      - .actual_access:  read_only
        .address_space:  global
        .offset:         40
        .size:           8
        .value_kind:     global_buffer
      - .actual_access:  write_only
        .address_space:  global
        .offset:         48
        .size:           8
        .value_kind:     global_buffer
      - .actual_access:  read_only
        .address_space:  global
        .offset:         56
        .size:           8
        .value_kind:     global_buffer
      - .offset:         64
        .size:           4
        .value_kind:     hidden_block_count_x
      - .offset:         68
        .size:           4
        .value_kind:     hidden_block_count_y
      - .offset:         72
        .size:           4
        .value_kind:     hidden_block_count_z
      - .offset:         76
        .size:           2
        .value_kind:     hidden_group_size_x
      - .offset:         78
        .size:           2
        .value_kind:     hidden_group_size_y
      - .offset:         80
        .size:           2
        .value_kind:     hidden_group_size_z
      - .offset:         82
        .size:           2
        .value_kind:     hidden_remainder_x
      - .offset:         84
        .size:           2
        .value_kind:     hidden_remainder_y
      - .offset:         86
        .size:           2
        .value_kind:     hidden_remainder_z
      - .offset:         104
        .size:           8
        .value_kind:     hidden_global_offset_x
      - .offset:         112
        .size:           8
        .value_kind:     hidden_global_offset_y
      - .offset:         120
        .size:           8
        .value_kind:     hidden_global_offset_z
      - .offset:         128
        .size:           2
        .value_kind:     hidden_grid_dims
    .group_segment_fixed_size: 0
    .kernarg_segment_align: 8
    .kernarg_segment_size: 320
    .language:       OpenCL C
    .language_version:
      - 2
      - 0
    .max_flat_workgroup_size: 64
    .name:           _ZN2at6native12_GLOBAL__N_135GammaBetaBackwardCUDAKernelTemplateIN3c104HalfEfLj64ELj1ELj8ELb1ELb0ELb1EEEvllPKT_S7_PKT0_SA_PS5_SB_
    .private_segment_fixed_size: 0
    .sgpr_count:     40
    .sgpr_spill_count: 0
    .symbol:         _ZN2at6native12_GLOBAL__N_135GammaBetaBackwardCUDAKernelTemplateIN3c104HalfEfLj64ELj1ELj8ELb1ELb0ELb1EEEvllPKT_S7_PKT0_SA_PS5_SB_.kd
    .uniform_work_group_size: 1
    .uses_dynamic_stack: false
    .vgpr_count:     91
    .vgpr_spill_count: 0
    .wavefront_size: 64
  - .args:
      - .offset:         0
        .size:           8
        .value_kind:     by_value
      - .offset:         8
        .size:           8
        .value_kind:     by_value
      - .actual_access:  read_only
        .address_space:  global
        .offset:         16
        .size:           8
        .value_kind:     global_buffer
      - .actual_access:  read_only
        .address_space:  global
        .offset:         24
        .size:           8
        .value_kind:     global_buffer
      - .actual_access:  read_only
        .address_space:  global
        .offset:         32
        .size:           8
        .value_kind:     global_buffer
      - .actual_access:  read_only
        .address_space:  global
        .offset:         40
        .size:           8
        .value_kind:     global_buffer
      - .actual_access:  write_only
        .address_space:  global
        .offset:         48
        .size:           8
        .value_kind:     global_buffer
      - .actual_access:  read_only
        .address_space:  global
        .offset:         56
        .size:           8
        .value_kind:     global_buffer
      - .offset:         64
        .size:           4
        .value_kind:     hidden_block_count_x
      - .offset:         68
        .size:           4
        .value_kind:     hidden_block_count_y
      - .offset:         72
        .size:           4
        .value_kind:     hidden_block_count_z
      - .offset:         76
        .size:           2
        .value_kind:     hidden_group_size_x
      - .offset:         78
        .size:           2
        .value_kind:     hidden_group_size_y
      - .offset:         80
        .size:           2
        .value_kind:     hidden_group_size_z
      - .offset:         82
        .size:           2
        .value_kind:     hidden_remainder_x
      - .offset:         84
        .size:           2
        .value_kind:     hidden_remainder_y
      - .offset:         86
        .size:           2
        .value_kind:     hidden_remainder_z
      - .offset:         104
        .size:           8
        .value_kind:     hidden_global_offset_x
      - .offset:         112
        .size:           8
        .value_kind:     hidden_global_offset_y
      - .offset:         120
        .size:           8
        .value_kind:     hidden_global_offset_z
      - .offset:         128
        .size:           2
        .value_kind:     hidden_grid_dims
      - .offset:         184
        .size:           4
        .value_kind:     hidden_dynamic_lds_size
    .group_segment_fixed_size: 0
    .kernarg_segment_align: 8
    .kernarg_segment_size: 320
    .language:       OpenCL C
    .language_version:
      - 2
      - 0
    .max_flat_workgroup_size: 512
    .name:           _ZN2at6native12_GLOBAL__N_135GammaBetaBackwardCUDAKernelTemplateIN3c104HalfEfLj64ELj8ELj64ELb0ELb1ELb1EEEvllPKT_S7_PKT0_SA_PS5_SB_
    .private_segment_fixed_size: 0
    .sgpr_count:     30
    .sgpr_spill_count: 0
    .symbol:         _ZN2at6native12_GLOBAL__N_135GammaBetaBackwardCUDAKernelTemplateIN3c104HalfEfLj64ELj8ELj64ELb0ELb1ELb1EEEvllPKT_S7_PKT0_SA_PS5_SB_.kd
    .uniform_work_group_size: 1
    .uses_dynamic_stack: false
    .vgpr_count:     23
    .vgpr_spill_count: 0
    .wavefront_size: 64
  - .args:
      - .offset:         0
        .size:           8
        .value_kind:     by_value
      - .offset:         8
        .size:           8
        .value_kind:     by_value
      - .actual_access:  read_only
        .address_space:  global
        .offset:         16
        .size:           8
        .value_kind:     global_buffer
      - .actual_access:  read_only
        .address_space:  global
        .offset:         24
        .size:           8
        .value_kind:     global_buffer
      - .actual_access:  read_only
        .address_space:  global
        .offset:         32
        .size:           8
        .value_kind:     global_buffer
      - .actual_access:  read_only
        .address_space:  global
        .offset:         40
        .size:           8
        .value_kind:     global_buffer
      - .actual_access:  write_only
        .address_space:  global
        .offset:         48
        .size:           8
        .value_kind:     global_buffer
      - .actual_access:  read_only
        .address_space:  global
        .offset:         56
        .size:           8
        .value_kind:     global_buffer
      - .offset:         64
        .size:           4
        .value_kind:     hidden_block_count_x
      - .offset:         68
        .size:           4
        .value_kind:     hidden_block_count_y
      - .offset:         72
        .size:           4
        .value_kind:     hidden_block_count_z
      - .offset:         76
        .size:           2
        .value_kind:     hidden_group_size_x
      - .offset:         78
        .size:           2
        .value_kind:     hidden_group_size_y
      - .offset:         80
        .size:           2
        .value_kind:     hidden_group_size_z
      - .offset:         82
        .size:           2
        .value_kind:     hidden_remainder_x
      - .offset:         84
        .size:           2
        .value_kind:     hidden_remainder_y
      - .offset:         86
        .size:           2
        .value_kind:     hidden_remainder_z
      - .offset:         104
        .size:           8
        .value_kind:     hidden_global_offset_x
      - .offset:         112
        .size:           8
        .value_kind:     hidden_global_offset_y
      - .offset:         120
        .size:           8
        .value_kind:     hidden_global_offset_z
      - .offset:         128
        .size:           2
        .value_kind:     hidden_grid_dims
      - .offset:         184
        .size:           4
        .value_kind:     hidden_dynamic_lds_size
    .group_segment_fixed_size: 0
    .kernarg_segment_align: 8
    .kernarg_segment_size: 320
    .language:       OpenCL C
    .language_version:
      - 2
      - 0
    .max_flat_workgroup_size: 512
    .name:           _ZN2at6native12_GLOBAL__N_135GammaBetaBackwardCUDAKernelTemplateIN3c104HalfEfLj64ELj8ELj64ELb0ELb0ELb1EEEvllPKT_S7_PKT0_SA_PS5_SB_
    .private_segment_fixed_size: 0
    .sgpr_count:     38
    .sgpr_spill_count: 0
    .symbol:         _ZN2at6native12_GLOBAL__N_135GammaBetaBackwardCUDAKernelTemplateIN3c104HalfEfLj64ELj8ELj64ELb0ELb0ELb1EEEvllPKT_S7_PKT0_SA_PS5_SB_.kd
    .uniform_work_group_size: 1
    .uses_dynamic_stack: false
    .vgpr_count:     90
    .vgpr_spill_count: 0
    .wavefront_size: 64
  - .args:
      - .offset:         0
        .size:           8
        .value_kind:     by_value
      - .offset:         8
        .size:           8
        .value_kind:     by_value
      - .actual_access:  read_only
        .address_space:  global
        .offset:         16
        .size:           8
        .value_kind:     global_buffer
      - .actual_access:  read_only
        .address_space:  global
        .offset:         24
        .size:           8
        .value_kind:     global_buffer
      - .actual_access:  read_only
        .address_space:  global
        .offset:         32
        .size:           8
        .value_kind:     global_buffer
      - .actual_access:  read_only
        .address_space:  global
        .offset:         40
        .size:           8
        .value_kind:     global_buffer
      - .actual_access:  write_only
        .address_space:  global
        .offset:         48
        .size:           8
        .value_kind:     global_buffer
      - .actual_access:  read_only
        .address_space:  global
        .offset:         56
        .size:           8
        .value_kind:     global_buffer
      - .offset:         64
        .size:           4
        .value_kind:     hidden_block_count_x
      - .offset:         68
        .size:           4
        .value_kind:     hidden_block_count_y
      - .offset:         72
        .size:           4
        .value_kind:     hidden_block_count_z
      - .offset:         76
        .size:           2
        .value_kind:     hidden_group_size_x
      - .offset:         78
        .size:           2
        .value_kind:     hidden_group_size_y
      - .offset:         80
        .size:           2
        .value_kind:     hidden_group_size_z
      - .offset:         82
        .size:           2
        .value_kind:     hidden_remainder_x
      - .offset:         84
        .size:           2
        .value_kind:     hidden_remainder_y
      - .offset:         86
        .size:           2
        .value_kind:     hidden_remainder_z
      - .offset:         104
        .size:           8
        .value_kind:     hidden_global_offset_x
      - .offset:         112
        .size:           8
        .value_kind:     hidden_global_offset_y
      - .offset:         120
        .size:           8
        .value_kind:     hidden_global_offset_z
      - .offset:         128
        .size:           2
        .value_kind:     hidden_grid_dims
      - .offset:         184
        .size:           4
        .value_kind:     hidden_dynamic_lds_size
    .group_segment_fixed_size: 0
    .kernarg_segment_align: 8
    .kernarg_segment_size: 320
    .language:       OpenCL C
    .language_version:
      - 2
      - 0
    .max_flat_workgroup_size: 1024
    .name:           _ZN2at6native12_GLOBAL__N_135GammaBetaBackwardCUDAKernelTemplateIN3c104HalfEfLj64ELj16ELj128ELb0ELb1ELb1EEEvllPKT_S7_PKT0_SA_PS5_SB_
    .private_segment_fixed_size: 0
    .sgpr_count:     30
    .sgpr_spill_count: 0
    .symbol:         _ZN2at6native12_GLOBAL__N_135GammaBetaBackwardCUDAKernelTemplateIN3c104HalfEfLj64ELj16ELj128ELb0ELb1ELb1EEEvllPKT_S7_PKT0_SA_PS5_SB_.kd
    .uniform_work_group_size: 1
    .uses_dynamic_stack: false
    .vgpr_count:     23
    .vgpr_spill_count: 0
    .wavefront_size: 64
  - .args:
      - .offset:         0
        .size:           8
        .value_kind:     by_value
      - .offset:         8
        .size:           8
        .value_kind:     by_value
      - .actual_access:  read_only
        .address_space:  global
        .offset:         16
        .size:           8
        .value_kind:     global_buffer
      - .actual_access:  read_only
        .address_space:  global
        .offset:         24
        .size:           8
        .value_kind:     global_buffer
      - .actual_access:  read_only
        .address_space:  global
        .offset:         32
        .size:           8
        .value_kind:     global_buffer
      - .actual_access:  read_only
        .address_space:  global
        .offset:         40
        .size:           8
        .value_kind:     global_buffer
      - .actual_access:  write_only
        .address_space:  global
        .offset:         48
        .size:           8
        .value_kind:     global_buffer
      - .actual_access:  read_only
        .address_space:  global
        .offset:         56
        .size:           8
        .value_kind:     global_buffer
      - .offset:         64
        .size:           4
        .value_kind:     hidden_block_count_x
      - .offset:         68
        .size:           4
        .value_kind:     hidden_block_count_y
      - .offset:         72
        .size:           4
        .value_kind:     hidden_block_count_z
      - .offset:         76
        .size:           2
        .value_kind:     hidden_group_size_x
      - .offset:         78
        .size:           2
        .value_kind:     hidden_group_size_y
      - .offset:         80
        .size:           2
        .value_kind:     hidden_group_size_z
      - .offset:         82
        .size:           2
        .value_kind:     hidden_remainder_x
      - .offset:         84
        .size:           2
        .value_kind:     hidden_remainder_y
      - .offset:         86
        .size:           2
        .value_kind:     hidden_remainder_z
      - .offset:         104
        .size:           8
        .value_kind:     hidden_global_offset_x
      - .offset:         112
        .size:           8
        .value_kind:     hidden_global_offset_y
      - .offset:         120
        .size:           8
        .value_kind:     hidden_global_offset_z
      - .offset:         128
        .size:           2
        .value_kind:     hidden_grid_dims
      - .offset:         184
        .size:           4
        .value_kind:     hidden_dynamic_lds_size
    .group_segment_fixed_size: 0
    .kernarg_segment_align: 8
    .kernarg_segment_size: 320
    .language:       OpenCL C
    .language_version:
      - 2
      - 0
    .max_flat_workgroup_size: 1024
    .name:           _ZN2at6native12_GLOBAL__N_135GammaBetaBackwardCUDAKernelTemplateIN3c104HalfEfLj64ELj16ELj128ELb0ELb0ELb1EEEvllPKT_S7_PKT0_SA_PS5_SB_
    .private_segment_fixed_size: 108
    .sgpr_count:     44
    .sgpr_spill_count: 0
    .symbol:         _ZN2at6native12_GLOBAL__N_135GammaBetaBackwardCUDAKernelTemplateIN3c104HalfEfLj64ELj16ELj128ELb0ELb0ELb1EEEvllPKT_S7_PKT0_SA_PS5_SB_.kd
    .uniform_work_group_size: 1
    .uses_dynamic_stack: false
    .vgpr_count:     64
    .vgpr_spill_count: 49
    .wavefront_size: 64
  - .args:
      - .offset:         0
        .size:           8
        .value_kind:     by_value
      - .offset:         8
        .size:           8
        .value_kind:     by_value
      - .actual_access:  read_only
        .address_space:  global
        .offset:         16
        .size:           8
        .value_kind:     global_buffer
      - .actual_access:  read_only
        .address_space:  global
        .offset:         24
        .size:           8
        .value_kind:     global_buffer
      - .actual_access:  read_only
        .address_space:  global
        .offset:         32
        .size:           8
        .value_kind:     global_buffer
      - .actual_access:  read_only
        .address_space:  global
        .offset:         40
        .size:           8
        .value_kind:     global_buffer
      - .actual_access:  write_only
        .address_space:  global
        .offset:         48
        .size:           8
        .value_kind:     global_buffer
      - .actual_access:  read_only
        .address_space:  global
        .offset:         56
        .size:           8
        .value_kind:     global_buffer
      - .offset:         64
        .size:           4
        .value_kind:     hidden_block_count_x
      - .offset:         68
        .size:           4
        .value_kind:     hidden_block_count_y
      - .offset:         72
        .size:           4
        .value_kind:     hidden_block_count_z
      - .offset:         76
        .size:           2
        .value_kind:     hidden_group_size_x
      - .offset:         78
        .size:           2
        .value_kind:     hidden_group_size_y
      - .offset:         80
        .size:           2
        .value_kind:     hidden_group_size_z
      - .offset:         82
        .size:           2
        .value_kind:     hidden_remainder_x
      - .offset:         84
        .size:           2
        .value_kind:     hidden_remainder_y
      - .offset:         86
        .size:           2
        .value_kind:     hidden_remainder_z
      - .offset:         104
        .size:           8
        .value_kind:     hidden_global_offset_x
      - .offset:         112
        .size:           8
        .value_kind:     hidden_global_offset_y
      - .offset:         120
        .size:           8
        .value_kind:     hidden_global_offset_z
      - .offset:         128
        .size:           2
        .value_kind:     hidden_grid_dims
      - .offset:         184
        .size:           4
        .value_kind:     hidden_dynamic_lds_size
    .group_segment_fixed_size: 0
    .kernarg_segment_align: 8
    .kernarg_segment_size: 320
    .language:       OpenCL C
    .language_version:
      - 2
      - 0
    .max_flat_workgroup_size: 1024
    .name:           _ZN2at6native12_GLOBAL__N_135GammaBetaBackwardCUDAKernelTemplateIN3c104HalfEfLj64ELj16ELj256ELb0ELb1ELb1EEEvllPKT_S7_PKT0_SA_PS5_SB_
    .private_segment_fixed_size: 0
    .sgpr_count:     30
    .sgpr_spill_count: 0
    .symbol:         _ZN2at6native12_GLOBAL__N_135GammaBetaBackwardCUDAKernelTemplateIN3c104HalfEfLj64ELj16ELj256ELb0ELb1ELb1EEEvllPKT_S7_PKT0_SA_PS5_SB_.kd
    .uniform_work_group_size: 1
    .uses_dynamic_stack: false
    .vgpr_count:     31
    .vgpr_spill_count: 0
    .wavefront_size: 64
  - .args:
      - .offset:         0
        .size:           8
        .value_kind:     by_value
      - .offset:         8
        .size:           8
        .value_kind:     by_value
      - .actual_access:  read_only
        .address_space:  global
        .offset:         16
        .size:           8
        .value_kind:     global_buffer
      - .actual_access:  read_only
        .address_space:  global
        .offset:         24
        .size:           8
        .value_kind:     global_buffer
      - .actual_access:  read_only
        .address_space:  global
        .offset:         32
        .size:           8
        .value_kind:     global_buffer
      - .actual_access:  read_only
        .address_space:  global
        .offset:         40
        .size:           8
        .value_kind:     global_buffer
      - .actual_access:  write_only
        .address_space:  global
        .offset:         48
        .size:           8
        .value_kind:     global_buffer
      - .actual_access:  read_only
        .address_space:  global
        .offset:         56
        .size:           8
        .value_kind:     global_buffer
      - .offset:         64
        .size:           4
        .value_kind:     hidden_block_count_x
      - .offset:         68
        .size:           4
        .value_kind:     hidden_block_count_y
      - .offset:         72
        .size:           4
        .value_kind:     hidden_block_count_z
      - .offset:         76
        .size:           2
        .value_kind:     hidden_group_size_x
      - .offset:         78
        .size:           2
        .value_kind:     hidden_group_size_y
      - .offset:         80
        .size:           2
        .value_kind:     hidden_group_size_z
      - .offset:         82
        .size:           2
        .value_kind:     hidden_remainder_x
      - .offset:         84
        .size:           2
        .value_kind:     hidden_remainder_y
      - .offset:         86
        .size:           2
        .value_kind:     hidden_remainder_z
      - .offset:         104
        .size:           8
        .value_kind:     hidden_global_offset_x
      - .offset:         112
        .size:           8
        .value_kind:     hidden_global_offset_y
      - .offset:         120
        .size:           8
        .value_kind:     hidden_global_offset_z
      - .offset:         128
        .size:           2
        .value_kind:     hidden_grid_dims
      - .offset:         184
        .size:           4
        .value_kind:     hidden_dynamic_lds_size
    .group_segment_fixed_size: 0
    .kernarg_segment_align: 8
    .kernarg_segment_size: 320
    .language:       OpenCL C
    .language_version:
      - 2
      - 0
    .max_flat_workgroup_size: 1024
    .name:           _ZN2at6native12_GLOBAL__N_135GammaBetaBackwardCUDAKernelTemplateIN3c104HalfEfLj64ELj16ELj256ELb0ELb0ELb1EEEvllPKT_S7_PKT0_SA_PS5_SB_
    .private_segment_fixed_size: 420
    .sgpr_count:     44
    .sgpr_spill_count: 0
    .symbol:         _ZN2at6native12_GLOBAL__N_135GammaBetaBackwardCUDAKernelTemplateIN3c104HalfEfLj64ELj16ELj256ELb0ELb0ELb1EEEvllPKT_S7_PKT0_SA_PS5_SB_.kd
    .uniform_work_group_size: 1
    .uses_dynamic_stack: false
    .vgpr_count:     64
    .vgpr_spill_count: 296
    .wavefront_size: 64
  - .args:
      - .offset:         0
        .size:           8
        .value_kind:     by_value
      - .offset:         8
        .size:           8
        .value_kind:     by_value
      - .actual_access:  read_only
        .address_space:  global
        .offset:         16
        .size:           8
        .value_kind:     global_buffer
      - .actual_access:  read_only
        .address_space:  global
        .offset:         24
        .size:           8
        .value_kind:     global_buffer
      - .actual_access:  read_only
        .address_space:  global
        .offset:         32
        .size:           8
        .value_kind:     global_buffer
      - .actual_access:  read_only
        .address_space:  global
        .offset:         40
        .size:           8
        .value_kind:     global_buffer
      - .actual_access:  write_only
        .address_space:  global
        .offset:         48
        .size:           8
        .value_kind:     global_buffer
      - .actual_access:  read_only
        .address_space:  global
        .offset:         56
        .size:           8
        .value_kind:     global_buffer
      - .offset:         64
        .size:           4
        .value_kind:     hidden_block_count_x
      - .offset:         68
        .size:           4
        .value_kind:     hidden_block_count_y
      - .offset:         72
        .size:           4
        .value_kind:     hidden_block_count_z
      - .offset:         76
        .size:           2
        .value_kind:     hidden_group_size_x
      - .offset:         78
        .size:           2
        .value_kind:     hidden_group_size_y
      - .offset:         80
        .size:           2
        .value_kind:     hidden_group_size_z
      - .offset:         82
        .size:           2
        .value_kind:     hidden_remainder_x
      - .offset:         84
        .size:           2
        .value_kind:     hidden_remainder_y
      - .offset:         86
        .size:           2
        .value_kind:     hidden_remainder_z
      - .offset:         104
        .size:           8
        .value_kind:     hidden_global_offset_x
      - .offset:         112
        .size:           8
        .value_kind:     hidden_global_offset_y
      - .offset:         120
        .size:           8
        .value_kind:     hidden_global_offset_z
      - .offset:         128
        .size:           2
        .value_kind:     hidden_grid_dims
    .group_segment_fixed_size: 0
    .kernarg_segment_align: 8
    .kernarg_segment_size: 320
    .language:       OpenCL C
    .language_version:
      - 2
      - 0
    .max_flat_workgroup_size: 32
    .name:           _ZN2at6native12_GLOBAL__N_135GammaBetaBackwardCUDAKernelTemplateIN3c104HalfEfLj32ELj1ELj32ELb1ELb1ELb1EEEvllPKT_S7_PKT0_SA_PS5_SB_
    .private_segment_fixed_size: 0
    .sgpr_count:     34
    .sgpr_spill_count: 0
    .symbol:         _ZN2at6native12_GLOBAL__N_135GammaBetaBackwardCUDAKernelTemplateIN3c104HalfEfLj32ELj1ELj32ELb1ELb1ELb1EEEvllPKT_S7_PKT0_SA_PS5_SB_.kd
    .uniform_work_group_size: 1
    .uses_dynamic_stack: false
    .vgpr_count:     48
    .vgpr_spill_count: 0
    .wavefront_size: 64
  - .args:
      - .offset:         0
        .size:           8
        .value_kind:     by_value
      - .offset:         8
        .size:           8
        .value_kind:     by_value
      - .actual_access:  read_only
        .address_space:  global
        .offset:         16
        .size:           8
        .value_kind:     global_buffer
      - .actual_access:  read_only
        .address_space:  global
        .offset:         24
        .size:           8
        .value_kind:     global_buffer
      - .actual_access:  read_only
        .address_space:  global
        .offset:         32
        .size:           8
        .value_kind:     global_buffer
      - .actual_access:  read_only
        .address_space:  global
        .offset:         40
        .size:           8
        .value_kind:     global_buffer
      - .actual_access:  write_only
        .address_space:  global
        .offset:         48
        .size:           8
        .value_kind:     global_buffer
      - .actual_access:  read_only
        .address_space:  global
        .offset:         56
        .size:           8
        .value_kind:     global_buffer
      - .offset:         64
        .size:           4
        .value_kind:     hidden_block_count_x
      - .offset:         68
        .size:           4
        .value_kind:     hidden_block_count_y
      - .offset:         72
        .size:           4
        .value_kind:     hidden_block_count_z
      - .offset:         76
        .size:           2
        .value_kind:     hidden_group_size_x
      - .offset:         78
        .size:           2
        .value_kind:     hidden_group_size_y
      - .offset:         80
        .size:           2
        .value_kind:     hidden_group_size_z
      - .offset:         82
        .size:           2
        .value_kind:     hidden_remainder_x
      - .offset:         84
        .size:           2
        .value_kind:     hidden_remainder_y
      - .offset:         86
        .size:           2
        .value_kind:     hidden_remainder_z
      - .offset:         104
        .size:           8
        .value_kind:     hidden_global_offset_x
      - .offset:         112
        .size:           8
        .value_kind:     hidden_global_offset_y
      - .offset:         120
        .size:           8
        .value_kind:     hidden_global_offset_z
      - .offset:         128
        .size:           2
        .value_kind:     hidden_grid_dims
    .group_segment_fixed_size: 0
    .kernarg_segment_align: 8
    .kernarg_segment_size: 320
    .language:       OpenCL C
    .language_version:
      - 2
      - 0
    .max_flat_workgroup_size: 32
    .name:           _ZN2at6native12_GLOBAL__N_135GammaBetaBackwardCUDAKernelTemplateIN3c104HalfEfLj32ELj1ELj32ELb1ELb0ELb1EEEvllPKT_S7_PKT0_SA_PS5_SB_
    .private_segment_fixed_size: 304
    .sgpr_count:     44
    .sgpr_spill_count: 0
    .symbol:         _ZN2at6native12_GLOBAL__N_135GammaBetaBackwardCUDAKernelTemplateIN3c104HalfEfLj32ELj1ELj32ELb1ELb0ELb1EEEvllPKT_S7_PKT0_SA_PS5_SB_.kd
    .uniform_work_group_size: 1
    .uses_dynamic_stack: false
    .vgpr_count:     256
    .vgpr_spill_count: 146
    .wavefront_size: 64
  - .args:
      - .offset:         0
        .size:           8
        .value_kind:     by_value
      - .offset:         8
        .size:           8
        .value_kind:     by_value
      - .actual_access:  read_only
        .address_space:  global
        .offset:         16
        .size:           8
        .value_kind:     global_buffer
      - .actual_access:  read_only
        .address_space:  global
        .offset:         24
        .size:           8
        .value_kind:     global_buffer
      - .actual_access:  read_only
        .address_space:  global
        .offset:         32
        .size:           8
        .value_kind:     global_buffer
      - .actual_access:  read_only
        .address_space:  global
        .offset:         40
        .size:           8
        .value_kind:     global_buffer
      - .actual_access:  write_only
        .address_space:  global
        .offset:         48
        .size:           8
        .value_kind:     global_buffer
      - .actual_access:  read_only
        .address_space:  global
        .offset:         56
        .size:           8
        .value_kind:     global_buffer
      - .offset:         64
        .size:           4
        .value_kind:     hidden_block_count_x
      - .offset:         68
        .size:           4
        .value_kind:     hidden_block_count_y
      - .offset:         72
        .size:           4
        .value_kind:     hidden_block_count_z
      - .offset:         76
        .size:           2
        .value_kind:     hidden_group_size_x
      - .offset:         78
        .size:           2
        .value_kind:     hidden_group_size_y
      - .offset:         80
        .size:           2
        .value_kind:     hidden_group_size_z
      - .offset:         82
        .size:           2
        .value_kind:     hidden_remainder_x
      - .offset:         84
        .size:           2
        .value_kind:     hidden_remainder_y
      - .offset:         86
        .size:           2
        .value_kind:     hidden_remainder_z
      - .offset:         104
        .size:           8
        .value_kind:     hidden_global_offset_x
      - .offset:         112
        .size:           8
        .value_kind:     hidden_global_offset_y
      - .offset:         120
        .size:           8
        .value_kind:     hidden_global_offset_z
      - .offset:         128
        .size:           2
        .value_kind:     hidden_grid_dims
    .group_segment_fixed_size: 0
    .kernarg_segment_align: 8
    .kernarg_segment_size: 320
    .language:       OpenCL C
    .language_version:
      - 2
      - 0
    .max_flat_workgroup_size: 32
    .name:           _ZN2at6native12_GLOBAL__N_135GammaBetaBackwardCUDAKernelTemplateIN3c104HalfEfLj32ELj1ELj8ELb1ELb1ELb1EEEvllPKT_S7_PKT0_SA_PS5_SB_
    .private_segment_fixed_size: 0
    .sgpr_count:     34
    .sgpr_spill_count: 0
    .symbol:         _ZN2at6native12_GLOBAL__N_135GammaBetaBackwardCUDAKernelTemplateIN3c104HalfEfLj32ELj1ELj8ELb1ELb1ELb1EEEvllPKT_S7_PKT0_SA_PS5_SB_.kd
    .uniform_work_group_size: 1
    .uses_dynamic_stack: false
    .vgpr_count:     24
    .vgpr_spill_count: 0
    .wavefront_size: 64
  - .args:
      - .offset:         0
        .size:           8
        .value_kind:     by_value
      - .offset:         8
        .size:           8
        .value_kind:     by_value
      - .actual_access:  read_only
        .address_space:  global
        .offset:         16
        .size:           8
        .value_kind:     global_buffer
      - .actual_access:  read_only
        .address_space:  global
        .offset:         24
        .size:           8
        .value_kind:     global_buffer
      - .actual_access:  read_only
        .address_space:  global
        .offset:         32
        .size:           8
        .value_kind:     global_buffer
      - .actual_access:  read_only
        .address_space:  global
        .offset:         40
        .size:           8
        .value_kind:     global_buffer
      - .actual_access:  write_only
        .address_space:  global
        .offset:         48
        .size:           8
        .value_kind:     global_buffer
      - .actual_access:  read_only
        .address_space:  global
        .offset:         56
        .size:           8
        .value_kind:     global_buffer
      - .offset:         64
        .size:           4
        .value_kind:     hidden_block_count_x
      - .offset:         68
        .size:           4
        .value_kind:     hidden_block_count_y
      - .offset:         72
        .size:           4
        .value_kind:     hidden_block_count_z
      - .offset:         76
        .size:           2
        .value_kind:     hidden_group_size_x
      - .offset:         78
        .size:           2
        .value_kind:     hidden_group_size_y
      - .offset:         80
        .size:           2
        .value_kind:     hidden_group_size_z
      - .offset:         82
        .size:           2
        .value_kind:     hidden_remainder_x
      - .offset:         84
        .size:           2
        .value_kind:     hidden_remainder_y
      - .offset:         86
        .size:           2
        .value_kind:     hidden_remainder_z
      - .offset:         104
        .size:           8
        .value_kind:     hidden_global_offset_x
      - .offset:         112
        .size:           8
        .value_kind:     hidden_global_offset_y
      - .offset:         120
        .size:           8
        .value_kind:     hidden_global_offset_z
      - .offset:         128
        .size:           2
        .value_kind:     hidden_grid_dims
    .group_segment_fixed_size: 0
    .kernarg_segment_align: 8
    .kernarg_segment_size: 320
    .language:       OpenCL C
    .language_version:
      - 2
      - 0
    .max_flat_workgroup_size: 32
    .name:           _ZN2at6native12_GLOBAL__N_135GammaBetaBackwardCUDAKernelTemplateIN3c104HalfEfLj32ELj1ELj8ELb1ELb0ELb1EEEvllPKT_S7_PKT0_SA_PS5_SB_
    .private_segment_fixed_size: 0
    .sgpr_count:     40
    .sgpr_spill_count: 0
    .symbol:         _ZN2at6native12_GLOBAL__N_135GammaBetaBackwardCUDAKernelTemplateIN3c104HalfEfLj32ELj1ELj8ELb1ELb0ELb1EEEvllPKT_S7_PKT0_SA_PS5_SB_.kd
    .uniform_work_group_size: 1
    .uses_dynamic_stack: false
    .vgpr_count:     91
    .vgpr_spill_count: 0
    .wavefront_size: 64
  - .args:
      - .offset:         0
        .size:           8
        .value_kind:     by_value
      - .offset:         8
        .size:           8
        .value_kind:     by_value
      - .actual_access:  read_only
        .address_space:  global
        .offset:         16
        .size:           8
        .value_kind:     global_buffer
      - .actual_access:  read_only
        .address_space:  global
        .offset:         24
        .size:           8
        .value_kind:     global_buffer
      - .actual_access:  read_only
        .address_space:  global
        .offset:         32
        .size:           8
        .value_kind:     global_buffer
      - .actual_access:  read_only
        .address_space:  global
        .offset:         40
        .size:           8
        .value_kind:     global_buffer
      - .actual_access:  write_only
        .address_space:  global
        .offset:         48
        .size:           8
        .value_kind:     global_buffer
      - .actual_access:  read_only
        .address_space:  global
        .offset:         56
        .size:           8
        .value_kind:     global_buffer
      - .offset:         64
        .size:           4
        .value_kind:     hidden_block_count_x
      - .offset:         68
        .size:           4
        .value_kind:     hidden_block_count_y
      - .offset:         72
        .size:           4
        .value_kind:     hidden_block_count_z
      - .offset:         76
        .size:           2
        .value_kind:     hidden_group_size_x
      - .offset:         78
        .size:           2
        .value_kind:     hidden_group_size_y
      - .offset:         80
        .size:           2
        .value_kind:     hidden_group_size_z
      - .offset:         82
        .size:           2
        .value_kind:     hidden_remainder_x
      - .offset:         84
        .size:           2
        .value_kind:     hidden_remainder_y
      - .offset:         86
        .size:           2
        .value_kind:     hidden_remainder_z
      - .offset:         104
        .size:           8
        .value_kind:     hidden_global_offset_x
      - .offset:         112
        .size:           8
        .value_kind:     hidden_global_offset_y
      - .offset:         120
        .size:           8
        .value_kind:     hidden_global_offset_z
      - .offset:         128
        .size:           2
        .value_kind:     hidden_grid_dims
      - .offset:         184
        .size:           4
        .value_kind:     hidden_dynamic_lds_size
    .group_segment_fixed_size: 0
    .kernarg_segment_align: 8
    .kernarg_segment_size: 320
    .language:       OpenCL C
    .language_version:
      - 2
      - 0
    .max_flat_workgroup_size: 256
    .name:           _ZN2at6native12_GLOBAL__N_135GammaBetaBackwardCUDAKernelTemplateIN3c104HalfEfLj32ELj8ELj64ELb0ELb1ELb1EEEvllPKT_S7_PKT0_SA_PS5_SB_
    .private_segment_fixed_size: 0
    .sgpr_count:     30
    .sgpr_spill_count: 0
    .symbol:         _ZN2at6native12_GLOBAL__N_135GammaBetaBackwardCUDAKernelTemplateIN3c104HalfEfLj32ELj8ELj64ELb0ELb1ELb1EEEvllPKT_S7_PKT0_SA_PS5_SB_.kd
    .uniform_work_group_size: 1
    .uses_dynamic_stack: false
    .vgpr_count:     23
    .vgpr_spill_count: 0
    .wavefront_size: 64
  - .args:
      - .offset:         0
        .size:           8
        .value_kind:     by_value
      - .offset:         8
        .size:           8
        .value_kind:     by_value
      - .actual_access:  read_only
        .address_space:  global
        .offset:         16
        .size:           8
        .value_kind:     global_buffer
      - .actual_access:  read_only
        .address_space:  global
        .offset:         24
        .size:           8
        .value_kind:     global_buffer
      - .actual_access:  read_only
        .address_space:  global
        .offset:         32
        .size:           8
        .value_kind:     global_buffer
      - .actual_access:  read_only
        .address_space:  global
        .offset:         40
        .size:           8
        .value_kind:     global_buffer
      - .actual_access:  write_only
        .address_space:  global
        .offset:         48
        .size:           8
        .value_kind:     global_buffer
      - .actual_access:  read_only
        .address_space:  global
        .offset:         56
        .size:           8
        .value_kind:     global_buffer
      - .offset:         64
        .size:           4
        .value_kind:     hidden_block_count_x
      - .offset:         68
        .size:           4
        .value_kind:     hidden_block_count_y
      - .offset:         72
        .size:           4
        .value_kind:     hidden_block_count_z
      - .offset:         76
        .size:           2
        .value_kind:     hidden_group_size_x
      - .offset:         78
        .size:           2
        .value_kind:     hidden_group_size_y
      - .offset:         80
        .size:           2
        .value_kind:     hidden_group_size_z
      - .offset:         82
        .size:           2
        .value_kind:     hidden_remainder_x
      - .offset:         84
        .size:           2
        .value_kind:     hidden_remainder_y
      - .offset:         86
        .size:           2
        .value_kind:     hidden_remainder_z
      - .offset:         104
        .size:           8
        .value_kind:     hidden_global_offset_x
      - .offset:         112
        .size:           8
        .value_kind:     hidden_global_offset_y
      - .offset:         120
        .size:           8
        .value_kind:     hidden_global_offset_z
      - .offset:         128
        .size:           2
        .value_kind:     hidden_grid_dims
      - .offset:         184
        .size:           4
        .value_kind:     hidden_dynamic_lds_size
    .group_segment_fixed_size: 0
    .kernarg_segment_align: 8
    .kernarg_segment_size: 320
    .language:       OpenCL C
    .language_version:
      - 2
      - 0
    .max_flat_workgroup_size: 256
    .name:           _ZN2at6native12_GLOBAL__N_135GammaBetaBackwardCUDAKernelTemplateIN3c104HalfEfLj32ELj8ELj64ELb0ELb0ELb1EEEvllPKT_S7_PKT0_SA_PS5_SB_
    .private_segment_fixed_size: 0
    .sgpr_count:     38
    .sgpr_spill_count: 0
    .symbol:         _ZN2at6native12_GLOBAL__N_135GammaBetaBackwardCUDAKernelTemplateIN3c104HalfEfLj32ELj8ELj64ELb0ELb0ELb1EEEvllPKT_S7_PKT0_SA_PS5_SB_.kd
    .uniform_work_group_size: 1
    .uses_dynamic_stack: false
    .vgpr_count:     90
    .vgpr_spill_count: 0
    .wavefront_size: 64
  - .args:
      - .offset:         0
        .size:           8
        .value_kind:     by_value
      - .offset:         8
        .size:           8
        .value_kind:     by_value
      - .actual_access:  read_only
        .address_space:  global
        .offset:         16
        .size:           8
        .value_kind:     global_buffer
      - .actual_access:  read_only
        .address_space:  global
        .offset:         24
        .size:           8
        .value_kind:     global_buffer
      - .actual_access:  read_only
        .address_space:  global
        .offset:         32
        .size:           8
        .value_kind:     global_buffer
      - .actual_access:  read_only
        .address_space:  global
        .offset:         40
        .size:           8
        .value_kind:     global_buffer
      - .actual_access:  write_only
        .address_space:  global
        .offset:         48
        .size:           8
        .value_kind:     global_buffer
      - .actual_access:  read_only
        .address_space:  global
        .offset:         56
        .size:           8
        .value_kind:     global_buffer
      - .offset:         64
        .size:           4
        .value_kind:     hidden_block_count_x
      - .offset:         68
        .size:           4
        .value_kind:     hidden_block_count_y
      - .offset:         72
        .size:           4
        .value_kind:     hidden_block_count_z
      - .offset:         76
        .size:           2
        .value_kind:     hidden_group_size_x
      - .offset:         78
        .size:           2
        .value_kind:     hidden_group_size_y
      - .offset:         80
        .size:           2
        .value_kind:     hidden_group_size_z
      - .offset:         82
        .size:           2
        .value_kind:     hidden_remainder_x
      - .offset:         84
        .size:           2
        .value_kind:     hidden_remainder_y
      - .offset:         86
        .size:           2
        .value_kind:     hidden_remainder_z
      - .offset:         104
        .size:           8
        .value_kind:     hidden_global_offset_x
      - .offset:         112
        .size:           8
        .value_kind:     hidden_global_offset_y
      - .offset:         120
        .size:           8
        .value_kind:     hidden_global_offset_z
      - .offset:         128
        .size:           2
        .value_kind:     hidden_grid_dims
      - .offset:         184
        .size:           4
        .value_kind:     hidden_dynamic_lds_size
    .group_segment_fixed_size: 0
    .kernarg_segment_align: 8
    .kernarg_segment_size: 320
    .language:       OpenCL C
    .language_version:
      - 2
      - 0
    .max_flat_workgroup_size: 512
    .name:           _ZN2at6native12_GLOBAL__N_135GammaBetaBackwardCUDAKernelTemplateIN3c104HalfEfLj32ELj16ELj128ELb0ELb1ELb1EEEvllPKT_S7_PKT0_SA_PS5_SB_
    .private_segment_fixed_size: 0
    .sgpr_count:     30
    .sgpr_spill_count: 0
    .symbol:         _ZN2at6native12_GLOBAL__N_135GammaBetaBackwardCUDAKernelTemplateIN3c104HalfEfLj32ELj16ELj128ELb0ELb1ELb1EEEvllPKT_S7_PKT0_SA_PS5_SB_.kd
    .uniform_work_group_size: 1
    .uses_dynamic_stack: false
    .vgpr_count:     23
    .vgpr_spill_count: 0
    .wavefront_size: 64
  - .args:
      - .offset:         0
        .size:           8
        .value_kind:     by_value
      - .offset:         8
        .size:           8
        .value_kind:     by_value
      - .actual_access:  read_only
        .address_space:  global
        .offset:         16
        .size:           8
        .value_kind:     global_buffer
      - .actual_access:  read_only
        .address_space:  global
        .offset:         24
        .size:           8
        .value_kind:     global_buffer
      - .actual_access:  read_only
        .address_space:  global
        .offset:         32
        .size:           8
        .value_kind:     global_buffer
      - .actual_access:  read_only
        .address_space:  global
        .offset:         40
        .size:           8
        .value_kind:     global_buffer
      - .actual_access:  write_only
        .address_space:  global
        .offset:         48
        .size:           8
        .value_kind:     global_buffer
      - .actual_access:  read_only
        .address_space:  global
        .offset:         56
        .size:           8
        .value_kind:     global_buffer
      - .offset:         64
        .size:           4
        .value_kind:     hidden_block_count_x
      - .offset:         68
        .size:           4
        .value_kind:     hidden_block_count_y
      - .offset:         72
        .size:           4
        .value_kind:     hidden_block_count_z
      - .offset:         76
        .size:           2
        .value_kind:     hidden_group_size_x
      - .offset:         78
        .size:           2
        .value_kind:     hidden_group_size_y
      - .offset:         80
        .size:           2
        .value_kind:     hidden_group_size_z
      - .offset:         82
        .size:           2
        .value_kind:     hidden_remainder_x
      - .offset:         84
        .size:           2
        .value_kind:     hidden_remainder_y
      - .offset:         86
        .size:           2
        .value_kind:     hidden_remainder_z
      - .offset:         104
        .size:           8
        .value_kind:     hidden_global_offset_x
      - .offset:         112
        .size:           8
        .value_kind:     hidden_global_offset_y
      - .offset:         120
        .size:           8
        .value_kind:     hidden_global_offset_z
      - .offset:         128
        .size:           2
        .value_kind:     hidden_grid_dims
      - .offset:         184
        .size:           4
        .value_kind:     hidden_dynamic_lds_size
    .group_segment_fixed_size: 0
    .kernarg_segment_align: 8
    .kernarg_segment_size: 320
    .language:       OpenCL C
    .language_version:
      - 2
      - 0
    .max_flat_workgroup_size: 512
    .name:           _ZN2at6native12_GLOBAL__N_135GammaBetaBackwardCUDAKernelTemplateIN3c104HalfEfLj32ELj16ELj128ELb0ELb0ELb1EEEvllPKT_S7_PKT0_SA_PS5_SB_
    .private_segment_fixed_size: 0
    .sgpr_count:     38
    .sgpr_spill_count: 0
    .symbol:         _ZN2at6native12_GLOBAL__N_135GammaBetaBackwardCUDAKernelTemplateIN3c104HalfEfLj32ELj16ELj128ELb0ELb0ELb1EEEvllPKT_S7_PKT0_SA_PS5_SB_.kd
    .uniform_work_group_size: 1
    .uses_dynamic_stack: false
    .vgpr_count:     90
    .vgpr_spill_count: 0
    .wavefront_size: 64
  - .args:
      - .offset:         0
        .size:           8
        .value_kind:     by_value
      - .offset:         8
        .size:           8
        .value_kind:     by_value
      - .actual_access:  read_only
        .address_space:  global
        .offset:         16
        .size:           8
        .value_kind:     global_buffer
      - .actual_access:  read_only
        .address_space:  global
        .offset:         24
        .size:           8
        .value_kind:     global_buffer
      - .actual_access:  read_only
        .address_space:  global
        .offset:         32
        .size:           8
        .value_kind:     global_buffer
      - .actual_access:  read_only
        .address_space:  global
        .offset:         40
        .size:           8
        .value_kind:     global_buffer
      - .actual_access:  write_only
        .address_space:  global
        .offset:         48
        .size:           8
        .value_kind:     global_buffer
      - .actual_access:  read_only
        .address_space:  global
        .offset:         56
        .size:           8
        .value_kind:     global_buffer
      - .offset:         64
        .size:           4
        .value_kind:     hidden_block_count_x
      - .offset:         68
        .size:           4
        .value_kind:     hidden_block_count_y
      - .offset:         72
        .size:           4
        .value_kind:     hidden_block_count_z
      - .offset:         76
        .size:           2
        .value_kind:     hidden_group_size_x
      - .offset:         78
        .size:           2
        .value_kind:     hidden_group_size_y
      - .offset:         80
        .size:           2
        .value_kind:     hidden_group_size_z
      - .offset:         82
        .size:           2
        .value_kind:     hidden_remainder_x
      - .offset:         84
        .size:           2
        .value_kind:     hidden_remainder_y
      - .offset:         86
        .size:           2
        .value_kind:     hidden_remainder_z
      - .offset:         104
        .size:           8
        .value_kind:     hidden_global_offset_x
      - .offset:         112
        .size:           8
        .value_kind:     hidden_global_offset_y
      - .offset:         120
        .size:           8
        .value_kind:     hidden_global_offset_z
      - .offset:         128
        .size:           2
        .value_kind:     hidden_grid_dims
      - .offset:         184
        .size:           4
        .value_kind:     hidden_dynamic_lds_size
    .group_segment_fixed_size: 0
    .kernarg_segment_align: 8
    .kernarg_segment_size: 320
    .language:       OpenCL C
    .language_version:
      - 2
      - 0
    .max_flat_workgroup_size: 1024
    .name:           _ZN2at6native12_GLOBAL__N_135GammaBetaBackwardCUDAKernelTemplateIN3c104HalfEfLj32ELj32ELj256ELb0ELb1ELb1EEEvllPKT_S7_PKT0_SA_PS5_SB_
    .private_segment_fixed_size: 0
    .sgpr_count:     30
    .sgpr_spill_count: 0
    .symbol:         _ZN2at6native12_GLOBAL__N_135GammaBetaBackwardCUDAKernelTemplateIN3c104HalfEfLj32ELj32ELj256ELb0ELb1ELb1EEEvllPKT_S7_PKT0_SA_PS5_SB_.kd
    .uniform_work_group_size: 1
    .uses_dynamic_stack: false
    .vgpr_count:     23
    .vgpr_spill_count: 0
    .wavefront_size: 64
  - .args:
      - .offset:         0
        .size:           8
        .value_kind:     by_value
      - .offset:         8
        .size:           8
        .value_kind:     by_value
      - .actual_access:  read_only
        .address_space:  global
        .offset:         16
        .size:           8
        .value_kind:     global_buffer
      - .actual_access:  read_only
        .address_space:  global
        .offset:         24
        .size:           8
        .value_kind:     global_buffer
      - .actual_access:  read_only
        .address_space:  global
        .offset:         32
        .size:           8
        .value_kind:     global_buffer
      - .actual_access:  read_only
        .address_space:  global
        .offset:         40
        .size:           8
        .value_kind:     global_buffer
      - .actual_access:  write_only
        .address_space:  global
        .offset:         48
        .size:           8
        .value_kind:     global_buffer
      - .actual_access:  read_only
        .address_space:  global
        .offset:         56
        .size:           8
        .value_kind:     global_buffer
      - .offset:         64
        .size:           4
        .value_kind:     hidden_block_count_x
      - .offset:         68
        .size:           4
        .value_kind:     hidden_block_count_y
      - .offset:         72
        .size:           4
        .value_kind:     hidden_block_count_z
      - .offset:         76
        .size:           2
        .value_kind:     hidden_group_size_x
      - .offset:         78
        .size:           2
        .value_kind:     hidden_group_size_y
      - .offset:         80
        .size:           2
        .value_kind:     hidden_group_size_z
      - .offset:         82
        .size:           2
        .value_kind:     hidden_remainder_x
      - .offset:         84
        .size:           2
        .value_kind:     hidden_remainder_y
      - .offset:         86
        .size:           2
        .value_kind:     hidden_remainder_z
      - .offset:         104
        .size:           8
        .value_kind:     hidden_global_offset_x
      - .offset:         112
        .size:           8
        .value_kind:     hidden_global_offset_y
      - .offset:         120
        .size:           8
        .value_kind:     hidden_global_offset_z
      - .offset:         128
        .size:           2
        .value_kind:     hidden_grid_dims
      - .offset:         184
        .size:           4
        .value_kind:     hidden_dynamic_lds_size
    .group_segment_fixed_size: 0
    .kernarg_segment_align: 8
    .kernarg_segment_size: 320
    .language:       OpenCL C
    .language_version:
      - 2
      - 0
    .max_flat_workgroup_size: 1024
    .name:           _ZN2at6native12_GLOBAL__N_135GammaBetaBackwardCUDAKernelTemplateIN3c104HalfEfLj32ELj32ELj256ELb0ELb0ELb1EEEvllPKT_S7_PKT0_SA_PS5_SB_
    .private_segment_fixed_size: 108
    .sgpr_count:     44
    .sgpr_spill_count: 0
    .symbol:         _ZN2at6native12_GLOBAL__N_135GammaBetaBackwardCUDAKernelTemplateIN3c104HalfEfLj32ELj32ELj256ELb0ELb0ELb1EEEvllPKT_S7_PKT0_SA_PS5_SB_.kd
    .uniform_work_group_size: 1
    .uses_dynamic_stack: false
    .vgpr_count:     64
    .vgpr_spill_count: 49
    .wavefront_size: 64
  - .args:
      - .actual_access:  read_only
        .address_space:  global
        .offset:         0
        .size:           8
        .value_kind:     global_buffer
      - .actual_access:  read_only
        .address_space:  global
        .offset:         8
        .size:           8
        .value_kind:     global_buffer
      - .offset:         16
        .size:           8
        .value_kind:     by_value
      - .offset:         24
        .size:           8
        .value_kind:     by_value
      - .actual_access:  read_only
        .address_space:  global
        .offset:         32
        .size:           8
        .value_kind:     global_buffer
      - .actual_access:  read_only
        .address_space:  global
        .offset:         40
        .size:           8
        .value_kind:     global_buffer
      - .address_space:  global
        .offset:         48
        .size:           8
        .value_kind:     global_buffer
      - .address_space:  global
        .offset:         56
        .size:           8
        .value_kind:     global_buffer
      - .offset:         64
        .size:           4
        .value_kind:     hidden_block_count_x
      - .offset:         68
        .size:           4
        .value_kind:     hidden_block_count_y
      - .offset:         72
        .size:           4
        .value_kind:     hidden_block_count_z
      - .offset:         76
        .size:           2
        .value_kind:     hidden_group_size_x
      - .offset:         78
        .size:           2
        .value_kind:     hidden_group_size_y
      - .offset:         80
        .size:           2
        .value_kind:     hidden_group_size_z
      - .offset:         82
        .size:           2
        .value_kind:     hidden_remainder_x
      - .offset:         84
        .size:           2
        .value_kind:     hidden_remainder_y
      - .offset:         86
        .size:           2
        .value_kind:     hidden_remainder_z
      - .offset:         104
        .size:           8
        .value_kind:     hidden_global_offset_x
      - .offset:         112
        .size:           8
        .value_kind:     hidden_global_offset_y
      - .offset:         120
        .size:           8
        .value_kind:     hidden_global_offset_z
      - .offset:         128
        .size:           2
        .value_kind:     hidden_grid_dims
      - .offset:         184
        .size:           4
        .value_kind:     hidden_dynamic_lds_size
    .group_segment_fixed_size: 0
    .kernarg_segment_align: 8
    .kernarg_segment_size: 320
    .language:       OpenCL C
    .language_version:
      - 2
      - 0
    .max_flat_workgroup_size: 1024
    .name:           _ZN2at6native12_GLOBAL__N_118cuComputeGradInputIN3c108BFloat16EfLb1EEEvPKT_S7_llPKT0_SA_S7_PS5_
    .private_segment_fixed_size: 0
    .sgpr_count:     53
    .sgpr_spill_count: 0
    .symbol:         _ZN2at6native12_GLOBAL__N_118cuComputeGradInputIN3c108BFloat16EfLb1EEEvPKT_S7_llPKT0_SA_S7_PS5_.kd
    .uniform_work_group_size: 1
    .uses_dynamic_stack: false
    .vgpr_count:     29
    .vgpr_spill_count: 0
    .wavefront_size: 64
  - .args:
      - .actual_access:  read_only
        .address_space:  global
        .offset:         0
        .size:           8
        .value_kind:     global_buffer
      - .actual_access:  read_only
        .address_space:  global
        .offset:         8
        .size:           8
        .value_kind:     global_buffer
      - .actual_access:  read_only
        .address_space:  global
        .offset:         16
        .size:           8
        .value_kind:     global_buffer
      - .actual_access:  read_only
        .address_space:  global
        .offset:         24
        .size:           8
        .value_kind:     global_buffer
      - .actual_access:  read_only
        .address_space:  global
        .offset:         32
        .size:           8
        .value_kind:     global_buffer
      - .address_space:  global
        .offset:         40
        .size:           8
        .value_kind:     global_buffer
      - .offset:         48
        .size:           4
        .value_kind:     by_value
      - .offset:         56
        .size:           4
        .value_kind:     hidden_block_count_x
      - .offset:         60
        .size:           4
        .value_kind:     hidden_block_count_y
      - .offset:         64
        .size:           4
        .value_kind:     hidden_block_count_z
      - .offset:         68
        .size:           2
        .value_kind:     hidden_group_size_x
      - .offset:         70
        .size:           2
        .value_kind:     hidden_group_size_y
      - .offset:         72
        .size:           2
        .value_kind:     hidden_group_size_z
      - .offset:         74
        .size:           2
        .value_kind:     hidden_remainder_x
      - .offset:         76
        .size:           2
        .value_kind:     hidden_remainder_y
      - .offset:         78
        .size:           2
        .value_kind:     hidden_remainder_z
      - .offset:         96
        .size:           8
        .value_kind:     hidden_global_offset_x
      - .offset:         104
        .size:           8
        .value_kind:     hidden_global_offset_y
      - .offset:         112
        .size:           8
        .value_kind:     hidden_global_offset_z
      - .offset:         120
        .size:           2
        .value_kind:     hidden_grid_dims
      - .offset:         176
        .size:           4
        .value_kind:     hidden_dynamic_lds_size
    .group_segment_fixed_size: 0
    .kernarg_segment_align: 8
    .kernarg_segment_size: 312
    .language:       OpenCL C
    .language_version:
      - 2
      - 0
    .max_flat_workgroup_size: 1024
    .name:           _ZN2at6native12_GLOBAL__N_128layer_norm_grad_input_kernelIN3c108BFloat16EfLb1EEEvPKT_S7_PKT0_SA_S7_PS5_i
    .private_segment_fixed_size: 0
    .sgpr_count:     29
    .sgpr_spill_count: 0
    .symbol:         _ZN2at6native12_GLOBAL__N_128layer_norm_grad_input_kernelIN3c108BFloat16EfLb1EEEvPKT_S7_PKT0_SA_S7_PS5_i.kd
    .uniform_work_group_size: 1
    .uses_dynamic_stack: false
    .vgpr_count:     22
    .vgpr_spill_count: 0
    .wavefront_size: 64
  - .args:
      - .offset:         0
        .size:           8
        .value_kind:     by_value
      - .offset:         8
        .size:           8
        .value_kind:     by_value
      - .address_space:  global
        .offset:         16
        .size:           8
        .value_kind:     global_buffer
      - .address_space:  global
        .offset:         24
        .size:           8
        .value_kind:     global_buffer
      - .address_space:  global
        .offset:         32
        .size:           8
        .value_kind:     global_buffer
      - .address_space:  global
        .offset:         40
        .size:           8
        .value_kind:     global_buffer
      - .address_space:  global
        .offset:         48
        .size:           8
        .value_kind:     global_buffer
      - .address_space:  global
        .offset:         56
        .size:           8
        .value_kind:     global_buffer
      - .offset:         64
        .size:           4
        .value_kind:     hidden_block_count_x
      - .offset:         68
        .size:           4
        .value_kind:     hidden_block_count_y
      - .offset:         72
        .size:           4
        .value_kind:     hidden_block_count_z
      - .offset:         76
        .size:           2
        .value_kind:     hidden_group_size_x
      - .offset:         78
        .size:           2
        .value_kind:     hidden_group_size_y
      - .offset:         80
        .size:           2
        .value_kind:     hidden_group_size_z
      - .offset:         82
        .size:           2
        .value_kind:     hidden_remainder_x
      - .offset:         84
        .size:           2
        .value_kind:     hidden_remainder_y
      - .offset:         86
        .size:           2
        .value_kind:     hidden_remainder_z
      - .offset:         104
        .size:           8
        .value_kind:     hidden_global_offset_x
      - .offset:         112
        .size:           8
        .value_kind:     hidden_global_offset_y
      - .offset:         120
        .size:           8
        .value_kind:     hidden_global_offset_z
      - .offset:         128
        .size:           2
        .value_kind:     hidden_grid_dims
    .group_segment_fixed_size: 0
    .kernarg_segment_align: 8
    .kernarg_segment_size: 320
    .language:       OpenCL C
    .language_version:
      - 2
      - 0
    .max_flat_workgroup_size: 1024
    .name:           _ZN2at6native12_GLOBAL__N_133GammaBetaBackwardSimpleCUDAKernelIN3c108BFloat16EfLb1EEEvllPKT_S7_PKT0_SA_PS5_SB_
    .private_segment_fixed_size: 0
    .sgpr_count:     24
    .sgpr_spill_count: 0
    .symbol:         _ZN2at6native12_GLOBAL__N_133GammaBetaBackwardSimpleCUDAKernelIN3c108BFloat16EfLb1EEEvllPKT_S7_PKT0_SA_PS5_SB_.kd
    .uniform_work_group_size: 1
    .uses_dynamic_stack: false
    .vgpr_count:     12
    .vgpr_spill_count: 0
    .wavefront_size: 64
  - .args:
      - .offset:         0
        .size:           8
        .value_kind:     by_value
      - .offset:         8
        .size:           8
        .value_kind:     by_value
      - .actual_access:  read_only
        .address_space:  global
        .offset:         16
        .size:           8
        .value_kind:     global_buffer
      - .actual_access:  read_only
        .address_space:  global
        .offset:         24
        .size:           8
        .value_kind:     global_buffer
      - .actual_access:  read_only
        .address_space:  global
        .offset:         32
        .size:           8
        .value_kind:     global_buffer
      - .actual_access:  read_only
        .address_space:  global
        .offset:         40
        .size:           8
        .value_kind:     global_buffer
      - .actual_access:  write_only
        .address_space:  global
        .offset:         48
        .size:           8
        .value_kind:     global_buffer
      - .actual_access:  read_only
        .address_space:  global
        .offset:         56
        .size:           8
        .value_kind:     global_buffer
      - .offset:         64
        .size:           4
        .value_kind:     hidden_block_count_x
      - .offset:         68
        .size:           4
        .value_kind:     hidden_block_count_y
      - .offset:         72
        .size:           4
        .value_kind:     hidden_block_count_z
      - .offset:         76
        .size:           2
        .value_kind:     hidden_group_size_x
      - .offset:         78
        .size:           2
        .value_kind:     hidden_group_size_y
      - .offset:         80
        .size:           2
        .value_kind:     hidden_group_size_z
      - .offset:         82
        .size:           2
        .value_kind:     hidden_remainder_x
      - .offset:         84
        .size:           2
        .value_kind:     hidden_remainder_y
      - .offset:         86
        .size:           2
        .value_kind:     hidden_remainder_z
      - .offset:         104
        .size:           8
        .value_kind:     hidden_global_offset_x
      - .offset:         112
        .size:           8
        .value_kind:     hidden_global_offset_y
      - .offset:         120
        .size:           8
        .value_kind:     hidden_global_offset_z
      - .offset:         128
        .size:           2
        .value_kind:     hidden_grid_dims
    .group_segment_fixed_size: 0
    .kernarg_segment_align: 8
    .kernarg_segment_size: 320
    .language:       OpenCL C
    .language_version:
      - 2
      - 0
    .max_flat_workgroup_size: 64
    .name:           _ZN2at6native12_GLOBAL__N_135GammaBetaBackwardCUDAKernelTemplateIN3c108BFloat16EfLj64ELj1ELj32ELb1ELb1ELb1EEEvllPKT_S7_PKT0_SA_PS5_SB_
    .private_segment_fixed_size: 0
    .sgpr_count:     36
    .sgpr_spill_count: 0
    .symbol:         _ZN2at6native12_GLOBAL__N_135GammaBetaBackwardCUDAKernelTemplateIN3c108BFloat16EfLj64ELj1ELj32ELb1ELb1ELb1EEEvllPKT_S7_PKT0_SA_PS5_SB_.kd
    .uniform_work_group_size: 1
    .uses_dynamic_stack: false
    .vgpr_count:     48
    .vgpr_spill_count: 0
    .wavefront_size: 64
  - .args:
      - .offset:         0
        .size:           8
        .value_kind:     by_value
      - .offset:         8
        .size:           8
        .value_kind:     by_value
      - .actual_access:  read_only
        .address_space:  global
        .offset:         16
        .size:           8
        .value_kind:     global_buffer
      - .actual_access:  read_only
        .address_space:  global
        .offset:         24
        .size:           8
        .value_kind:     global_buffer
      - .actual_access:  read_only
        .address_space:  global
        .offset:         32
        .size:           8
        .value_kind:     global_buffer
      - .actual_access:  read_only
        .address_space:  global
        .offset:         40
        .size:           8
        .value_kind:     global_buffer
      - .actual_access:  write_only
        .address_space:  global
        .offset:         48
        .size:           8
        .value_kind:     global_buffer
      - .actual_access:  read_only
        .address_space:  global
        .offset:         56
        .size:           8
        .value_kind:     global_buffer
      - .offset:         64
        .size:           4
        .value_kind:     hidden_block_count_x
      - .offset:         68
        .size:           4
        .value_kind:     hidden_block_count_y
      - .offset:         72
        .size:           4
        .value_kind:     hidden_block_count_z
      - .offset:         76
        .size:           2
        .value_kind:     hidden_group_size_x
      - .offset:         78
        .size:           2
        .value_kind:     hidden_group_size_y
      - .offset:         80
        .size:           2
        .value_kind:     hidden_group_size_z
      - .offset:         82
        .size:           2
        .value_kind:     hidden_remainder_x
      - .offset:         84
        .size:           2
        .value_kind:     hidden_remainder_y
      - .offset:         86
        .size:           2
        .value_kind:     hidden_remainder_z
      - .offset:         104
        .size:           8
        .value_kind:     hidden_global_offset_x
      - .offset:         112
        .size:           8
        .value_kind:     hidden_global_offset_y
      - .offset:         120
        .size:           8
        .value_kind:     hidden_global_offset_z
      - .offset:         128
        .size:           2
        .value_kind:     hidden_grid_dims
    .group_segment_fixed_size: 0
    .kernarg_segment_align: 8
    .kernarg_segment_size: 320
    .language:       OpenCL C
    .language_version:
      - 2
      - 0
    .max_flat_workgroup_size: 64
    .name:           _ZN2at6native12_GLOBAL__N_135GammaBetaBackwardCUDAKernelTemplateIN3c108BFloat16EfLj64ELj1ELj32ELb1ELb0ELb1EEEvllPKT_S7_PKT0_SA_PS5_SB_
    .private_segment_fixed_size: 304
    .sgpr_count:     44
    .sgpr_spill_count: 0
    .symbol:         _ZN2at6native12_GLOBAL__N_135GammaBetaBackwardCUDAKernelTemplateIN3c108BFloat16EfLj64ELj1ELj32ELb1ELb0ELb1EEEvllPKT_S7_PKT0_SA_PS5_SB_.kd
    .uniform_work_group_size: 1
    .uses_dynamic_stack: false
    .vgpr_count:     256
    .vgpr_spill_count: 148
    .wavefront_size: 64
  - .args:
      - .offset:         0
        .size:           8
        .value_kind:     by_value
      - .offset:         8
        .size:           8
        .value_kind:     by_value
      - .actual_access:  read_only
        .address_space:  global
        .offset:         16
        .size:           8
        .value_kind:     global_buffer
      - .actual_access:  read_only
        .address_space:  global
        .offset:         24
        .size:           8
        .value_kind:     global_buffer
      - .actual_access:  read_only
        .address_space:  global
        .offset:         32
        .size:           8
        .value_kind:     global_buffer
      - .actual_access:  read_only
        .address_space:  global
        .offset:         40
        .size:           8
        .value_kind:     global_buffer
      - .actual_access:  write_only
        .address_space:  global
        .offset:         48
        .size:           8
        .value_kind:     global_buffer
      - .actual_access:  read_only
        .address_space:  global
        .offset:         56
        .size:           8
        .value_kind:     global_buffer
      - .offset:         64
        .size:           4
        .value_kind:     hidden_block_count_x
      - .offset:         68
        .size:           4
        .value_kind:     hidden_block_count_y
      - .offset:         72
        .size:           4
        .value_kind:     hidden_block_count_z
      - .offset:         76
        .size:           2
        .value_kind:     hidden_group_size_x
      - .offset:         78
        .size:           2
        .value_kind:     hidden_group_size_y
      - .offset:         80
        .size:           2
        .value_kind:     hidden_group_size_z
      - .offset:         82
        .size:           2
        .value_kind:     hidden_remainder_x
      - .offset:         84
        .size:           2
        .value_kind:     hidden_remainder_y
      - .offset:         86
        .size:           2
        .value_kind:     hidden_remainder_z
      - .offset:         104
        .size:           8
        .value_kind:     hidden_global_offset_x
      - .offset:         112
        .size:           8
        .value_kind:     hidden_global_offset_y
      - .offset:         120
        .size:           8
        .value_kind:     hidden_global_offset_z
      - .offset:         128
        .size:           2
        .value_kind:     hidden_grid_dims
    .group_segment_fixed_size: 0
    .kernarg_segment_align: 8
    .kernarg_segment_size: 320
    .language:       OpenCL C
    .language_version:
      - 2
      - 0
    .max_flat_workgroup_size: 64
    .name:           _ZN2at6native12_GLOBAL__N_135GammaBetaBackwardCUDAKernelTemplateIN3c108BFloat16EfLj64ELj1ELj8ELb1ELb1ELb1EEEvllPKT_S7_PKT0_SA_PS5_SB_
    .private_segment_fixed_size: 0
    .sgpr_count:     36
    .sgpr_spill_count: 0
    .symbol:         _ZN2at6native12_GLOBAL__N_135GammaBetaBackwardCUDAKernelTemplateIN3c108BFloat16EfLj64ELj1ELj8ELb1ELb1ELb1EEEvllPKT_S7_PKT0_SA_PS5_SB_.kd
    .uniform_work_group_size: 1
    .uses_dynamic_stack: false
    .vgpr_count:     24
    .vgpr_spill_count: 0
    .wavefront_size: 64
  - .args:
      - .offset:         0
        .size:           8
        .value_kind:     by_value
      - .offset:         8
        .size:           8
        .value_kind:     by_value
      - .actual_access:  read_only
        .address_space:  global
        .offset:         16
        .size:           8
        .value_kind:     global_buffer
      - .actual_access:  read_only
        .address_space:  global
        .offset:         24
        .size:           8
        .value_kind:     global_buffer
      - .actual_access:  read_only
        .address_space:  global
        .offset:         32
        .size:           8
        .value_kind:     global_buffer
      - .actual_access:  read_only
        .address_space:  global
        .offset:         40
        .size:           8
        .value_kind:     global_buffer
      - .actual_access:  write_only
        .address_space:  global
        .offset:         48
        .size:           8
        .value_kind:     global_buffer
      - .actual_access:  read_only
        .address_space:  global
        .offset:         56
        .size:           8
        .value_kind:     global_buffer
      - .offset:         64
        .size:           4
        .value_kind:     hidden_block_count_x
      - .offset:         68
        .size:           4
        .value_kind:     hidden_block_count_y
      - .offset:         72
        .size:           4
        .value_kind:     hidden_block_count_z
      - .offset:         76
        .size:           2
        .value_kind:     hidden_group_size_x
      - .offset:         78
        .size:           2
        .value_kind:     hidden_group_size_y
      - .offset:         80
        .size:           2
        .value_kind:     hidden_group_size_z
      - .offset:         82
        .size:           2
        .value_kind:     hidden_remainder_x
      - .offset:         84
        .size:           2
        .value_kind:     hidden_remainder_y
      - .offset:         86
        .size:           2
        .value_kind:     hidden_remainder_z
      - .offset:         104
        .size:           8
        .value_kind:     hidden_global_offset_x
      - .offset:         112
        .size:           8
        .value_kind:     hidden_global_offset_y
      - .offset:         120
        .size:           8
        .value_kind:     hidden_global_offset_z
      - .offset:         128
        .size:           2
        .value_kind:     hidden_grid_dims
    .group_segment_fixed_size: 0
    .kernarg_segment_align: 8
    .kernarg_segment_size: 320
    .language:       OpenCL C
    .language_version:
      - 2
      - 0
    .max_flat_workgroup_size: 64
    .name:           _ZN2at6native12_GLOBAL__N_135GammaBetaBackwardCUDAKernelTemplateIN3c108BFloat16EfLj64ELj1ELj8ELb1ELb0ELb1EEEvllPKT_S7_PKT0_SA_PS5_SB_
    .private_segment_fixed_size: 0
    .sgpr_count:     40
    .sgpr_spill_count: 0
    .symbol:         _ZN2at6native12_GLOBAL__N_135GammaBetaBackwardCUDAKernelTemplateIN3c108BFloat16EfLj64ELj1ELj8ELb1ELb0ELb1EEEvllPKT_S7_PKT0_SA_PS5_SB_.kd
    .uniform_work_group_size: 1
    .uses_dynamic_stack: false
    .vgpr_count:     91
    .vgpr_spill_count: 0
    .wavefront_size: 64
  - .args:
      - .offset:         0
        .size:           8
        .value_kind:     by_value
      - .offset:         8
        .size:           8
        .value_kind:     by_value
      - .actual_access:  read_only
        .address_space:  global
        .offset:         16
        .size:           8
        .value_kind:     global_buffer
      - .actual_access:  read_only
        .address_space:  global
        .offset:         24
        .size:           8
        .value_kind:     global_buffer
      - .actual_access:  read_only
        .address_space:  global
        .offset:         32
        .size:           8
        .value_kind:     global_buffer
      - .actual_access:  read_only
        .address_space:  global
        .offset:         40
        .size:           8
        .value_kind:     global_buffer
      - .actual_access:  write_only
        .address_space:  global
        .offset:         48
        .size:           8
        .value_kind:     global_buffer
      - .actual_access:  read_only
        .address_space:  global
        .offset:         56
        .size:           8
        .value_kind:     global_buffer
      - .offset:         64
        .size:           4
        .value_kind:     hidden_block_count_x
      - .offset:         68
        .size:           4
        .value_kind:     hidden_block_count_y
      - .offset:         72
        .size:           4
        .value_kind:     hidden_block_count_z
      - .offset:         76
        .size:           2
        .value_kind:     hidden_group_size_x
      - .offset:         78
        .size:           2
        .value_kind:     hidden_group_size_y
      - .offset:         80
        .size:           2
        .value_kind:     hidden_group_size_z
      - .offset:         82
        .size:           2
        .value_kind:     hidden_remainder_x
      - .offset:         84
        .size:           2
        .value_kind:     hidden_remainder_y
      - .offset:         86
        .size:           2
        .value_kind:     hidden_remainder_z
      - .offset:         104
        .size:           8
        .value_kind:     hidden_global_offset_x
      - .offset:         112
        .size:           8
        .value_kind:     hidden_global_offset_y
      - .offset:         120
        .size:           8
        .value_kind:     hidden_global_offset_z
      - .offset:         128
        .size:           2
        .value_kind:     hidden_grid_dims
      - .offset:         184
        .size:           4
        .value_kind:     hidden_dynamic_lds_size
    .group_segment_fixed_size: 0
    .kernarg_segment_align: 8
    .kernarg_segment_size: 320
    .language:       OpenCL C
    .language_version:
      - 2
      - 0
    .max_flat_workgroup_size: 512
    .name:           _ZN2at6native12_GLOBAL__N_135GammaBetaBackwardCUDAKernelTemplateIN3c108BFloat16EfLj64ELj8ELj64ELb0ELb1ELb1EEEvllPKT_S7_PKT0_SA_PS5_SB_
    .private_segment_fixed_size: 0
    .sgpr_count:     30
    .sgpr_spill_count: 0
    .symbol:         _ZN2at6native12_GLOBAL__N_135GammaBetaBackwardCUDAKernelTemplateIN3c108BFloat16EfLj64ELj8ELj64ELb0ELb1ELb1EEEvllPKT_S7_PKT0_SA_PS5_SB_.kd
    .uniform_work_group_size: 1
    .uses_dynamic_stack: false
    .vgpr_count:     23
    .vgpr_spill_count: 0
    .wavefront_size: 64
  - .args:
      - .offset:         0
        .size:           8
        .value_kind:     by_value
      - .offset:         8
        .size:           8
        .value_kind:     by_value
      - .actual_access:  read_only
        .address_space:  global
        .offset:         16
        .size:           8
        .value_kind:     global_buffer
      - .actual_access:  read_only
        .address_space:  global
        .offset:         24
        .size:           8
        .value_kind:     global_buffer
      - .actual_access:  read_only
        .address_space:  global
        .offset:         32
        .size:           8
        .value_kind:     global_buffer
      - .actual_access:  read_only
        .address_space:  global
        .offset:         40
        .size:           8
        .value_kind:     global_buffer
      - .actual_access:  write_only
        .address_space:  global
        .offset:         48
        .size:           8
        .value_kind:     global_buffer
      - .actual_access:  read_only
        .address_space:  global
        .offset:         56
        .size:           8
        .value_kind:     global_buffer
      - .offset:         64
        .size:           4
        .value_kind:     hidden_block_count_x
      - .offset:         68
        .size:           4
        .value_kind:     hidden_block_count_y
      - .offset:         72
        .size:           4
        .value_kind:     hidden_block_count_z
      - .offset:         76
        .size:           2
        .value_kind:     hidden_group_size_x
      - .offset:         78
        .size:           2
        .value_kind:     hidden_group_size_y
      - .offset:         80
        .size:           2
        .value_kind:     hidden_group_size_z
      - .offset:         82
        .size:           2
        .value_kind:     hidden_remainder_x
      - .offset:         84
        .size:           2
        .value_kind:     hidden_remainder_y
      - .offset:         86
        .size:           2
        .value_kind:     hidden_remainder_z
      - .offset:         104
        .size:           8
        .value_kind:     hidden_global_offset_x
      - .offset:         112
        .size:           8
        .value_kind:     hidden_global_offset_y
      - .offset:         120
        .size:           8
        .value_kind:     hidden_global_offset_z
      - .offset:         128
        .size:           2
        .value_kind:     hidden_grid_dims
      - .offset:         184
        .size:           4
        .value_kind:     hidden_dynamic_lds_size
    .group_segment_fixed_size: 0
    .kernarg_segment_align: 8
    .kernarg_segment_size: 320
    .language:       OpenCL C
    .language_version:
      - 2
      - 0
    .max_flat_workgroup_size: 512
    .name:           _ZN2at6native12_GLOBAL__N_135GammaBetaBackwardCUDAKernelTemplateIN3c108BFloat16EfLj64ELj8ELj64ELb0ELb0ELb1EEEvllPKT_S7_PKT0_SA_PS5_SB_
    .private_segment_fixed_size: 0
    .sgpr_count:     38
    .sgpr_spill_count: 0
    .symbol:         _ZN2at6native12_GLOBAL__N_135GammaBetaBackwardCUDAKernelTemplateIN3c108BFloat16EfLj64ELj8ELj64ELb0ELb0ELb1EEEvllPKT_S7_PKT0_SA_PS5_SB_.kd
    .uniform_work_group_size: 1
    .uses_dynamic_stack: false
    .vgpr_count:     90
    .vgpr_spill_count: 0
    .wavefront_size: 64
  - .args:
      - .offset:         0
        .size:           8
        .value_kind:     by_value
      - .offset:         8
        .size:           8
        .value_kind:     by_value
      - .actual_access:  read_only
        .address_space:  global
        .offset:         16
        .size:           8
        .value_kind:     global_buffer
      - .actual_access:  read_only
        .address_space:  global
        .offset:         24
        .size:           8
        .value_kind:     global_buffer
      - .actual_access:  read_only
        .address_space:  global
        .offset:         32
        .size:           8
        .value_kind:     global_buffer
      - .actual_access:  read_only
        .address_space:  global
        .offset:         40
        .size:           8
        .value_kind:     global_buffer
      - .actual_access:  write_only
        .address_space:  global
        .offset:         48
        .size:           8
        .value_kind:     global_buffer
      - .actual_access:  read_only
        .address_space:  global
        .offset:         56
        .size:           8
        .value_kind:     global_buffer
      - .offset:         64
        .size:           4
        .value_kind:     hidden_block_count_x
      - .offset:         68
        .size:           4
        .value_kind:     hidden_block_count_y
      - .offset:         72
        .size:           4
        .value_kind:     hidden_block_count_z
      - .offset:         76
        .size:           2
        .value_kind:     hidden_group_size_x
      - .offset:         78
        .size:           2
        .value_kind:     hidden_group_size_y
      - .offset:         80
        .size:           2
        .value_kind:     hidden_group_size_z
      - .offset:         82
        .size:           2
        .value_kind:     hidden_remainder_x
      - .offset:         84
        .size:           2
        .value_kind:     hidden_remainder_y
      - .offset:         86
        .size:           2
        .value_kind:     hidden_remainder_z
      - .offset:         104
        .size:           8
        .value_kind:     hidden_global_offset_x
      - .offset:         112
        .size:           8
        .value_kind:     hidden_global_offset_y
      - .offset:         120
        .size:           8
        .value_kind:     hidden_global_offset_z
      - .offset:         128
        .size:           2
        .value_kind:     hidden_grid_dims
      - .offset:         184
        .size:           4
        .value_kind:     hidden_dynamic_lds_size
    .group_segment_fixed_size: 0
    .kernarg_segment_align: 8
    .kernarg_segment_size: 320
    .language:       OpenCL C
    .language_version:
      - 2
      - 0
    .max_flat_workgroup_size: 1024
    .name:           _ZN2at6native12_GLOBAL__N_135GammaBetaBackwardCUDAKernelTemplateIN3c108BFloat16EfLj64ELj16ELj128ELb0ELb1ELb1EEEvllPKT_S7_PKT0_SA_PS5_SB_
    .private_segment_fixed_size: 0
    .sgpr_count:     30
    .sgpr_spill_count: 0
    .symbol:         _ZN2at6native12_GLOBAL__N_135GammaBetaBackwardCUDAKernelTemplateIN3c108BFloat16EfLj64ELj16ELj128ELb0ELb1ELb1EEEvllPKT_S7_PKT0_SA_PS5_SB_.kd
    .uniform_work_group_size: 1
    .uses_dynamic_stack: false
    .vgpr_count:     23
    .vgpr_spill_count: 0
    .wavefront_size: 64
  - .args:
      - .offset:         0
        .size:           8
        .value_kind:     by_value
      - .offset:         8
        .size:           8
        .value_kind:     by_value
      - .actual_access:  read_only
        .address_space:  global
        .offset:         16
        .size:           8
        .value_kind:     global_buffer
      - .actual_access:  read_only
        .address_space:  global
        .offset:         24
        .size:           8
        .value_kind:     global_buffer
      - .actual_access:  read_only
        .address_space:  global
        .offset:         32
        .size:           8
        .value_kind:     global_buffer
      - .actual_access:  read_only
        .address_space:  global
        .offset:         40
        .size:           8
        .value_kind:     global_buffer
      - .actual_access:  write_only
        .address_space:  global
        .offset:         48
        .size:           8
        .value_kind:     global_buffer
      - .actual_access:  read_only
        .address_space:  global
        .offset:         56
        .size:           8
        .value_kind:     global_buffer
      - .offset:         64
        .size:           4
        .value_kind:     hidden_block_count_x
      - .offset:         68
        .size:           4
        .value_kind:     hidden_block_count_y
      - .offset:         72
        .size:           4
        .value_kind:     hidden_block_count_z
      - .offset:         76
        .size:           2
        .value_kind:     hidden_group_size_x
      - .offset:         78
        .size:           2
        .value_kind:     hidden_group_size_y
      - .offset:         80
        .size:           2
        .value_kind:     hidden_group_size_z
      - .offset:         82
        .size:           2
        .value_kind:     hidden_remainder_x
      - .offset:         84
        .size:           2
        .value_kind:     hidden_remainder_y
      - .offset:         86
        .size:           2
        .value_kind:     hidden_remainder_z
      - .offset:         104
        .size:           8
        .value_kind:     hidden_global_offset_x
      - .offset:         112
        .size:           8
        .value_kind:     hidden_global_offset_y
      - .offset:         120
        .size:           8
        .value_kind:     hidden_global_offset_z
      - .offset:         128
        .size:           2
        .value_kind:     hidden_grid_dims
      - .offset:         184
        .size:           4
        .value_kind:     hidden_dynamic_lds_size
    .group_segment_fixed_size: 0
    .kernarg_segment_align: 8
    .kernarg_segment_size: 320
    .language:       OpenCL C
    .language_version:
      - 2
      - 0
    .max_flat_workgroup_size: 1024
    .name:           _ZN2at6native12_GLOBAL__N_135GammaBetaBackwardCUDAKernelTemplateIN3c108BFloat16EfLj64ELj16ELj128ELb0ELb0ELb1EEEvllPKT_S7_PKT0_SA_PS5_SB_
    .private_segment_fixed_size: 108
    .sgpr_count:     44
    .sgpr_spill_count: 0
    .symbol:         _ZN2at6native12_GLOBAL__N_135GammaBetaBackwardCUDAKernelTemplateIN3c108BFloat16EfLj64ELj16ELj128ELb0ELb0ELb1EEEvllPKT_S7_PKT0_SA_PS5_SB_.kd
    .uniform_work_group_size: 1
    .uses_dynamic_stack: false
    .vgpr_count:     64
    .vgpr_spill_count: 49
    .wavefront_size: 64
  - .args:
      - .offset:         0
        .size:           8
        .value_kind:     by_value
      - .offset:         8
        .size:           8
        .value_kind:     by_value
      - .actual_access:  read_only
        .address_space:  global
        .offset:         16
        .size:           8
        .value_kind:     global_buffer
      - .actual_access:  read_only
        .address_space:  global
        .offset:         24
        .size:           8
        .value_kind:     global_buffer
      - .actual_access:  read_only
        .address_space:  global
        .offset:         32
        .size:           8
        .value_kind:     global_buffer
      - .actual_access:  read_only
        .address_space:  global
        .offset:         40
        .size:           8
        .value_kind:     global_buffer
      - .actual_access:  write_only
        .address_space:  global
        .offset:         48
        .size:           8
        .value_kind:     global_buffer
      - .actual_access:  read_only
        .address_space:  global
        .offset:         56
        .size:           8
        .value_kind:     global_buffer
      - .offset:         64
        .size:           4
        .value_kind:     hidden_block_count_x
      - .offset:         68
        .size:           4
        .value_kind:     hidden_block_count_y
      - .offset:         72
        .size:           4
        .value_kind:     hidden_block_count_z
      - .offset:         76
        .size:           2
        .value_kind:     hidden_group_size_x
      - .offset:         78
        .size:           2
        .value_kind:     hidden_group_size_y
      - .offset:         80
        .size:           2
        .value_kind:     hidden_group_size_z
      - .offset:         82
        .size:           2
        .value_kind:     hidden_remainder_x
      - .offset:         84
        .size:           2
        .value_kind:     hidden_remainder_y
      - .offset:         86
        .size:           2
        .value_kind:     hidden_remainder_z
      - .offset:         104
        .size:           8
        .value_kind:     hidden_global_offset_x
      - .offset:         112
        .size:           8
        .value_kind:     hidden_global_offset_y
      - .offset:         120
        .size:           8
        .value_kind:     hidden_global_offset_z
      - .offset:         128
        .size:           2
        .value_kind:     hidden_grid_dims
      - .offset:         184
        .size:           4
        .value_kind:     hidden_dynamic_lds_size
    .group_segment_fixed_size: 0
    .kernarg_segment_align: 8
    .kernarg_segment_size: 320
    .language:       OpenCL C
    .language_version:
      - 2
      - 0
    .max_flat_workgroup_size: 1024
    .name:           _ZN2at6native12_GLOBAL__N_135GammaBetaBackwardCUDAKernelTemplateIN3c108BFloat16EfLj64ELj16ELj256ELb0ELb1ELb1EEEvllPKT_S7_PKT0_SA_PS5_SB_
    .private_segment_fixed_size: 0
    .sgpr_count:     30
    .sgpr_spill_count: 0
    .symbol:         _ZN2at6native12_GLOBAL__N_135GammaBetaBackwardCUDAKernelTemplateIN3c108BFloat16EfLj64ELj16ELj256ELb0ELb1ELb1EEEvllPKT_S7_PKT0_SA_PS5_SB_.kd
    .uniform_work_group_size: 1
    .uses_dynamic_stack: false
    .vgpr_count:     31
    .vgpr_spill_count: 0
    .wavefront_size: 64
  - .args:
      - .offset:         0
        .size:           8
        .value_kind:     by_value
      - .offset:         8
        .size:           8
        .value_kind:     by_value
      - .actual_access:  read_only
        .address_space:  global
        .offset:         16
        .size:           8
        .value_kind:     global_buffer
      - .actual_access:  read_only
        .address_space:  global
        .offset:         24
        .size:           8
        .value_kind:     global_buffer
      - .actual_access:  read_only
        .address_space:  global
        .offset:         32
        .size:           8
        .value_kind:     global_buffer
      - .actual_access:  read_only
        .address_space:  global
        .offset:         40
        .size:           8
        .value_kind:     global_buffer
      - .actual_access:  write_only
        .address_space:  global
        .offset:         48
        .size:           8
        .value_kind:     global_buffer
      - .actual_access:  read_only
        .address_space:  global
        .offset:         56
        .size:           8
        .value_kind:     global_buffer
      - .offset:         64
        .size:           4
        .value_kind:     hidden_block_count_x
      - .offset:         68
        .size:           4
        .value_kind:     hidden_block_count_y
      - .offset:         72
        .size:           4
        .value_kind:     hidden_block_count_z
      - .offset:         76
        .size:           2
        .value_kind:     hidden_group_size_x
      - .offset:         78
        .size:           2
        .value_kind:     hidden_group_size_y
      - .offset:         80
        .size:           2
        .value_kind:     hidden_group_size_z
      - .offset:         82
        .size:           2
        .value_kind:     hidden_remainder_x
      - .offset:         84
        .size:           2
        .value_kind:     hidden_remainder_y
      - .offset:         86
        .size:           2
        .value_kind:     hidden_remainder_z
      - .offset:         104
        .size:           8
        .value_kind:     hidden_global_offset_x
      - .offset:         112
        .size:           8
        .value_kind:     hidden_global_offset_y
      - .offset:         120
        .size:           8
        .value_kind:     hidden_global_offset_z
      - .offset:         128
        .size:           2
        .value_kind:     hidden_grid_dims
      - .offset:         184
        .size:           4
        .value_kind:     hidden_dynamic_lds_size
    .group_segment_fixed_size: 0
    .kernarg_segment_align: 8
    .kernarg_segment_size: 320
    .language:       OpenCL C
    .language_version:
      - 2
      - 0
    .max_flat_workgroup_size: 1024
    .name:           _ZN2at6native12_GLOBAL__N_135GammaBetaBackwardCUDAKernelTemplateIN3c108BFloat16EfLj64ELj16ELj256ELb0ELb0ELb1EEEvllPKT_S7_PKT0_SA_PS5_SB_
    .private_segment_fixed_size: 420
    .sgpr_count:     44
    .sgpr_spill_count: 0
    .symbol:         _ZN2at6native12_GLOBAL__N_135GammaBetaBackwardCUDAKernelTemplateIN3c108BFloat16EfLj64ELj16ELj256ELb0ELb0ELb1EEEvllPKT_S7_PKT0_SA_PS5_SB_.kd
    .uniform_work_group_size: 1
    .uses_dynamic_stack: false
    .vgpr_count:     64
    .vgpr_spill_count: 296
    .wavefront_size: 64
  - .args:
      - .offset:         0
        .size:           8
        .value_kind:     by_value
      - .offset:         8
        .size:           8
        .value_kind:     by_value
      - .actual_access:  read_only
        .address_space:  global
        .offset:         16
        .size:           8
        .value_kind:     global_buffer
      - .actual_access:  read_only
        .address_space:  global
        .offset:         24
        .size:           8
        .value_kind:     global_buffer
      - .actual_access:  read_only
        .address_space:  global
        .offset:         32
        .size:           8
        .value_kind:     global_buffer
      - .actual_access:  read_only
        .address_space:  global
        .offset:         40
        .size:           8
        .value_kind:     global_buffer
      - .actual_access:  write_only
        .address_space:  global
        .offset:         48
        .size:           8
        .value_kind:     global_buffer
      - .actual_access:  read_only
        .address_space:  global
        .offset:         56
        .size:           8
        .value_kind:     global_buffer
      - .offset:         64
        .size:           4
        .value_kind:     hidden_block_count_x
      - .offset:         68
        .size:           4
        .value_kind:     hidden_block_count_y
      - .offset:         72
        .size:           4
        .value_kind:     hidden_block_count_z
      - .offset:         76
        .size:           2
        .value_kind:     hidden_group_size_x
      - .offset:         78
        .size:           2
        .value_kind:     hidden_group_size_y
      - .offset:         80
        .size:           2
        .value_kind:     hidden_group_size_z
      - .offset:         82
        .size:           2
        .value_kind:     hidden_remainder_x
      - .offset:         84
        .size:           2
        .value_kind:     hidden_remainder_y
      - .offset:         86
        .size:           2
        .value_kind:     hidden_remainder_z
      - .offset:         104
        .size:           8
        .value_kind:     hidden_global_offset_x
      - .offset:         112
        .size:           8
        .value_kind:     hidden_global_offset_y
      - .offset:         120
        .size:           8
        .value_kind:     hidden_global_offset_z
      - .offset:         128
        .size:           2
        .value_kind:     hidden_grid_dims
    .group_segment_fixed_size: 0
    .kernarg_segment_align: 8
    .kernarg_segment_size: 320
    .language:       OpenCL C
    .language_version:
      - 2
      - 0
    .max_flat_workgroup_size: 32
    .name:           _ZN2at6native12_GLOBAL__N_135GammaBetaBackwardCUDAKernelTemplateIN3c108BFloat16EfLj32ELj1ELj32ELb1ELb1ELb1EEEvllPKT_S7_PKT0_SA_PS5_SB_
    .private_segment_fixed_size: 0
    .sgpr_count:     36
    .sgpr_spill_count: 0
    .symbol:         _ZN2at6native12_GLOBAL__N_135GammaBetaBackwardCUDAKernelTemplateIN3c108BFloat16EfLj32ELj1ELj32ELb1ELb1ELb1EEEvllPKT_S7_PKT0_SA_PS5_SB_.kd
    .uniform_work_group_size: 1
    .uses_dynamic_stack: false
    .vgpr_count:     48
    .vgpr_spill_count: 0
    .wavefront_size: 64
  - .args:
      - .offset:         0
        .size:           8
        .value_kind:     by_value
      - .offset:         8
        .size:           8
        .value_kind:     by_value
      - .actual_access:  read_only
        .address_space:  global
        .offset:         16
        .size:           8
        .value_kind:     global_buffer
      - .actual_access:  read_only
        .address_space:  global
        .offset:         24
        .size:           8
        .value_kind:     global_buffer
      - .actual_access:  read_only
        .address_space:  global
        .offset:         32
        .size:           8
        .value_kind:     global_buffer
      - .actual_access:  read_only
        .address_space:  global
        .offset:         40
        .size:           8
        .value_kind:     global_buffer
      - .actual_access:  write_only
        .address_space:  global
        .offset:         48
        .size:           8
        .value_kind:     global_buffer
      - .actual_access:  read_only
        .address_space:  global
        .offset:         56
        .size:           8
        .value_kind:     global_buffer
      - .offset:         64
        .size:           4
        .value_kind:     hidden_block_count_x
      - .offset:         68
        .size:           4
        .value_kind:     hidden_block_count_y
      - .offset:         72
        .size:           4
        .value_kind:     hidden_block_count_z
      - .offset:         76
        .size:           2
        .value_kind:     hidden_group_size_x
      - .offset:         78
        .size:           2
        .value_kind:     hidden_group_size_y
      - .offset:         80
        .size:           2
        .value_kind:     hidden_group_size_z
      - .offset:         82
        .size:           2
        .value_kind:     hidden_remainder_x
      - .offset:         84
        .size:           2
        .value_kind:     hidden_remainder_y
      - .offset:         86
        .size:           2
        .value_kind:     hidden_remainder_z
      - .offset:         104
        .size:           8
        .value_kind:     hidden_global_offset_x
      - .offset:         112
        .size:           8
        .value_kind:     hidden_global_offset_y
      - .offset:         120
        .size:           8
        .value_kind:     hidden_global_offset_z
      - .offset:         128
        .size:           2
        .value_kind:     hidden_grid_dims
    .group_segment_fixed_size: 0
    .kernarg_segment_align: 8
    .kernarg_segment_size: 320
    .language:       OpenCL C
    .language_version:
      - 2
      - 0
    .max_flat_workgroup_size: 32
    .name:           _ZN2at6native12_GLOBAL__N_135GammaBetaBackwardCUDAKernelTemplateIN3c108BFloat16EfLj32ELj1ELj32ELb1ELb0ELb1EEEvllPKT_S7_PKT0_SA_PS5_SB_
    .private_segment_fixed_size: 304
    .sgpr_count:     44
    .sgpr_spill_count: 0
    .symbol:         _ZN2at6native12_GLOBAL__N_135GammaBetaBackwardCUDAKernelTemplateIN3c108BFloat16EfLj32ELj1ELj32ELb1ELb0ELb1EEEvllPKT_S7_PKT0_SA_PS5_SB_.kd
    .uniform_work_group_size: 1
    .uses_dynamic_stack: false
    .vgpr_count:     256
    .vgpr_spill_count: 148
    .wavefront_size: 64
  - .args:
      - .offset:         0
        .size:           8
        .value_kind:     by_value
      - .offset:         8
        .size:           8
        .value_kind:     by_value
      - .actual_access:  read_only
        .address_space:  global
        .offset:         16
        .size:           8
        .value_kind:     global_buffer
      - .actual_access:  read_only
        .address_space:  global
        .offset:         24
        .size:           8
        .value_kind:     global_buffer
      - .actual_access:  read_only
        .address_space:  global
        .offset:         32
        .size:           8
        .value_kind:     global_buffer
      - .actual_access:  read_only
        .address_space:  global
        .offset:         40
        .size:           8
        .value_kind:     global_buffer
      - .actual_access:  write_only
        .address_space:  global
        .offset:         48
        .size:           8
        .value_kind:     global_buffer
      - .actual_access:  read_only
        .address_space:  global
        .offset:         56
        .size:           8
        .value_kind:     global_buffer
      - .offset:         64
        .size:           4
        .value_kind:     hidden_block_count_x
      - .offset:         68
        .size:           4
        .value_kind:     hidden_block_count_y
      - .offset:         72
        .size:           4
        .value_kind:     hidden_block_count_z
      - .offset:         76
        .size:           2
        .value_kind:     hidden_group_size_x
      - .offset:         78
        .size:           2
        .value_kind:     hidden_group_size_y
      - .offset:         80
        .size:           2
        .value_kind:     hidden_group_size_z
      - .offset:         82
        .size:           2
        .value_kind:     hidden_remainder_x
      - .offset:         84
        .size:           2
        .value_kind:     hidden_remainder_y
      - .offset:         86
        .size:           2
        .value_kind:     hidden_remainder_z
      - .offset:         104
        .size:           8
        .value_kind:     hidden_global_offset_x
      - .offset:         112
        .size:           8
        .value_kind:     hidden_global_offset_y
      - .offset:         120
        .size:           8
        .value_kind:     hidden_global_offset_z
      - .offset:         128
        .size:           2
        .value_kind:     hidden_grid_dims
    .group_segment_fixed_size: 0
    .kernarg_segment_align: 8
    .kernarg_segment_size: 320
    .language:       OpenCL C
    .language_version:
      - 2
      - 0
    .max_flat_workgroup_size: 32
    .name:           _ZN2at6native12_GLOBAL__N_135GammaBetaBackwardCUDAKernelTemplateIN3c108BFloat16EfLj32ELj1ELj8ELb1ELb1ELb1EEEvllPKT_S7_PKT0_SA_PS5_SB_
    .private_segment_fixed_size: 0
    .sgpr_count:     36
    .sgpr_spill_count: 0
    .symbol:         _ZN2at6native12_GLOBAL__N_135GammaBetaBackwardCUDAKernelTemplateIN3c108BFloat16EfLj32ELj1ELj8ELb1ELb1ELb1EEEvllPKT_S7_PKT0_SA_PS5_SB_.kd
    .uniform_work_group_size: 1
    .uses_dynamic_stack: false
    .vgpr_count:     24
    .vgpr_spill_count: 0
    .wavefront_size: 64
  - .args:
      - .offset:         0
        .size:           8
        .value_kind:     by_value
      - .offset:         8
        .size:           8
        .value_kind:     by_value
      - .actual_access:  read_only
        .address_space:  global
        .offset:         16
        .size:           8
        .value_kind:     global_buffer
      - .actual_access:  read_only
        .address_space:  global
        .offset:         24
        .size:           8
        .value_kind:     global_buffer
      - .actual_access:  read_only
        .address_space:  global
        .offset:         32
        .size:           8
        .value_kind:     global_buffer
      - .actual_access:  read_only
        .address_space:  global
        .offset:         40
        .size:           8
        .value_kind:     global_buffer
      - .actual_access:  write_only
        .address_space:  global
        .offset:         48
        .size:           8
        .value_kind:     global_buffer
      - .actual_access:  read_only
        .address_space:  global
        .offset:         56
        .size:           8
        .value_kind:     global_buffer
      - .offset:         64
        .size:           4
        .value_kind:     hidden_block_count_x
      - .offset:         68
        .size:           4
        .value_kind:     hidden_block_count_y
      - .offset:         72
        .size:           4
        .value_kind:     hidden_block_count_z
      - .offset:         76
        .size:           2
        .value_kind:     hidden_group_size_x
      - .offset:         78
        .size:           2
        .value_kind:     hidden_group_size_y
      - .offset:         80
        .size:           2
        .value_kind:     hidden_group_size_z
      - .offset:         82
        .size:           2
        .value_kind:     hidden_remainder_x
      - .offset:         84
        .size:           2
        .value_kind:     hidden_remainder_y
      - .offset:         86
        .size:           2
        .value_kind:     hidden_remainder_z
      - .offset:         104
        .size:           8
        .value_kind:     hidden_global_offset_x
      - .offset:         112
        .size:           8
        .value_kind:     hidden_global_offset_y
      - .offset:         120
        .size:           8
        .value_kind:     hidden_global_offset_z
      - .offset:         128
        .size:           2
        .value_kind:     hidden_grid_dims
    .group_segment_fixed_size: 0
    .kernarg_segment_align: 8
    .kernarg_segment_size: 320
    .language:       OpenCL C
    .language_version:
      - 2
      - 0
    .max_flat_workgroup_size: 32
    .name:           _ZN2at6native12_GLOBAL__N_135GammaBetaBackwardCUDAKernelTemplateIN3c108BFloat16EfLj32ELj1ELj8ELb1ELb0ELb1EEEvllPKT_S7_PKT0_SA_PS5_SB_
    .private_segment_fixed_size: 0
    .sgpr_count:     40
    .sgpr_spill_count: 0
    .symbol:         _ZN2at6native12_GLOBAL__N_135GammaBetaBackwardCUDAKernelTemplateIN3c108BFloat16EfLj32ELj1ELj8ELb1ELb0ELb1EEEvllPKT_S7_PKT0_SA_PS5_SB_.kd
    .uniform_work_group_size: 1
    .uses_dynamic_stack: false
    .vgpr_count:     91
    .vgpr_spill_count: 0
    .wavefront_size: 64
  - .args:
      - .offset:         0
        .size:           8
        .value_kind:     by_value
      - .offset:         8
        .size:           8
        .value_kind:     by_value
      - .actual_access:  read_only
        .address_space:  global
        .offset:         16
        .size:           8
        .value_kind:     global_buffer
      - .actual_access:  read_only
        .address_space:  global
        .offset:         24
        .size:           8
        .value_kind:     global_buffer
      - .actual_access:  read_only
        .address_space:  global
        .offset:         32
        .size:           8
        .value_kind:     global_buffer
      - .actual_access:  read_only
        .address_space:  global
        .offset:         40
        .size:           8
        .value_kind:     global_buffer
      - .actual_access:  write_only
        .address_space:  global
        .offset:         48
        .size:           8
        .value_kind:     global_buffer
      - .actual_access:  read_only
        .address_space:  global
        .offset:         56
        .size:           8
        .value_kind:     global_buffer
      - .offset:         64
        .size:           4
        .value_kind:     hidden_block_count_x
      - .offset:         68
        .size:           4
        .value_kind:     hidden_block_count_y
      - .offset:         72
        .size:           4
        .value_kind:     hidden_block_count_z
      - .offset:         76
        .size:           2
        .value_kind:     hidden_group_size_x
      - .offset:         78
        .size:           2
        .value_kind:     hidden_group_size_y
      - .offset:         80
        .size:           2
        .value_kind:     hidden_group_size_z
      - .offset:         82
        .size:           2
        .value_kind:     hidden_remainder_x
      - .offset:         84
        .size:           2
        .value_kind:     hidden_remainder_y
      - .offset:         86
        .size:           2
        .value_kind:     hidden_remainder_z
      - .offset:         104
        .size:           8
        .value_kind:     hidden_global_offset_x
      - .offset:         112
        .size:           8
        .value_kind:     hidden_global_offset_y
      - .offset:         120
        .size:           8
        .value_kind:     hidden_global_offset_z
      - .offset:         128
        .size:           2
        .value_kind:     hidden_grid_dims
      - .offset:         184
        .size:           4
        .value_kind:     hidden_dynamic_lds_size
    .group_segment_fixed_size: 0
    .kernarg_segment_align: 8
    .kernarg_segment_size: 320
    .language:       OpenCL C
    .language_version:
      - 2
      - 0
    .max_flat_workgroup_size: 256
    .name:           _ZN2at6native12_GLOBAL__N_135GammaBetaBackwardCUDAKernelTemplateIN3c108BFloat16EfLj32ELj8ELj64ELb0ELb1ELb1EEEvllPKT_S7_PKT0_SA_PS5_SB_
    .private_segment_fixed_size: 0
    .sgpr_count:     30
    .sgpr_spill_count: 0
    .symbol:         _ZN2at6native12_GLOBAL__N_135GammaBetaBackwardCUDAKernelTemplateIN3c108BFloat16EfLj32ELj8ELj64ELb0ELb1ELb1EEEvllPKT_S7_PKT0_SA_PS5_SB_.kd
    .uniform_work_group_size: 1
    .uses_dynamic_stack: false
    .vgpr_count:     23
    .vgpr_spill_count: 0
    .wavefront_size: 64
  - .args:
      - .offset:         0
        .size:           8
        .value_kind:     by_value
      - .offset:         8
        .size:           8
        .value_kind:     by_value
      - .actual_access:  read_only
        .address_space:  global
        .offset:         16
        .size:           8
        .value_kind:     global_buffer
      - .actual_access:  read_only
        .address_space:  global
        .offset:         24
        .size:           8
        .value_kind:     global_buffer
      - .actual_access:  read_only
        .address_space:  global
        .offset:         32
        .size:           8
        .value_kind:     global_buffer
      - .actual_access:  read_only
        .address_space:  global
        .offset:         40
        .size:           8
        .value_kind:     global_buffer
      - .actual_access:  write_only
        .address_space:  global
        .offset:         48
        .size:           8
        .value_kind:     global_buffer
      - .actual_access:  read_only
        .address_space:  global
        .offset:         56
        .size:           8
        .value_kind:     global_buffer
      - .offset:         64
        .size:           4
        .value_kind:     hidden_block_count_x
      - .offset:         68
        .size:           4
        .value_kind:     hidden_block_count_y
      - .offset:         72
        .size:           4
        .value_kind:     hidden_block_count_z
      - .offset:         76
        .size:           2
        .value_kind:     hidden_group_size_x
      - .offset:         78
        .size:           2
        .value_kind:     hidden_group_size_y
      - .offset:         80
        .size:           2
        .value_kind:     hidden_group_size_z
      - .offset:         82
        .size:           2
        .value_kind:     hidden_remainder_x
      - .offset:         84
        .size:           2
        .value_kind:     hidden_remainder_y
      - .offset:         86
        .size:           2
        .value_kind:     hidden_remainder_z
      - .offset:         104
        .size:           8
        .value_kind:     hidden_global_offset_x
      - .offset:         112
        .size:           8
        .value_kind:     hidden_global_offset_y
      - .offset:         120
        .size:           8
        .value_kind:     hidden_global_offset_z
      - .offset:         128
        .size:           2
        .value_kind:     hidden_grid_dims
      - .offset:         184
        .size:           4
        .value_kind:     hidden_dynamic_lds_size
    .group_segment_fixed_size: 0
    .kernarg_segment_align: 8
    .kernarg_segment_size: 320
    .language:       OpenCL C
    .language_version:
      - 2
      - 0
    .max_flat_workgroup_size: 256
    .name:           _ZN2at6native12_GLOBAL__N_135GammaBetaBackwardCUDAKernelTemplateIN3c108BFloat16EfLj32ELj8ELj64ELb0ELb0ELb1EEEvllPKT_S7_PKT0_SA_PS5_SB_
    .private_segment_fixed_size: 0
    .sgpr_count:     38
    .sgpr_spill_count: 0
    .symbol:         _ZN2at6native12_GLOBAL__N_135GammaBetaBackwardCUDAKernelTemplateIN3c108BFloat16EfLj32ELj8ELj64ELb0ELb0ELb1EEEvllPKT_S7_PKT0_SA_PS5_SB_.kd
    .uniform_work_group_size: 1
    .uses_dynamic_stack: false
    .vgpr_count:     90
    .vgpr_spill_count: 0
    .wavefront_size: 64
  - .args:
      - .offset:         0
        .size:           8
        .value_kind:     by_value
      - .offset:         8
        .size:           8
        .value_kind:     by_value
      - .actual_access:  read_only
        .address_space:  global
        .offset:         16
        .size:           8
        .value_kind:     global_buffer
      - .actual_access:  read_only
        .address_space:  global
        .offset:         24
        .size:           8
        .value_kind:     global_buffer
      - .actual_access:  read_only
        .address_space:  global
        .offset:         32
        .size:           8
        .value_kind:     global_buffer
      - .actual_access:  read_only
        .address_space:  global
        .offset:         40
        .size:           8
        .value_kind:     global_buffer
      - .actual_access:  write_only
        .address_space:  global
        .offset:         48
        .size:           8
        .value_kind:     global_buffer
      - .actual_access:  read_only
        .address_space:  global
        .offset:         56
        .size:           8
        .value_kind:     global_buffer
      - .offset:         64
        .size:           4
        .value_kind:     hidden_block_count_x
      - .offset:         68
        .size:           4
        .value_kind:     hidden_block_count_y
      - .offset:         72
        .size:           4
        .value_kind:     hidden_block_count_z
      - .offset:         76
        .size:           2
        .value_kind:     hidden_group_size_x
      - .offset:         78
        .size:           2
        .value_kind:     hidden_group_size_y
      - .offset:         80
        .size:           2
        .value_kind:     hidden_group_size_z
      - .offset:         82
        .size:           2
        .value_kind:     hidden_remainder_x
      - .offset:         84
        .size:           2
        .value_kind:     hidden_remainder_y
      - .offset:         86
        .size:           2
        .value_kind:     hidden_remainder_z
      - .offset:         104
        .size:           8
        .value_kind:     hidden_global_offset_x
      - .offset:         112
        .size:           8
        .value_kind:     hidden_global_offset_y
      - .offset:         120
        .size:           8
        .value_kind:     hidden_global_offset_z
      - .offset:         128
        .size:           2
        .value_kind:     hidden_grid_dims
      - .offset:         184
        .size:           4
        .value_kind:     hidden_dynamic_lds_size
    .group_segment_fixed_size: 0
    .kernarg_segment_align: 8
    .kernarg_segment_size: 320
    .language:       OpenCL C
    .language_version:
      - 2
      - 0
    .max_flat_workgroup_size: 512
    .name:           _ZN2at6native12_GLOBAL__N_135GammaBetaBackwardCUDAKernelTemplateIN3c108BFloat16EfLj32ELj16ELj128ELb0ELb1ELb1EEEvllPKT_S7_PKT0_SA_PS5_SB_
    .private_segment_fixed_size: 0
    .sgpr_count:     30
    .sgpr_spill_count: 0
    .symbol:         _ZN2at6native12_GLOBAL__N_135GammaBetaBackwardCUDAKernelTemplateIN3c108BFloat16EfLj32ELj16ELj128ELb0ELb1ELb1EEEvllPKT_S7_PKT0_SA_PS5_SB_.kd
    .uniform_work_group_size: 1
    .uses_dynamic_stack: false
    .vgpr_count:     23
    .vgpr_spill_count: 0
    .wavefront_size: 64
  - .args:
      - .offset:         0
        .size:           8
        .value_kind:     by_value
      - .offset:         8
        .size:           8
        .value_kind:     by_value
      - .actual_access:  read_only
        .address_space:  global
        .offset:         16
        .size:           8
        .value_kind:     global_buffer
      - .actual_access:  read_only
        .address_space:  global
        .offset:         24
        .size:           8
        .value_kind:     global_buffer
      - .actual_access:  read_only
        .address_space:  global
        .offset:         32
        .size:           8
        .value_kind:     global_buffer
      - .actual_access:  read_only
        .address_space:  global
        .offset:         40
        .size:           8
        .value_kind:     global_buffer
      - .actual_access:  write_only
        .address_space:  global
        .offset:         48
        .size:           8
        .value_kind:     global_buffer
      - .actual_access:  read_only
        .address_space:  global
        .offset:         56
        .size:           8
        .value_kind:     global_buffer
      - .offset:         64
        .size:           4
        .value_kind:     hidden_block_count_x
      - .offset:         68
        .size:           4
        .value_kind:     hidden_block_count_y
      - .offset:         72
        .size:           4
        .value_kind:     hidden_block_count_z
      - .offset:         76
        .size:           2
        .value_kind:     hidden_group_size_x
      - .offset:         78
        .size:           2
        .value_kind:     hidden_group_size_y
      - .offset:         80
        .size:           2
        .value_kind:     hidden_group_size_z
      - .offset:         82
        .size:           2
        .value_kind:     hidden_remainder_x
      - .offset:         84
        .size:           2
        .value_kind:     hidden_remainder_y
      - .offset:         86
        .size:           2
        .value_kind:     hidden_remainder_z
      - .offset:         104
        .size:           8
        .value_kind:     hidden_global_offset_x
      - .offset:         112
        .size:           8
        .value_kind:     hidden_global_offset_y
      - .offset:         120
        .size:           8
        .value_kind:     hidden_global_offset_z
      - .offset:         128
        .size:           2
        .value_kind:     hidden_grid_dims
      - .offset:         184
        .size:           4
        .value_kind:     hidden_dynamic_lds_size
    .group_segment_fixed_size: 0
    .kernarg_segment_align: 8
    .kernarg_segment_size: 320
    .language:       OpenCL C
    .language_version:
      - 2
      - 0
    .max_flat_workgroup_size: 512
    .name:           _ZN2at6native12_GLOBAL__N_135GammaBetaBackwardCUDAKernelTemplateIN3c108BFloat16EfLj32ELj16ELj128ELb0ELb0ELb1EEEvllPKT_S7_PKT0_SA_PS5_SB_
    .private_segment_fixed_size: 0
    .sgpr_count:     38
    .sgpr_spill_count: 0
    .symbol:         _ZN2at6native12_GLOBAL__N_135GammaBetaBackwardCUDAKernelTemplateIN3c108BFloat16EfLj32ELj16ELj128ELb0ELb0ELb1EEEvllPKT_S7_PKT0_SA_PS5_SB_.kd
    .uniform_work_group_size: 1
    .uses_dynamic_stack: false
    .vgpr_count:     90
    .vgpr_spill_count: 0
    .wavefront_size: 64
  - .args:
      - .offset:         0
        .size:           8
        .value_kind:     by_value
      - .offset:         8
        .size:           8
        .value_kind:     by_value
      - .actual_access:  read_only
        .address_space:  global
        .offset:         16
        .size:           8
        .value_kind:     global_buffer
      - .actual_access:  read_only
        .address_space:  global
        .offset:         24
        .size:           8
        .value_kind:     global_buffer
      - .actual_access:  read_only
        .address_space:  global
        .offset:         32
        .size:           8
        .value_kind:     global_buffer
      - .actual_access:  read_only
        .address_space:  global
        .offset:         40
        .size:           8
        .value_kind:     global_buffer
      - .actual_access:  write_only
        .address_space:  global
        .offset:         48
        .size:           8
        .value_kind:     global_buffer
      - .actual_access:  read_only
        .address_space:  global
        .offset:         56
        .size:           8
        .value_kind:     global_buffer
      - .offset:         64
        .size:           4
        .value_kind:     hidden_block_count_x
      - .offset:         68
        .size:           4
        .value_kind:     hidden_block_count_y
      - .offset:         72
        .size:           4
        .value_kind:     hidden_block_count_z
      - .offset:         76
        .size:           2
        .value_kind:     hidden_group_size_x
      - .offset:         78
        .size:           2
        .value_kind:     hidden_group_size_y
      - .offset:         80
        .size:           2
        .value_kind:     hidden_group_size_z
      - .offset:         82
        .size:           2
        .value_kind:     hidden_remainder_x
      - .offset:         84
        .size:           2
        .value_kind:     hidden_remainder_y
      - .offset:         86
        .size:           2
        .value_kind:     hidden_remainder_z
      - .offset:         104
        .size:           8
        .value_kind:     hidden_global_offset_x
      - .offset:         112
        .size:           8
        .value_kind:     hidden_global_offset_y
      - .offset:         120
        .size:           8
        .value_kind:     hidden_global_offset_z
      - .offset:         128
        .size:           2
        .value_kind:     hidden_grid_dims
      - .offset:         184
        .size:           4
        .value_kind:     hidden_dynamic_lds_size
    .group_segment_fixed_size: 0
    .kernarg_segment_align: 8
    .kernarg_segment_size: 320
    .language:       OpenCL C
    .language_version:
      - 2
      - 0
    .max_flat_workgroup_size: 1024
    .name:           _ZN2at6native12_GLOBAL__N_135GammaBetaBackwardCUDAKernelTemplateIN3c108BFloat16EfLj32ELj32ELj256ELb0ELb1ELb1EEEvllPKT_S7_PKT0_SA_PS5_SB_
    .private_segment_fixed_size: 0
    .sgpr_count:     30
    .sgpr_spill_count: 0
    .symbol:         _ZN2at6native12_GLOBAL__N_135GammaBetaBackwardCUDAKernelTemplateIN3c108BFloat16EfLj32ELj32ELj256ELb0ELb1ELb1EEEvllPKT_S7_PKT0_SA_PS5_SB_.kd
    .uniform_work_group_size: 1
    .uses_dynamic_stack: false
    .vgpr_count:     23
    .vgpr_spill_count: 0
    .wavefront_size: 64
  - .args:
      - .offset:         0
        .size:           8
        .value_kind:     by_value
      - .offset:         8
        .size:           8
        .value_kind:     by_value
      - .actual_access:  read_only
        .address_space:  global
        .offset:         16
        .size:           8
        .value_kind:     global_buffer
      - .actual_access:  read_only
        .address_space:  global
        .offset:         24
        .size:           8
        .value_kind:     global_buffer
      - .actual_access:  read_only
        .address_space:  global
        .offset:         32
        .size:           8
        .value_kind:     global_buffer
      - .actual_access:  read_only
        .address_space:  global
        .offset:         40
        .size:           8
        .value_kind:     global_buffer
      - .actual_access:  write_only
        .address_space:  global
        .offset:         48
        .size:           8
        .value_kind:     global_buffer
      - .actual_access:  read_only
        .address_space:  global
        .offset:         56
        .size:           8
        .value_kind:     global_buffer
      - .offset:         64
        .size:           4
        .value_kind:     hidden_block_count_x
      - .offset:         68
        .size:           4
        .value_kind:     hidden_block_count_y
      - .offset:         72
        .size:           4
        .value_kind:     hidden_block_count_z
      - .offset:         76
        .size:           2
        .value_kind:     hidden_group_size_x
      - .offset:         78
        .size:           2
        .value_kind:     hidden_group_size_y
      - .offset:         80
        .size:           2
        .value_kind:     hidden_group_size_z
      - .offset:         82
        .size:           2
        .value_kind:     hidden_remainder_x
      - .offset:         84
        .size:           2
        .value_kind:     hidden_remainder_y
      - .offset:         86
        .size:           2
        .value_kind:     hidden_remainder_z
      - .offset:         104
        .size:           8
        .value_kind:     hidden_global_offset_x
      - .offset:         112
        .size:           8
        .value_kind:     hidden_global_offset_y
      - .offset:         120
        .size:           8
        .value_kind:     hidden_global_offset_z
      - .offset:         128
        .size:           2
        .value_kind:     hidden_grid_dims
      - .offset:         184
        .size:           4
        .value_kind:     hidden_dynamic_lds_size
    .group_segment_fixed_size: 0
    .kernarg_segment_align: 8
    .kernarg_segment_size: 320
    .language:       OpenCL C
    .language_version:
      - 2
      - 0
    .max_flat_workgroup_size: 1024
    .name:           _ZN2at6native12_GLOBAL__N_135GammaBetaBackwardCUDAKernelTemplateIN3c108BFloat16EfLj32ELj32ELj256ELb0ELb0ELb1EEEvllPKT_S7_PKT0_SA_PS5_SB_
    .private_segment_fixed_size: 108
    .sgpr_count:     44
    .sgpr_spill_count: 0
    .symbol:         _ZN2at6native12_GLOBAL__N_135GammaBetaBackwardCUDAKernelTemplateIN3c108BFloat16EfLj32ELj32ELj256ELb0ELb0ELb1EEEvllPKT_S7_PKT0_SA_PS5_SB_.kd
    .uniform_work_group_size: 1
    .uses_dynamic_stack: false
    .vgpr_count:     64
    .vgpr_spill_count: 49
    .wavefront_size: 64
amdhsa.target:   amdgcn-amd-amdhsa--gfx906
amdhsa.version:
  - 1
  - 2
...

	.end_amdgpu_metadata
